;; amdgpu-corpus repo=pytorch/pytorch kind=compiled arch=gfx1201 opt=O3
	.amdgcn_target "amdgcn-amd-amdhsa--gfx1201"
	.amdhsa_code_object_version 6
	.section	.text._ZN2at6native12_GLOBAL__N_16kernel17lstm_cell_forwardIddiLi1EEEvNS_4cuda6detail10TensorInfoIT_T1_EES9_S9_S9_S9_S9_S9_S9_S8_S8_,"axG",@progbits,_ZN2at6native12_GLOBAL__N_16kernel17lstm_cell_forwardIddiLi1EEEvNS_4cuda6detail10TensorInfoIT_T1_EES9_S9_S9_S9_S9_S9_S9_S8_S8_,comdat
	.globl	_ZN2at6native12_GLOBAL__N_16kernel17lstm_cell_forwardIddiLi1EEEvNS_4cuda6detail10TensorInfoIT_T1_EES9_S9_S9_S9_S9_S9_S9_S8_S8_ ; -- Begin function _ZN2at6native12_GLOBAL__N_16kernel17lstm_cell_forwardIddiLi1EEEvNS_4cuda6detail10TensorInfoIT_T1_EES9_S9_S9_S9_S9_S9_S9_S8_S8_
	.p2align	8
	.type	_ZN2at6native12_GLOBAL__N_16kernel17lstm_cell_forwardIddiLi1EEEvNS_4cuda6detail10TensorInfoIT_T1_EES9_S9_S9_S9_S9_S9_S9_S8_S8_,@function
_ZN2at6native12_GLOBAL__N_16kernel17lstm_cell_forwardIddiLi1EEEvNS_4cuda6detail10TensorInfoIT_T1_EES9_S9_S9_S9_S9_S9_S9_S8_S8_: ; @_ZN2at6native12_GLOBAL__N_16kernel17lstm_cell_forwardIddiLi1EEEvNS_4cuda6detail10TensorInfoIT_T1_EES9_S9_S9_S9_S9_S9_S9_S8_S8_
; %bb.0:
	s_clause 0x1
	s_load_b32 s2, s[0:1], 0x6d4
	s_load_b64 s[4:5], s[0:1], 0x6c0
	s_mov_b32 s3, exec_lo
	s_wait_kmcnt 0x0
	s_and_b32 s2, s2, 0xffff
	s_delay_alu instid0(SALU_CYCLE_1) | instskip(NEXT) | instid1(VALU_DEP_1)
	v_mad_co_u64_u32 v[0:1], null, ttmp9, s2, v[0:1]
	v_cmpx_gt_i32_e64 s5, v0
	s_cbranch_execz .LBB0_6
; %bb.1:
	s_load_b64 s[6:7], s[0:1], 0x1b0
	s_add_nc_u64 s[24:25], s[0:1], 0x6c8
	s_clause 0xe
	s_load_b64 s[8:9], s[0:1], 0x0
	s_load_b32 s3, s[0:1], 0x6c
	s_load_b64 s[10:11], s[0:1], 0xd8
	s_load_b32 s33, s[0:1], 0x144
	s_load_b32 s58, s[0:1], 0x21c
	s_load_b64 s[12:13], s[0:1], 0x288
	s_load_b32 s59, s[0:1], 0x2f4
	s_load_b64 s[14:15], s[0:1], 0x360
	;; [unrolled: 2-line block ×5, first 2 shown]
	s_load_b32 s60, s[0:1], 0x654
	s_load_b32 s65, s[24:25], 0x0
	s_mov_b32 s26, 0xfefa3000
	s_mov_b32 s27, 0xbfe62e42
	;; [unrolled: 1-line block ×14, first 2 shown]
	s_wait_kmcnt 0x0
	v_mul_lo_u32 v3, v0, s41
	s_mov_b32 s56, 0xf97b57a0
	s_cmp_lg_u64 s[6:7], 0
	v_mul_lo_u32 v5, v0, s42
	s_cselect_b32 s63, -1, 0
	s_abs_i32 s64, s4
	s_mul_i32 s65, s65, s2
	s_cvt_f32_u32 s0, s64
	s_sub_co_i32 s1, 0, s64
	s_mul_i32 s68, s65, s40
	s_mul_i32 s69, s65, s41
	s_wait_alu 0xfffe
	v_rcp_iflag_f32_e32 v1, s0
	s_mul_i32 s70, s65, s42
	s_mov_b32 s42, 0x14761f6e
	s_mov_b32 s61, 0
	s_mul_i32 s62, s4, 3
	s_mov_b32 s23, 0xbff71547
	s_mov_b32 s25, 0x3ff71547
	;; [unrolled: 1-line block ×5, first 2 shown]
	v_readfirstlane_b32 s0, v1
	v_mul_lo_u32 v1, v0, s40
	s_mov_b32 s40, 0x7c89e6b0
	s_mov_b32 s37, 0x3e5ade15
	;; [unrolled: 1-line block ×3, first 2 shown]
	s_mul_f32 s0, s0, 0x4f7ffffe
	s_mov_b32 s29, s27
	s_ashr_i32 s66, s4, 31
	s_sub_co_i32 s67, 0, s4
	s_wait_alu 0xfffe
	s_cvt_u32_f32 s0, s0
	s_mov_b32 s41, 0x3efa0199
	s_mov_b32 s43, 0x3f2a01a0
	;; [unrolled: 1-line block ×3, first 2 shown]
	s_wait_alu 0xfffe
	s_mul_i32 s1, s1, s0
	s_mov_b32 s47, 0x3f811111
	s_wait_alu 0xfffe
	s_mul_hi_u32 s1, s0, s1
	s_mov_b32 s49, 0x3fa55555
	s_wait_alu 0xfffe
	s_add_co_i32 s71, s0, s1
	s_mov_b32 s51, 0x3fc55555
	s_mov_b32 s53, 0x3fe00000
	;; [unrolled: 1-line block ×4, first 2 shown]
	s_branch .LBB0_4
.LBB0_2:                                ;   in Loop: Header=BB0_4 Depth=1
	v_sub_nc_u32_e32 v4, v4, v15
	v_mad_co_u64_u32 v[15:16], null, s67, v16, v[0:1]
	s_delay_alu instid0(VALU_DEP_2) | instskip(SKIP_2) | instid1(VALU_DEP_4)
	v_mul_lo_u32 v17, s4, v4
	v_add_nc_u32_e32 v18, 2, v4
	v_add_nc_u32_e32 v4, 3, v4
	v_mul_lo_u32 v16, v15, s58
	v_mul_lo_u32 v35, v15, s59
	s_delay_alu instid0(VALU_DEP_4) | instskip(SKIP_3) | instid1(VALU_DEP_3)
	v_mad_co_u64_u32 v[27:28], null, s4, v18, v[0:1]
	v_add3_u32 v28, v17, s4, v0
	v_mad_co_u64_u32 v[31:32], null, s4, v4, v[0:1]
	v_ashrrev_i32_e32 v17, 31, v16
	v_mul_lo_u32 v37, v28, s58
	v_mul_lo_u32 v15, v27, s58
	;; [unrolled: 1-line block ×5, first 2 shown]
	v_lshlrev_b64_e32 v[17:18], 3, v[16:17]
	v_mul_lo_u32 v31, v31, s59
	v_ashrrev_i32_e32 v36, 31, v35
	v_ashrrev_i32_e32 v38, 31, v37
	;; [unrolled: 1-line block ×4, first 2 shown]
	v_add_co_u32 v17, vcc_lo, s6, v17
	v_ashrrev_i32_e32 v40, 31, v39
	v_lshlrev_b64_e32 v[37:38], 3, v[37:38]
	v_lshlrev_b64_e32 v[15:16], 3, v[15:16]
	v_ashrrev_i32_e32 v28, 31, v27
	s_wait_alu 0xfffd
	v_add_co_ci_u32_e64 v18, null, s7, v18, vcc_lo
	v_lshlrev_b64_e32 v[39:40], 3, v[39:40]
	v_add_co_u32 v43, vcc_lo, s6, v37
	v_lshlrev_b64_e32 v[35:36], 3, v[35:36]
	v_ashrrev_i32_e32 v32, 31, v31
	s_wait_alu 0xfffd
	v_add_co_ci_u32_e64 v44, null, s7, v38, vcc_lo
	v_add_co_u32 v15, vcc_lo, s6, v15
	v_lshlrev_b64_e32 v[37:38], 3, v[41:42]
	s_wait_alu 0xfffd
	v_add_co_ci_u32_e64 v16, null, s7, v16, vcc_lo
	v_add_co_u32 v39, vcc_lo, s6, v39
	v_lshlrev_b64_e32 v[27:28], 3, v[27:28]
	;; [unrolled: 4-line block ×3, first 2 shown]
	s_wait_alu 0xfffd
	v_add_co_ci_u32_e64 v46, null, s13, v36, vcc_lo
	v_add_co_u32 v47, vcc_lo, s12, v37
	s_wait_alu 0xfffd
	v_add_co_ci_u32_e64 v48, null, s13, v38, vcc_lo
	v_add_co_u32 v49, vcc_lo, s12, v27
	;; [unrolled: 3-line block ×3, first 2 shown]
	s_wait_alu 0xfffd
	v_add_co_ci_u32_e64 v52, null, s13, v32, vcc_lo
	s_clause 0x3
	global_load_b64 v[37:38], v[17:18], off
	global_load_b64 v[35:36], v[43:44], off
	global_load_b64 v[41:42], v[15:16], off
	global_load_b64 v[17:18], v[39:40], off
	s_clause 0x3
	global_load_b64 v[31:32], v[45:46], off
	global_load_b64 v[27:28], v[47:48], off
	;; [unrolled: 1-line block ×4, first 2 shown]
.LBB0_3:                                ;   in Loop: Header=BB0_4 Depth=1
	s_wait_loadcnt 0x2
	v_add_f64_e32 v[29:30], v[29:30], v[33:34]
	v_add_f64_e32 v[19:20], v[19:20], v[23:24]
	v_add_f64_e32 v[21:22], v[21:22], v[25:26]
	s_wait_loadcnt 0x1
	v_add_f64_e32 v[9:10], v[9:10], v[11:12]
	v_mul_lo_u32 v7, v7, s60
	v_add_nc_u32_e32 v1, s68, v1
	v_add_nc_u32_e32 v0, s65, v0
	v_add_f64_e32 v[29:30], v[29:30], v[41:42]
	v_add_f64_e32 v[19:20], v[19:20], v[37:38]
	;; [unrolled: 1-line block ×4, first 2 shown]
	s_delay_alu instid0(VALU_DEP_4) | instskip(NEXT) | instid1(VALU_DEP_4)
	v_add_f64_e32 v[29:30], v[39:40], v[29:30]
	v_add_f64_e32 v[19:20], v[31:32], v[19:20]
	s_delay_alu instid0(VALU_DEP_4) | instskip(SKIP_1) | instid1(VALU_DEP_4)
	v_add_f64_e32 v[21:22], v[27:28], v[21:22]
	s_wait_loadcnt 0x0
	v_add_f64_e32 v[9:10], v[15:16], v[9:10]
	s_delay_alu instid0(VALU_DEP_4) | instskip(NEXT) | instid1(VALU_DEP_4)
	v_mul_f64_e64 v[33:34], |v[29:30]|, s[24:25]
	v_mul_f64_e32 v[27:28], s[22:23], v[19:20]
	s_delay_alu instid0(VALU_DEP_4)
	v_mul_f64_e32 v[31:32], s[22:23], v[21:22]
	v_cmp_nlt_f64_e64 s1, 0x4090cc00, v[19:20]
	v_cmp_ngt_f64_e64 s2, 0xc0900000, v[21:22]
	v_rndne_f64_e32 v[33:34], v[33:34]
	v_rndne_f64_e32 v[27:28], v[27:28]
	;; [unrolled: 1-line block ×3, first 2 shown]
	s_delay_alu instid0(VALU_DEP_3) | instskip(SKIP_2) | instid1(VALU_DEP_4)
	v_fma_f64 v[39:40], v[33:34], s[26:27], |v[29:30]|
	v_mul_f64_e32 v[41:42], s[54:55], v[33:34]
	v_cvt_i32_f64_e32 v4, v[33:34]
	v_fma_f64 v[37:38], v[31:32], s[28:29], -v[21:22]
	s_delay_alu instid0(VALU_DEP_4) | instskip(NEXT) | instid1(VALU_DEP_2)
	v_add_f64_e32 v[43:44], 0, v[39:40]
	v_fma_f64 v[37:38], v[31:32], s[30:31], v[37:38]
	s_delay_alu instid0(VALU_DEP_2) | instskip(SKIP_1) | instid1(VALU_DEP_2)
	v_add_f64_e64 v[45:46], v[43:44], -v[41:42]
	v_add_f64_e64 v[39:40], v[39:40], -v[43:44]
	;; [unrolled: 1-line block ×3, first 2 shown]
	s_delay_alu instid0(VALU_DEP_2) | instskip(NEXT) | instid1(VALU_DEP_2)
	v_add_f64_e32 v[39:40], 0, v[39:40]
	v_add_f64_e64 v[41:42], v[43:44], -v[41:42]
	s_delay_alu instid0(VALU_DEP_1) | instskip(SKIP_1) | instid1(VALU_DEP_2)
	v_add_f64_e32 v[39:40], v[39:40], v[41:42]
	v_mul_f64_e32 v[41:42], s[56:57], v[33:34]
	v_add_f64_e32 v[43:44], v[45:46], v[39:40]
	s_delay_alu instid0(VALU_DEP_1) | instskip(SKIP_1) | instid1(VALU_DEP_2)
	v_add_f64_e64 v[47:48], v[43:44], -v[41:42]
	v_add_f64_e64 v[45:46], v[45:46], -v[43:44]
	;; [unrolled: 1-line block ×3, first 2 shown]
	s_delay_alu instid0(VALU_DEP_2) | instskip(NEXT) | instid1(VALU_DEP_2)
	v_add_f64_e32 v[39:40], v[39:40], v[45:46]
	v_add_f64_e64 v[41:42], v[43:44], -v[41:42]
	s_delay_alu instid0(VALU_DEP_1) | instskip(NEXT) | instid1(VALU_DEP_1)
	v_add_f64_e32 v[39:40], v[39:40], v[41:42]
	v_add_f64_e32 v[41:42], v[47:48], v[39:40]
	s_delay_alu instid0(VALU_DEP_1) | instskip(SKIP_2) | instid1(VALU_DEP_3)
	v_fma_f64 v[43:44], v[41:42], s[36:37], s[34:35]
	v_add_f64_e64 v[45:46], v[47:48], -v[41:42]
	v_mul_f64_e32 v[47:48], v[41:42], v[41:42]
	v_fma_f64 v[43:44], v[41:42], v[43:44], s[38:39]
	s_delay_alu instid0(VALU_DEP_3) | instskip(NEXT) | instid1(VALU_DEP_3)
	v_add_f64_e32 v[39:40], v[39:40], v[45:46]
	v_fma_f64 v[45:46], v[41:42], v[41:42], -v[47:48]
	s_delay_alu instid0(VALU_DEP_3) | instskip(NEXT) | instid1(VALU_DEP_3)
	v_fma_f64 v[43:44], v[41:42], v[43:44], s[40:41]
	v_add_f64_e32 v[49:50], v[39:40], v[39:40]
	s_delay_alu instid0(VALU_DEP_2) | instskip(NEXT) | instid1(VALU_DEP_2)
	v_fma_f64 v[43:44], v[41:42], v[43:44], s[42:43]
	v_fma_f64 v[45:46], v[41:42], v[49:50], v[45:46]
	s_delay_alu instid0(VALU_DEP_2) | instskip(NEXT) | instid1(VALU_DEP_2)
	v_fma_f64 v[43:44], v[41:42], v[43:44], s[44:45]
	v_add_f64_e32 v[49:50], v[47:48], v[45:46]
	s_delay_alu instid0(VALU_DEP_2) | instskip(NEXT) | instid1(VALU_DEP_2)
	v_fma_f64 v[43:44], v[41:42], v[43:44], s[46:47]
	v_add_f64_e64 v[47:48], v[49:50], -v[47:48]
	s_delay_alu instid0(VALU_DEP_2) | instskip(NEXT) | instid1(VALU_DEP_2)
	v_fma_f64 v[43:44], v[41:42], v[43:44], s[48:49]
	v_add_f64_e64 v[45:46], v[45:46], -v[47:48]
	s_delay_alu instid0(VALU_DEP_2) | instskip(NEXT) | instid1(VALU_DEP_1)
	v_fma_f64 v[43:44], v[41:42], v[43:44], s[50:51]
	v_fma_f64 v[43:44], v[41:42], v[43:44], s[52:53]
	s_delay_alu instid0(VALU_DEP_1) | instskip(NEXT) | instid1(VALU_DEP_1)
	v_mul_f64_e32 v[51:52], v[49:50], v[43:44]
	v_fma_f64 v[47:48], v[49:50], v[43:44], -v[51:52]
	s_delay_alu instid0(VALU_DEP_1) | instskip(NEXT) | instid1(VALU_DEP_1)
	v_fma_f64 v[43:44], v[45:46], v[43:44], v[47:48]
	v_add_f64_e32 v[45:46], v[51:52], v[43:44]
	s_delay_alu instid0(VALU_DEP_1) | instskip(SKIP_1) | instid1(VALU_DEP_2)
	v_add_f64_e32 v[47:48], v[41:42], v[45:46]
	v_add_f64_e64 v[49:50], v[45:46], -v[51:52]
	v_add_f64_e64 v[41:42], v[47:48], -v[41:42]
	s_delay_alu instid0(VALU_DEP_2) | instskip(NEXT) | instid1(VALU_DEP_2)
	v_add_f64_e64 v[43:44], v[43:44], -v[49:50]
	v_add_f64_e64 v[41:42], v[45:46], -v[41:42]
	s_delay_alu instid0(VALU_DEP_2) | instskip(NEXT) | instid1(VALU_DEP_1)
	v_add_f64_e32 v[39:40], v[39:40], v[43:44]
	v_add_f64_e32 v[39:40], v[39:40], v[41:42]
	s_delay_alu instid0(VALU_DEP_1) | instskip(NEXT) | instid1(VALU_DEP_1)
	v_add_f64_e32 v[41:42], v[47:48], v[39:40]
	v_add_f64_e32 v[43:44], 1.0, v[41:42]
	v_add_f64_e64 v[45:46], v[41:42], -v[47:48]
	s_delay_alu instid0(VALU_DEP_2) | instskip(NEXT) | instid1(VALU_DEP_2)
	v_add_f64_e32 v[47:48], -1.0, v[43:44]
	v_add_f64_e64 v[39:40], v[39:40], -v[45:46]
	s_delay_alu instid0(VALU_DEP_2) | instskip(NEXT) | instid1(VALU_DEP_1)
	v_add_f64_e64 v[41:42], v[41:42], -v[47:48]
	v_add_f64_e32 v[39:40], v[39:40], v[41:42]
	s_delay_alu instid0(VALU_DEP_1) | instskip(NEXT) | instid1(VALU_DEP_1)
	v_add_f64_e32 v[33:34], v[43:44], v[39:40]
	v_ldexp_f64 v[41:42], v[33:34], v4
	v_add_f64_e64 v[33:34], v[33:34], -v[43:44]
	s_delay_alu instid0(VALU_DEP_2) | instskip(NEXT) | instid1(VALU_DEP_1)
	v_rcp_f64_e32 v[45:46], v[41:42]
	v_add_f64_e64 v[33:34], v[39:40], -v[33:34]
	s_delay_alu instid0(VALU_DEP_1) | instskip(NEXT) | instid1(TRANS32_DEP_1)
	v_ldexp_f64 v[33:34], v[33:34], v4
	v_fma_f64 v[47:48], -v[41:42], v[45:46], 1.0
	v_cvt_i32_f64_e32 v4, v[27:28]
	s_delay_alu instid0(VALU_DEP_2) | instskip(NEXT) | instid1(VALU_DEP_1)
	v_fma_f64 v[45:46], v[47:48], v[45:46], v[45:46]
	v_fma_f64 v[47:48], -v[41:42], v[45:46], 1.0
	s_delay_alu instid0(VALU_DEP_1) | instskip(NEXT) | instid1(VALU_DEP_1)
	v_fma_f64 v[43:44], v[47:48], v[45:46], v[45:46]
	v_mul_f64_e32 v[39:40], v[41:42], v[43:44]
	s_delay_alu instid0(VALU_DEP_1) | instskip(NEXT) | instid1(VALU_DEP_1)
	v_fma_f64 v[45:46], v[43:44], v[41:42], -v[39:40]
	v_fma_f64 v[45:46], v[43:44], v[33:34], v[45:46]
	s_delay_alu instid0(VALU_DEP_1) | instskip(NEXT) | instid1(VALU_DEP_1)
	v_add_f64_e32 v[47:48], v[39:40], v[45:46]
	v_add_f64_e64 v[49:50], -v[47:48], 1.0
	v_add_f64_e64 v[39:40], v[47:48], -v[39:40]
	s_delay_alu instid0(VALU_DEP_2) | instskip(NEXT) | instid1(VALU_DEP_2)
	v_add_f64_e64 v[51:52], -v[49:50], 1.0
	v_add_f64_e64 v[39:40], v[39:40], -v[45:46]
	s_delay_alu instid0(VALU_DEP_2) | instskip(NEXT) | instid1(VALU_DEP_1)
	v_add_f64_e64 v[45:46], v[51:52], -v[47:48]
	v_add_f64_e32 v[39:40], v[39:40], v[45:46]
	s_delay_alu instid0(VALU_DEP_1) | instskip(NEXT) | instid1(VALU_DEP_1)
	v_add_f64_e32 v[45:46], v[49:50], v[39:40]
	v_mul_f64_e32 v[47:48], v[43:44], v[45:46]
	v_add_f64_e64 v[49:50], v[49:50], -v[45:46]
	s_delay_alu instid0(VALU_DEP_2) | instskip(NEXT) | instid1(VALU_DEP_2)
	v_mul_f64_e32 v[51:52], v[41:42], v[47:48]
	v_add_f64_e32 v[39:40], v[39:40], v[49:50]
	v_add_f64_e32 v[35:36], v[43:44], v[47:48]
	s_delay_alu instid0(VALU_DEP_3) | instskip(NEXT) | instid1(VALU_DEP_1)
	v_fma_f64 v[53:54], v[47:48], v[41:42], -v[51:52]
	v_fma_f64 v[53:54], v[47:48], v[33:34], v[53:54]
	s_delay_alu instid0(VALU_DEP_1) | instskip(NEXT) | instid1(VALU_DEP_1)
	v_add_f64_e32 v[55:56], v[51:52], v[53:54]
	v_add_f64_e64 v[57:58], v[45:46], -v[55:56]
	v_add_f64_e64 v[49:50], v[55:56], -v[51:52]
	s_delay_alu instid0(VALU_DEP_2) | instskip(NEXT) | instid1(VALU_DEP_2)
	v_add_f64_e64 v[45:46], v[45:46], -v[57:58]
	v_add_f64_e64 v[23:24], v[49:50], -v[53:54]
	s_delay_alu instid0(VALU_DEP_2) | instskip(NEXT) | instid1(VALU_DEP_1)
	v_add_f64_e64 v[45:46], v[45:46], -v[55:56]
	v_add_f64_e32 v[25:26], v[39:40], v[45:46]
	s_delay_alu instid0(VALU_DEP_1) | instskip(SKIP_1) | instid1(VALU_DEP_2)
	v_add_f64_e32 v[23:24], v[23:24], v[25:26]
	v_add_f64_e64 v[25:26], v[35:36], -v[43:44]
	v_add_f64_e32 v[23:24], v[57:58], v[23:24]
	s_delay_alu instid0(VALU_DEP_2) | instskip(SKIP_1) | instid1(VALU_DEP_3)
	v_add_f64_e64 v[25:26], v[47:48], -v[25:26]
	v_fma_f64 v[47:48], v[37:38], s[36:37], s[34:35]
	v_mul_f64_e32 v[23:24], v[43:44], v[23:24]
	s_delay_alu instid0(VALU_DEP_1) | instskip(SKIP_1) | instid1(VALU_DEP_2)
	v_add_f64_e32 v[23:24], v[25:26], v[23:24]
	v_fma_f64 v[25:26], v[27:28], s[28:29], -v[19:20]
	v_add_f64_e32 v[39:40], v[35:36], v[23:24]
	s_delay_alu instid0(VALU_DEP_2) | instskip(NEXT) | instid1(VALU_DEP_2)
	v_fma_f64 v[25:26], v[27:28], s[30:31], v[25:26]
	v_add_f64_e32 v[43:44], v[41:42], v[39:40]
	v_add_f64_e64 v[35:36], v[39:40], -v[35:36]
	s_delay_alu instid0(VALU_DEP_3) | instskip(SKIP_1) | instid1(VALU_DEP_4)
	v_fma_f64 v[45:46], v[25:26], s[36:37], s[34:35]
	v_add_f64_e64 v[51:52], v[41:42], -v[39:40]
	v_add_f64_e64 v[49:50], v[43:44], -v[41:42]
	s_delay_alu instid0(VALU_DEP_4) | instskip(NEXT) | instid1(VALU_DEP_4)
	v_add_f64_e64 v[23:24], v[23:24], -v[35:36]
	v_fma_f64 v[35:36], v[25:26], v[45:46], s[38:39]
	v_fma_f64 v[45:46], v[37:38], v[47:48], s[38:39]
	v_add_f64_e64 v[41:42], v[41:42], -v[51:52]
	v_add_f64_e64 v[47:48], v[39:40], -v[49:50]
	v_add_f64_e32 v[49:50], v[33:34], v[23:24]
	v_fma_f64 v[35:36], v[25:26], v[35:36], s[40:41]
	v_fma_f64 v[45:46], v[37:38], v[45:46], s[40:41]
	v_add_f64_e64 v[39:40], v[41:42], -v[39:40]
	s_delay_alu instid0(VALU_DEP_4) | instskip(NEXT) | instid1(VALU_DEP_4)
	v_add_f64_e32 v[47:48], v[49:50], v[47:48]
	v_fma_f64 v[35:36], v[25:26], v[35:36], s[42:43]
	s_delay_alu instid0(VALU_DEP_4) | instskip(NEXT) | instid1(VALU_DEP_4)
	v_fma_f64 v[45:46], v[37:38], v[45:46], s[42:43]
	v_add_f64_e32 v[33:34], v[33:34], v[39:40]
	s_delay_alu instid0(VALU_DEP_4) | instskip(NEXT) | instid1(VALU_DEP_4)
	v_add_f64_e32 v[49:50], v[43:44], v[47:48]
	v_fma_f64 v[35:36], v[25:26], v[35:36], s[44:45]
	s_delay_alu instid0(VALU_DEP_4) | instskip(NEXT) | instid1(VALU_DEP_4)
	v_fma_f64 v[45:46], v[37:38], v[45:46], s[44:45]
	v_add_f64_e64 v[23:24], v[33:34], -v[23:24]
	s_delay_alu instid0(VALU_DEP_4) | instskip(NEXT) | instid1(VALU_DEP_3)
	v_rcp_f64_e32 v[53:54], v[49:50]
	v_fma_f64 v[35:36], v[25:26], v[35:36], s[46:47]
	s_delay_alu instid0(VALU_DEP_3) | instskip(NEXT) | instid1(VALU_DEP_2)
	v_fma_f64 v[45:46], v[37:38], v[45:46], s[46:47]
	v_fma_f64 v[35:36], v[25:26], v[35:36], s[48:49]
	s_delay_alu instid0(TRANS32_DEP_1) | instskip(NEXT) | instid1(VALU_DEP_3)
	v_fma_f64 v[41:42], -v[49:50], v[53:54], 1.0
	v_fma_f64 v[45:46], v[37:38], v[45:46], s[48:49]
	s_delay_alu instid0(VALU_DEP_3) | instskip(NEXT) | instid1(VALU_DEP_3)
	v_fma_f64 v[35:36], v[25:26], v[35:36], s[50:51]
	v_fma_f64 v[39:40], v[41:42], v[53:54], v[53:54]
	s_delay_alu instid0(VALU_DEP_3)
	v_fma_f64 v[41:42], v[37:38], v[45:46], s[50:51]
	v_add_f64_e32 v[45:46], v[51:52], v[23:24]
	v_cvt_i32_f64_e32 v53, v[31:32]
	v_add_f64_e64 v[31:32], v[49:50], -v[43:44]
	v_fma_f64 v[35:36], v[25:26], v[35:36], s[52:53]
	v_fma_f64 v[33:34], -v[49:50], v[39:40], 1.0
	v_fma_f64 v[41:42], v[37:38], v[41:42], s[52:53]
	s_delay_alu instid0(VALU_DEP_4) | instskip(NEXT) | instid1(VALU_DEP_4)
	v_add_f64_e64 v[31:32], v[47:48], -v[31:32]
	v_fma_f64 v[35:36], v[25:26], v[35:36], 1.0
	s_delay_alu instid0(VALU_DEP_4) | instskip(NEXT) | instid1(VALU_DEP_4)
	v_fma_f64 v[33:34], v[33:34], v[39:40], v[39:40]
	v_fma_f64 v[39:40], v[37:38], v[41:42], 1.0
	s_delay_alu instid0(VALU_DEP_3) | instskip(NEXT) | instid1(VALU_DEP_3)
	v_fma_f64 v[25:26], v[25:26], v[35:36], 1.0
	v_mul_f64_e32 v[41:42], v[45:46], v[33:34]
	s_delay_alu instid0(VALU_DEP_3) | instskip(NEXT) | instid1(VALU_DEP_3)
	v_fma_f64 v[27:28], v[37:38], v[39:40], 1.0
	v_ldexp_f64 v[25:26], v[25:26], v4
	s_delay_alu instid0(VALU_DEP_3) | instskip(NEXT) | instid1(VALU_DEP_3)
	v_mul_f64_e32 v[35:36], v[49:50], v[41:42]
	v_ldexp_f64 v[27:28], v[27:28], v53
	s_delay_alu instid0(VALU_DEP_3) | instskip(NEXT) | instid1(VALU_DEP_3)
	v_add_f64_e32 v[25:26], 1.0, v[25:26]
	v_fma_f64 v[37:38], v[41:42], v[49:50], -v[35:36]
	s_delay_alu instid0(VALU_DEP_3) | instskip(NEXT) | instid1(VALU_DEP_2)
	v_add_f64_e32 v[27:28], 1.0, v[27:28]
	v_fma_f64 v[31:32], v[41:42], v[31:32], v[37:38]
	s_delay_alu instid0(VALU_DEP_4) | instskip(NEXT) | instid1(VALU_DEP_3)
	v_div_scale_f64 v[37:38], null, v[25:26], v[25:26], 1.0
	v_div_scale_f64 v[39:40], null, v[27:28], v[27:28], 1.0
	s_delay_alu instid0(VALU_DEP_3) | instskip(NEXT) | instid1(VALU_DEP_3)
	v_add_f64_e32 v[43:44], v[35:36], v[31:32]
	v_rcp_f64_e32 v[47:48], v[37:38]
	s_delay_alu instid0(VALU_DEP_2) | instskip(NEXT) | instid1(VALU_DEP_1)
	v_rcp_f64_e32 v[49:50], v[39:40]
	v_add_f64_e64 v[53:54], v[45:46], -v[43:44]
	v_add_f64_e64 v[35:36], v[43:44], -v[35:36]
	s_delay_alu instid0(TRANS32_DEP_2) | instskip(NEXT) | instid1(TRANS32_DEP_1)
	v_fma_f64 v[55:56], -v[37:38], v[47:48], 1.0
	v_fma_f64 v[57:58], -v[39:40], v[49:50], 1.0
	s_delay_alu instid0(VALU_DEP_4)
	v_add_f64_e64 v[59:60], v[45:46], -v[53:54]
	v_add_f64_e64 v[45:46], v[45:46], -v[51:52]
	;; [unrolled: 1-line block ×3, first 2 shown]
	v_fma_f64 v[47:48], v[47:48], v[55:56], v[47:48]
	v_fma_f64 v[49:50], v[49:50], v[57:58], v[49:50]
	v_add_f64_e64 v[35:36], v[59:60], -v[43:44]
	v_add_f64_e64 v[23:24], v[23:24], -v[45:46]
	v_div_scale_f64 v[45:46], s0, 1.0, v[27:28], 1.0
	v_fma_f64 v[43:44], -v[37:38], v[47:48], 1.0
	v_fma_f64 v[51:52], -v[39:40], v[49:50], 1.0
	v_add_f64_e64 v[31:32], v[35:36], -v[31:32]
	v_div_scale_f64 v[35:36], vcc_lo, 1.0, v[25:26], 1.0
	s_delay_alu instid0(VALU_DEP_4) | instskip(NEXT) | instid1(VALU_DEP_4)
	v_fma_f64 v[43:44], v[47:48], v[43:44], v[47:48]
	v_fma_f64 v[47:48], v[49:50], v[51:52], v[49:50]
	s_delay_alu instid0(VALU_DEP_4) | instskip(NEXT) | instid1(VALU_DEP_3)
	v_add_f64_e32 v[23:24], v[23:24], v[31:32]
	v_mul_f64_e32 v[31:32], v[35:36], v[43:44]
	s_delay_alu instid0(VALU_DEP_3) | instskip(NEXT) | instid1(VALU_DEP_3)
	v_mul_f64_e32 v[49:50], v[45:46], v[47:48]
	v_add_f64_e32 v[23:24], v[53:54], v[23:24]
	s_delay_alu instid0(VALU_DEP_3) | instskip(NEXT) | instid1(VALU_DEP_3)
	v_fma_f64 v[35:36], -v[37:38], v[31:32], v[35:36]
	v_fma_f64 v[37:38], -v[39:40], v[49:50], v[45:46]
	s_delay_alu instid0(VALU_DEP_3) | instskip(SKIP_1) | instid1(VALU_DEP_3)
	v_mul_f64_e32 v[23:24], v[33:34], v[23:24]
	s_wait_alu 0xfffd
	v_div_fmas_f64 v[31:32], v[35:36], v[43:44], v[31:32]
	s_mov_b32 vcc_lo, s0
	v_cmp_ngt_f64_e64 s0, 0xc0900000, v[19:20]
	s_wait_alu 0xfffe
	s_delay_alu instid0(VALU_DEP_4)
	v_div_fmas_f64 v[33:34], v[37:38], v[47:48], v[49:50]
	v_cmp_nlt_f64_e64 vcc_lo, 0x40331000, |v[29:30]|
	v_and_b32_e32 v20, 0x7fffffff, v30
	v_add_f64_e32 v[23:24], v[41:42], v[23:24]
	v_div_fixup_f64 v[25:26], v[31:32], v[25:26], 1.0
	v_div_fixup_f64 v[27:28], v[33:34], v[27:28], 1.0
	s_wait_alu 0xfffd
	s_delay_alu instid0(VALU_DEP_3) | instskip(NEXT) | instid1(VALU_DEP_4)
	v_cndmask_b32_e32 v4, 0x3ff00000, v24, vcc_lo
	v_cndmask_b32_e32 v23, 0, v23, vcc_lo
	v_cmp_gt_f64_e64 vcc_lo, 0x3e400000, |v[29:30]|
	s_wait_alu 0xf1ff
	v_cndmask_b32_e64 v24, 0, v26, s0
	s_and_b32 s0, s1, s0
	v_cndmask_b32_e64 v26, 0, v28, s2
	s_wait_alu 0xfffd
	v_dual_cndmask_b32 v19, v23, v29 :: v_dual_cndmask_b32 v4, v4, v20
	v_cmp_nlt_f64_e32 vcc_lo, 0x4090cc00, v[21:22]
	v_cndmask_b32_e64 v22, 0x3ff00000, v24, s1
	s_wait_alu 0xfffe
	v_cndmask_b32_e64 v21, 0, v25, s0
	v_cmp_ngt_f64_e64 s0, 0xc0900000, v[9:10]
	v_bfi_b32 v20, 0x7fffffff, v4, v30
	v_cmp_nlt_f64_e64 s1, 0x4090cc00, v[9:10]
	s_delay_alu instid0(VALU_DEP_2)
	v_mul_f64_e32 v[23:24], v[21:22], v[19:20]
	s_wait_alu 0xfffd
	v_cndmask_b32_e32 v26, 0x3ff00000, v26, vcc_lo
	s_and_b32 vcc_lo, vcc_lo, s2
	s_wait_alu 0xfffe
	v_cndmask_b32_e32 v25, 0, v27, vcc_lo
	s_delay_alu instid0(VALU_DEP_1) | instskip(NEXT) | instid1(VALU_DEP_1)
	v_fma_f64 v[13:14], v[13:14], v[25:26], v[23:24]
	v_mul_f64_e64 v[23:24], |v[13:14]|, s[24:25]
	s_delay_alu instid0(VALU_DEP_1) | instskip(NEXT) | instid1(VALU_DEP_1)
	v_rndne_f64_e32 v[23:24], v[23:24]
	v_fma_f64 v[27:28], v[23:24], s[26:27], |v[13:14]|
	v_mul_f64_e32 v[29:30], s[54:55], v[23:24]
	v_cvt_i32_f64_e32 v4, v[23:24]
	s_delay_alu instid0(VALU_DEP_3) | instskip(NEXT) | instid1(VALU_DEP_1)
	v_add_f64_e32 v[31:32], 0, v[27:28]
	v_add_f64_e64 v[33:34], v[31:32], -v[29:30]
	v_add_f64_e64 v[27:28], v[27:28], -v[31:32]
	s_delay_alu instid0(VALU_DEP_2) | instskip(NEXT) | instid1(VALU_DEP_2)
	v_add_f64_e64 v[31:32], v[31:32], -v[33:34]
	v_add_f64_e32 v[27:28], 0, v[27:28]
	s_delay_alu instid0(VALU_DEP_2) | instskip(NEXT) | instid1(VALU_DEP_1)
	v_add_f64_e64 v[29:30], v[31:32], -v[29:30]
	v_add_f64_e32 v[27:28], v[27:28], v[29:30]
	v_mul_f64_e32 v[29:30], s[56:57], v[23:24]
	s_delay_alu instid0(VALU_DEP_2) | instskip(NEXT) | instid1(VALU_DEP_1)
	v_add_f64_e32 v[31:32], v[33:34], v[27:28]
	v_add_f64_e64 v[35:36], v[31:32], -v[29:30]
	v_add_f64_e64 v[33:34], v[33:34], -v[31:32]
	s_delay_alu instid0(VALU_DEP_2) | instskip(NEXT) | instid1(VALU_DEP_2)
	v_add_f64_e64 v[31:32], v[31:32], -v[35:36]
	v_add_f64_e32 v[27:28], v[27:28], v[33:34]
	s_delay_alu instid0(VALU_DEP_2) | instskip(NEXT) | instid1(VALU_DEP_1)
	v_add_f64_e64 v[29:30], v[31:32], -v[29:30]
	v_add_f64_e32 v[27:28], v[27:28], v[29:30]
	s_delay_alu instid0(VALU_DEP_1) | instskip(NEXT) | instid1(VALU_DEP_1)
	v_add_f64_e32 v[29:30], v[35:36], v[27:28]
	v_fma_f64 v[31:32], v[29:30], s[36:37], s[34:35]
	v_add_f64_e64 v[33:34], v[35:36], -v[29:30]
	v_mul_f64_e32 v[35:36], v[29:30], v[29:30]
	s_delay_alu instid0(VALU_DEP_3) | instskip(NEXT) | instid1(VALU_DEP_3)
	v_fma_f64 v[31:32], v[29:30], v[31:32], s[38:39]
	v_add_f64_e32 v[27:28], v[27:28], v[33:34]
	s_delay_alu instid0(VALU_DEP_3) | instskip(NEXT) | instid1(VALU_DEP_3)
	v_fma_f64 v[33:34], v[29:30], v[29:30], -v[35:36]
	v_fma_f64 v[31:32], v[29:30], v[31:32], s[40:41]
	s_delay_alu instid0(VALU_DEP_3) | instskip(NEXT) | instid1(VALU_DEP_2)
	v_add_f64_e32 v[37:38], v[27:28], v[27:28]
	v_fma_f64 v[31:32], v[29:30], v[31:32], s[42:43]
	s_delay_alu instid0(VALU_DEP_2) | instskip(NEXT) | instid1(VALU_DEP_2)
	v_fma_f64 v[33:34], v[29:30], v[37:38], v[33:34]
	v_fma_f64 v[31:32], v[29:30], v[31:32], s[44:45]
	s_delay_alu instid0(VALU_DEP_2) | instskip(NEXT) | instid1(VALU_DEP_2)
	v_add_f64_e32 v[37:38], v[35:36], v[33:34]
	v_fma_f64 v[31:32], v[29:30], v[31:32], s[46:47]
	s_delay_alu instid0(VALU_DEP_2) | instskip(NEXT) | instid1(VALU_DEP_2)
	v_add_f64_e64 v[35:36], v[37:38], -v[35:36]
	v_fma_f64 v[31:32], v[29:30], v[31:32], s[48:49]
	s_delay_alu instid0(VALU_DEP_2) | instskip(NEXT) | instid1(VALU_DEP_2)
	v_add_f64_e64 v[33:34], v[33:34], -v[35:36]
	v_fma_f64 v[31:32], v[29:30], v[31:32], s[50:51]
	s_delay_alu instid0(VALU_DEP_1) | instskip(NEXT) | instid1(VALU_DEP_1)
	v_fma_f64 v[31:32], v[29:30], v[31:32], s[52:53]
	v_mul_f64_e32 v[39:40], v[37:38], v[31:32]
	s_delay_alu instid0(VALU_DEP_1) | instskip(NEXT) | instid1(VALU_DEP_1)
	v_fma_f64 v[35:36], v[37:38], v[31:32], -v[39:40]
	v_fma_f64 v[31:32], v[33:34], v[31:32], v[35:36]
	s_delay_alu instid0(VALU_DEP_1) | instskip(NEXT) | instid1(VALU_DEP_1)
	v_add_f64_e32 v[33:34], v[39:40], v[31:32]
	v_add_f64_e32 v[35:36], v[29:30], v[33:34]
	v_add_f64_e64 v[37:38], v[33:34], -v[39:40]
	s_delay_alu instid0(VALU_DEP_2) | instskip(NEXT) | instid1(VALU_DEP_2)
	v_add_f64_e64 v[29:30], v[35:36], -v[29:30]
	v_add_f64_e64 v[31:32], v[31:32], -v[37:38]
	s_delay_alu instid0(VALU_DEP_2) | instskip(NEXT) | instid1(VALU_DEP_2)
	v_add_f64_e64 v[29:30], v[33:34], -v[29:30]
	v_add_f64_e32 v[27:28], v[27:28], v[31:32]
	s_delay_alu instid0(VALU_DEP_1) | instskip(NEXT) | instid1(VALU_DEP_1)
	v_add_f64_e32 v[27:28], v[27:28], v[29:30]
	v_add_f64_e32 v[29:30], v[35:36], v[27:28]
	s_delay_alu instid0(VALU_DEP_1) | instskip(SKIP_1) | instid1(VALU_DEP_2)
	v_add_f64_e32 v[31:32], 1.0, v[29:30]
	v_add_f64_e64 v[33:34], v[29:30], -v[35:36]
	v_add_f64_e32 v[35:36], -1.0, v[31:32]
	s_delay_alu instid0(VALU_DEP_2) | instskip(NEXT) | instid1(VALU_DEP_2)
	v_add_f64_e64 v[27:28], v[27:28], -v[33:34]
	v_add_f64_e64 v[29:30], v[29:30], -v[35:36]
	s_delay_alu instid0(VALU_DEP_1) | instskip(NEXT) | instid1(VALU_DEP_1)
	v_add_f64_e32 v[27:28], v[27:28], v[29:30]
	v_add_f64_e32 v[23:24], v[31:32], v[27:28]
	s_delay_alu instid0(VALU_DEP_1) | instskip(SKIP_1) | instid1(VALU_DEP_2)
	v_ldexp_f64 v[29:30], v[23:24], v4
	v_add_f64_e64 v[23:24], v[23:24], -v[31:32]
	v_rcp_f64_e32 v[33:34], v[29:30]
	s_delay_alu instid0(VALU_DEP_1) | instskip(NEXT) | instid1(VALU_DEP_1)
	v_add_f64_e64 v[23:24], v[27:28], -v[23:24]
	v_ldexp_f64 v[23:24], v[23:24], v4
	s_delay_alu instid0(TRANS32_DEP_1) | instskip(NEXT) | instid1(VALU_DEP_1)
	v_fma_f64 v[35:36], -v[29:30], v[33:34], 1.0
	v_fma_f64 v[33:34], v[35:36], v[33:34], v[33:34]
	s_delay_alu instid0(VALU_DEP_1) | instskip(NEXT) | instid1(VALU_DEP_1)
	v_fma_f64 v[35:36], -v[29:30], v[33:34], 1.0
	v_fma_f64 v[31:32], v[35:36], v[33:34], v[33:34]
	s_delay_alu instid0(VALU_DEP_1) | instskip(NEXT) | instid1(VALU_DEP_1)
	v_mul_f64_e32 v[27:28], v[29:30], v[31:32]
	v_fma_f64 v[33:34], v[31:32], v[29:30], -v[27:28]
	s_delay_alu instid0(VALU_DEP_1) | instskip(NEXT) | instid1(VALU_DEP_1)
	v_fma_f64 v[33:34], v[31:32], v[23:24], v[33:34]
	v_add_f64_e32 v[35:36], v[27:28], v[33:34]
	s_delay_alu instid0(VALU_DEP_1) | instskip(SKIP_1) | instid1(VALU_DEP_2)
	v_add_f64_e64 v[37:38], -v[35:36], 1.0
	v_add_f64_e64 v[27:28], v[35:36], -v[27:28]
	v_add_f64_e64 v[39:40], -v[37:38], 1.0
	s_delay_alu instid0(VALU_DEP_2) | instskip(NEXT) | instid1(VALU_DEP_2)
	v_add_f64_e64 v[27:28], v[27:28], -v[33:34]
	v_add_f64_e64 v[33:34], v[39:40], -v[35:36]
	s_delay_alu instid0(VALU_DEP_1) | instskip(NEXT) | instid1(VALU_DEP_1)
	v_add_f64_e32 v[27:28], v[27:28], v[33:34]
	v_add_f64_e32 v[33:34], v[37:38], v[27:28]
	s_delay_alu instid0(VALU_DEP_1) | instskip(SKIP_1) | instid1(VALU_DEP_2)
	v_mul_f64_e32 v[35:36], v[31:32], v[33:34]
	v_add_f64_e64 v[37:38], v[37:38], -v[33:34]
	v_mul_f64_e32 v[39:40], v[29:30], v[35:36]
	s_delay_alu instid0(VALU_DEP_2) | instskip(SKIP_1) | instid1(VALU_DEP_3)
	v_add_f64_e32 v[27:28], v[27:28], v[37:38]
	v_add_f64_e32 v[17:18], v[31:32], v[35:36]
	v_fma_f64 v[41:42], v[35:36], v[29:30], -v[39:40]
	s_delay_alu instid0(VALU_DEP_2) | instskip(NEXT) | instid1(VALU_DEP_2)
	v_add_f64_e64 v[15:16], v[17:18], -v[31:32]
	v_fma_f64 v[41:42], v[35:36], v[23:24], v[41:42]
	s_delay_alu instid0(VALU_DEP_2) | instskip(NEXT) | instid1(VALU_DEP_2)
	v_add_f64_e64 v[15:16], v[35:36], -v[15:16]
	v_add_f64_e32 v[43:44], v[39:40], v[41:42]
	s_delay_alu instid0(VALU_DEP_1) | instskip(SKIP_1) | instid1(VALU_DEP_2)
	v_add_f64_e64 v[45:46], v[33:34], -v[43:44]
	v_add_f64_e64 v[37:38], v[43:44], -v[39:40]
	;; [unrolled: 1-line block ×3, first 2 shown]
	s_delay_alu instid0(VALU_DEP_2) | instskip(NEXT) | instid1(VALU_DEP_2)
	v_add_f64_e64 v[11:12], v[37:38], -v[41:42]
	v_add_f64_e64 v[33:34], v[33:34], -v[43:44]
	s_delay_alu instid0(VALU_DEP_1) | instskip(NEXT) | instid1(VALU_DEP_1)
	v_add_f64_e32 v[27:28], v[27:28], v[33:34]
	v_add_f64_e32 v[11:12], v[11:12], v[27:28]
	v_mul_f64_e32 v[27:28], s[22:23], v[9:10]
	s_delay_alu instid0(VALU_DEP_2) | instskip(NEXT) | instid1(VALU_DEP_2)
	v_add_f64_e32 v[11:12], v[45:46], v[11:12]
	v_rndne_f64_e32 v[27:28], v[27:28]
	s_delay_alu instid0(VALU_DEP_2) | instskip(NEXT) | instid1(VALU_DEP_2)
	v_mul_f64_e32 v[11:12], v[31:32], v[11:12]
	v_cvt_i32_f64_e32 v4, v[27:28]
	s_delay_alu instid0(VALU_DEP_2) | instskip(SKIP_3) | instid1(VALU_DEP_2)
	v_add_f64_e32 v[11:12], v[15:16], v[11:12]
	v_fma_f64 v[15:16], v[27:28], s[28:29], -v[9:10]
	v_mul_lo_u32 v9, v6, s60
	v_and_b32_e32 v6, 0x7fffffff, v14
	v_ashrrev_i32_e32 v10, 31, v9
	s_delay_alu instid0(VALU_DEP_1) | instskip(SKIP_2) | instid1(VALU_DEP_2)
	v_lshlrev_b64_e32 v[9:10], 3, v[9:10]
	v_add_f64_e32 v[31:32], v[17:18], v[11:12]
	v_fma_f64 v[15:16], v[27:28], s[30:31], v[15:16]
	v_add_f64_e32 v[33:34], v[29:30], v[31:32]
	v_add_f64_e64 v[17:18], v[31:32], -v[17:18]
	s_delay_alu instid0(VALU_DEP_3) | instskip(SKIP_1) | instid1(VALU_DEP_4)
	v_fma_f64 v[35:36], v[15:16], s[36:37], s[34:35]
	v_add_f64_e64 v[39:40], v[29:30], -v[31:32]
	v_add_f64_e64 v[37:38], v[33:34], -v[29:30]
	s_delay_alu instid0(VALU_DEP_4) | instskip(NEXT) | instid1(VALU_DEP_4)
	v_add_f64_e64 v[11:12], v[11:12], -v[17:18]
	v_fma_f64 v[17:18], v[15:16], v[35:36], s[38:39]
	s_delay_alu instid0(VALU_DEP_4) | instskip(NEXT) | instid1(VALU_DEP_4)
	v_add_f64_e64 v[29:30], v[29:30], -v[39:40]
	v_add_f64_e64 v[35:36], v[31:32], -v[37:38]
	s_delay_alu instid0(VALU_DEP_4) | instskip(NEXT) | instid1(VALU_DEP_4)
	v_add_f64_e32 v[37:38], v[23:24], v[11:12]
	v_fma_f64 v[17:18], v[15:16], v[17:18], s[40:41]
	s_delay_alu instid0(VALU_DEP_4) | instskip(NEXT) | instid1(VALU_DEP_3)
	v_add_f64_e64 v[29:30], v[29:30], -v[31:32]
	v_add_f64_e32 v[35:36], v[37:38], v[35:36]
	s_delay_alu instid0(VALU_DEP_3) | instskip(NEXT) | instid1(VALU_DEP_3)
	v_fma_f64 v[17:18], v[15:16], v[17:18], s[42:43]
	v_add_f64_e32 v[23:24], v[23:24], v[29:30]
	s_delay_alu instid0(VALU_DEP_3) | instskip(NEXT) | instid1(VALU_DEP_3)
	v_add_f64_e32 v[37:38], v[33:34], v[35:36]
	v_fma_f64 v[17:18], v[15:16], v[17:18], s[44:45]
	s_delay_alu instid0(VALU_DEP_3) | instskip(NEXT) | instid1(VALU_DEP_3)
	v_add_f64_e64 v[11:12], v[23:24], -v[11:12]
	v_rcp_f64_e32 v[41:42], v[37:38]
	s_delay_alu instid0(VALU_DEP_2) | instskip(NEXT) | instid1(VALU_DEP_1)
	v_fma_f64 v[17:18], v[15:16], v[17:18], s[46:47]
	v_fma_f64 v[17:18], v[15:16], v[17:18], s[48:49]
	s_delay_alu instid0(TRANS32_DEP_1) | instskip(NEXT) | instid1(VALU_DEP_2)
	v_fma_f64 v[31:32], -v[37:38], v[41:42], 1.0
	v_fma_f64 v[17:18], v[15:16], v[17:18], s[50:51]
	s_delay_alu instid0(VALU_DEP_2) | instskip(SKIP_1) | instid1(VALU_DEP_3)
	v_fma_f64 v[29:30], v[31:32], v[41:42], v[41:42]
	v_add_f64_e32 v[31:32], v[39:40], v[11:12]
	v_fma_f64 v[17:18], v[15:16], v[17:18], s[52:53]
	s_delay_alu instid0(VALU_DEP_3) | instskip(NEXT) | instid1(VALU_DEP_2)
	v_fma_f64 v[23:24], -v[37:38], v[29:30], 1.0
	v_fma_f64 v[17:18], v[15:16], v[17:18], 1.0
	s_delay_alu instid0(VALU_DEP_2) | instskip(NEXT) | instid1(VALU_DEP_2)
	v_fma_f64 v[23:24], v[23:24], v[29:30], v[29:30]
	v_fma_f64 v[15:16], v[15:16], v[17:18], 1.0
	s_delay_alu instid0(VALU_DEP_2) | instskip(SKIP_1) | instid1(VALU_DEP_3)
	v_mul_f64_e32 v[29:30], v[31:32], v[23:24]
	v_add_f64_e64 v[17:18], v[37:38], -v[33:34]
	v_ldexp_f64 v[15:16], v[15:16], v4
	s_delay_alu instid0(VALU_DEP_3) | instskip(NEXT) | instid1(VALU_DEP_3)
	v_mul_f64_e32 v[27:28], v[37:38], v[29:30]
	v_add_f64_e64 v[17:18], v[35:36], -v[17:18]
	s_delay_alu instid0(VALU_DEP_3) | instskip(NEXT) | instid1(VALU_DEP_3)
	v_add_f64_e32 v[15:16], 1.0, v[15:16]
	v_fma_f64 v[33:34], v[29:30], v[37:38], -v[27:28]
	s_delay_alu instid0(VALU_DEP_1) | instskip(NEXT) | instid1(VALU_DEP_3)
	v_fma_f64 v[17:18], v[29:30], v[17:18], v[33:34]
	v_div_scale_f64 v[33:34], null, v[15:16], v[15:16], 1.0
	s_delay_alu instid0(VALU_DEP_2) | instskip(NEXT) | instid1(VALU_DEP_2)
	v_add_f64_e32 v[35:36], v[27:28], v[17:18]
	v_rcp_f64_e32 v[37:38], v[33:34]
	s_delay_alu instid0(VALU_DEP_1) | instskip(SKIP_1) | instid1(TRANS32_DEP_1)
	v_add_f64_e64 v[41:42], v[31:32], -v[35:36]
	v_add_f64_e64 v[27:28], v[35:36], -v[27:28]
	v_fma_f64 v[43:44], -v[33:34], v[37:38], 1.0
	s_delay_alu instid0(VALU_DEP_3) | instskip(SKIP_1) | instid1(VALU_DEP_4)
	v_add_f64_e64 v[45:46], v[31:32], -v[41:42]
	v_add_f64_e64 v[31:32], v[31:32], -v[39:40]
	;; [unrolled: 1-line block ×3, first 2 shown]
	s_delay_alu instid0(VALU_DEP_4) | instskip(NEXT) | instid1(VALU_DEP_4)
	v_fma_f64 v[37:38], v[37:38], v[43:44], v[37:38]
	v_add_f64_e64 v[27:28], v[45:46], -v[35:36]
	s_delay_alu instid0(VALU_DEP_4) | instskip(NEXT) | instid1(VALU_DEP_3)
	v_add_f64_e64 v[11:12], v[11:12], -v[31:32]
	v_fma_f64 v[35:36], -v[33:34], v[37:38], 1.0
	s_delay_alu instid0(VALU_DEP_3) | instskip(SKIP_1) | instid1(VALU_DEP_3)
	v_add_f64_e64 v[17:18], v[27:28], -v[17:18]
	v_div_scale_f64 v[27:28], vcc_lo, 1.0, v[15:16], 1.0
	v_fma_f64 v[31:32], v[37:38], v[35:36], v[37:38]
	s_delay_alu instid0(VALU_DEP_3) | instskip(NEXT) | instid1(VALU_DEP_2)
	v_add_f64_e32 v[11:12], v[11:12], v[17:18]
	v_mul_f64_e32 v[17:18], v[27:28], v[31:32]
	s_delay_alu instid0(VALU_DEP_2) | instskip(NEXT) | instid1(VALU_DEP_2)
	v_add_f64_e32 v[11:12], v[41:42], v[11:12]
	v_fma_f64 v[27:28], -v[33:34], v[17:18], v[27:28]
	s_delay_alu instid0(VALU_DEP_2) | instskip(SKIP_1) | instid1(VALU_DEP_2)
	v_mul_f64_e32 v[11:12], v[23:24], v[11:12]
	s_wait_alu 0xfffd
	v_div_fmas_f64 v[17:18], v[27:28], v[31:32], v[17:18]
	v_cmp_nlt_f64_e64 vcc_lo, 0x40331000, |v[13:14]|
	s_delay_alu instid0(VALU_DEP_3) | instskip(NEXT) | instid1(VALU_DEP_3)
	v_add_f64_e32 v[11:12], v[29:30], v[11:12]
	v_div_fixup_f64 v[15:16], v[17:18], v[15:16], 1.0
	s_wait_alu 0xfffd
	s_delay_alu instid0(VALU_DEP_2) | instskip(NEXT) | instid1(VALU_DEP_3)
	v_cndmask_b32_e32 v4, 0x3ff00000, v12, vcc_lo
	v_cndmask_b32_e32 v12, 0, v11, vcc_lo
	v_cmp_gt_f64_e64 vcc_lo, 0x3e400000, |v[13:14]|
	s_delay_alu instid0(VALU_DEP_4) | instskip(SKIP_3) | instid1(VALU_DEP_4)
	v_cndmask_b32_e64 v18, 0, v16, s0
	v_mul_lo_u32 v11, v2, s60
	v_mul_lo_u32 v16, v8, s60
	v_ashrrev_i32_e32 v8, 31, v7
	v_cndmask_b32_e64 v24, 0x3ff00000, v18, s1
	s_wait_alu 0xfffd
	v_cndmask_b32_e32 v2, v4, v6, vcc_lo
	v_cndmask_b32_e32 v17, v12, v13, vcc_lo
	s_and_b32 vcc_lo, s1, s0
	v_ashrrev_i32_e32 v4, 31, v3
	s_wait_alu 0xfffe
	v_cndmask_b32_e32 v23, 0, v15, vcc_lo
	v_bfi_b32 v18, 0x7fffffff, v2, v14
	v_ashrrev_i32_e32 v6, 31, v5
	v_ashrrev_i32_e32 v12, 31, v11
	v_lshlrev_b64_e32 v[27:28], 3, v[3:4]
	v_cmp_le_i32_e32 vcc_lo, s5, v0
	v_mul_f64_e32 v[29:30], v[23:24], v[17:18]
	v_lshlrev_b64_e32 v[31:32], 3, v[5:6]
	v_ashrrev_i32_e32 v17, 31, v16
	v_lshlrev_b64_e32 v[11:12], 3, v[11:12]
	v_add_co_u32 v27, s0, s16, v27
	s_wait_alu 0xf1ff
	v_add_co_ci_u32_e64 v28, null, s17, v28, s0
	v_add_co_u32 v31, s0, s18, v31
	v_lshlrev_b64_e32 v[6:7], 3, v[7:8]
	s_wait_alu 0xf1ff
	v_add_co_ci_u32_e64 v32, null, s19, v32, s0
	v_lshlrev_b64_e32 v[15:16], 3, v[16:17]
	v_add_co_u32 v8, s0, s20, v9
	s_wait_alu 0xf1ff
	v_add_co_ci_u32_e64 v9, null, s21, v10, s0
	v_add_co_u32 v10, s0, s20, v11
	v_add_nc_u32_e32 v3, s69, v3
	v_add_nc_u32_e32 v5, s70, v5
	s_wait_alu 0xf1ff
	v_add_co_ci_u32_e64 v11, null, s21, v12, s0
	v_add_co_u32 v6, s0, s20, v6
	s_wait_alu 0xf1ff
	v_add_co_ci_u32_e64 v7, null, s21, v7, s0
	v_add_co_u32 v15, s0, s20, v15
	s_or_b32 s61, vcc_lo, s61
	v_add_co_ci_u32_e64 v16, null, s21, v16, s0
	global_store_b64 v[27:28], v[29:30], off
	global_store_b64 v[31:32], v[13:14], off
	s_clause 0x3
	global_store_b64 v[8:9], v[21:22], off
	global_store_b64 v[10:11], v[25:26], off
	;; [unrolled: 1-line block ×4, first 2 shown]
	s_wait_alu 0xfffe
	s_and_not1_b32 exec_lo, exec_lo, s61
	s_cbranch_execz .LBB0_6
.LBB0_4:                                ; =>This Inner Loop Header: Depth=1
	v_sub_nc_u32_e32 v2, 0, v0
	s_delay_alu instid0(VALU_DEP_1) | instskip(NEXT) | instid1(VALU_DEP_1)
	v_max_i32_e32 v2, v0, v2
	v_mul_hi_u32 v4, v2, s71
	s_delay_alu instid0(VALU_DEP_1) | instskip(NEXT) | instid1(VALU_DEP_1)
	v_mul_lo_u32 v6, v4, s64
	v_sub_nc_u32_e32 v2, v2, v6
	v_add_nc_u32_e32 v6, 1, v4
	s_delay_alu instid0(VALU_DEP_2) | instskip(SKIP_2) | instid1(VALU_DEP_3)
	v_subrev_nc_u32_e32 v7, s64, v2
	v_cmp_le_u32_e32 vcc_lo, s64, v2
	s_wait_alu 0xfffd
	v_cndmask_b32_e32 v6, v4, v6, vcc_lo
	s_delay_alu instid0(VALU_DEP_3) | instskip(SKIP_1) | instid1(VALU_DEP_3)
	v_cndmask_b32_e32 v2, v2, v7, vcc_lo
	v_ashrrev_i32_e32 v4, 31, v0
	v_add_nc_u32_e32 v7, 1, v6
	s_delay_alu instid0(VALU_DEP_3) | instskip(NEXT) | instid1(VALU_DEP_3)
	v_cmp_le_u32_e32 vcc_lo, s64, v2
	v_xor_b32_e32 v4, s66, v4
	s_wait_alu 0xfffd
	s_delay_alu instid0(VALU_DEP_3) | instskip(NEXT) | instid1(VALU_DEP_2)
	v_cndmask_b32_e32 v2, v6, v7, vcc_lo
	v_mul_i32_i24_e32 v8, 3, v4
	s_delay_alu instid0(VALU_DEP_2) | instskip(SKIP_1) | instid1(VALU_DEP_2)
	v_xor_b32_e32 v15, v2, v4
	v_ashrrev_i32_e32 v2, 31, v1
	v_sub_nc_u32_e32 v16, v15, v4
	v_lshl_add_u32 v9, v15, 1, v15
	s_delay_alu instid0(VALU_DEP_3) | instskip(NEXT) | instid1(VALU_DEP_3)
	v_lshlrev_b64_e32 v[10:11], 3, v[1:2]
	v_mad_co_u64_u32 v[6:7], null, s62, v16, v[0:1]
	s_delay_alu instid0(VALU_DEP_3) | instskip(NEXT) | instid1(VALU_DEP_3)
	v_sub_nc_u32_e32 v7, v9, v8
	v_add_co_u32 v27, vcc_lo, s14, v10
	s_wait_alu 0xfffd
	s_delay_alu instid0(VALU_DEP_4) | instskip(NEXT) | instid1(VALU_DEP_3)
	v_add_co_ci_u32_e64 v28, null, s15, v11, vcc_lo
	v_mul_lo_u32 v2, s4, v7
	v_add_nc_u32_e32 v8, 2, v7
	v_add_nc_u32_e32 v9, 3, v7
	v_mul_lo_u32 v12, v6, s3
	v_mul_lo_u32 v17, v6, s33
	s_delay_alu instid0(VALU_DEP_4) | instskip(SKIP_4) | instid1(VALU_DEP_4)
	v_mad_co_u64_u32 v[7:8], null, s4, v8, v[0:1]
	v_add3_u32 v2, v2, s4, v0
	v_mad_co_u64_u32 v[8:9], null, s4, v9, v[0:1]
	v_ashrrev_i32_e32 v13, 31, v12
	v_ashrrev_i32_e32 v18, 31, v17
	v_mul_lo_u32 v9, v2, s3
	v_mul_lo_u32 v11, v7, s3
	;; [unrolled: 1-line block ×5, first 2 shown]
	v_lshlrev_b64_e32 v[13:14], 3, v[12:13]
	v_mul_lo_u32 v25, v8, s33
	v_lshlrev_b64_e32 v[17:18], 3, v[17:18]
	v_ashrrev_i32_e32 v10, 31, v9
	v_ashrrev_i32_e32 v12, 31, v11
	;; [unrolled: 1-line block ×3, first 2 shown]
	v_add_co_u32 v13, vcc_lo, s8, v13
	v_ashrrev_i32_e32 v20, 31, v19
	v_lshlrev_b64_e32 v[9:10], 3, v[9:10]
	v_lshlrev_b64_e32 v[11:12], 3, v[11:12]
	v_ashrrev_i32_e32 v24, 31, v23
	s_wait_alu 0xfffd
	v_add_co_ci_u32_e64 v14, null, s9, v14, vcc_lo
	v_add_co_u32 v17, vcc_lo, s10, v17
	v_lshlrev_b64_e32 v[19:20], 3, v[19:20]
	v_ashrrev_i32_e32 v26, 31, v25
	s_wait_alu 0xfffd
	v_add_co_ci_u32_e64 v18, null, s11, v18, vcc_lo
	v_lshlrev_b64_e32 v[21:22], 3, v[21:22]
	v_add_co_u32 v9, vcc_lo, s8, v9
	v_lshlrev_b64_e32 v[23:24], 3, v[23:24]
	s_wait_alu 0xfffd
	v_add_co_ci_u32_e64 v10, null, s9, v10, vcc_lo
	v_add_co_u32 v11, vcc_lo, s8, v11
	v_lshlrev_b64_e32 v[25:26], 3, v[25:26]
	s_wait_alu 0xfffd
	v_add_co_ci_u32_e64 v12, null, s9, v12, vcc_lo
	v_add_co_u32 v31, vcc_lo, s8, v19
	s_wait_alu 0xfffd
	v_add_co_ci_u32_e64 v32, null, s9, v20, vcc_lo
	v_add_co_u32 v33, vcc_lo, s10, v21
	;; [unrolled: 3-line block ×4, first 2 shown]
	s_wait_alu 0xfffd
	v_add_co_ci_u32_e64 v38, null, s11, v26, vcc_lo
	s_clause 0x3
	global_load_b64 v[19:20], v[13:14], off
	global_load_b64 v[21:22], v[9:10], off
	;; [unrolled: 1-line block ×4, first 2 shown]
	s_clause 0x3
	global_load_b64 v[23:24], v[17:18], off
	global_load_b64 v[25:26], v[33:34], off
	;; [unrolled: 1-line block ×5, first 2 shown]
	s_and_not1_b32 vcc_lo, exec_lo, s63
	s_wait_alu 0xfffe
	s_cbranch_vccz .LBB0_2
; %bb.5:                                ;   in Loop: Header=BB0_4 Depth=1
	v_mov_b32_e32 v27, 0
	v_mov_b32_e32 v15, 0
	;; [unrolled: 1-line block ×3, first 2 shown]
	v_dual_mov_b32 v35, 0 :: v_dual_mov_b32 v28, 0
	v_dual_mov_b32 v39, 0 :: v_dual_mov_b32 v16, 0
	;; [unrolled: 1-line block ×5, first 2 shown]
	v_mov_b32_e32 v32, 0
	v_mov_b32_e32 v42, 0
	;; [unrolled: 1-line block ×3, first 2 shown]
	s_branch .LBB0_3
.LBB0_6:
	s_endpgm
	.section	.rodata,"a",@progbits
	.p2align	6, 0x0
	.amdhsa_kernel _ZN2at6native12_GLOBAL__N_16kernel17lstm_cell_forwardIddiLi1EEEvNS_4cuda6detail10TensorInfoIT_T1_EES9_S9_S9_S9_S9_S9_S9_S8_S8_
		.amdhsa_group_segment_fixed_size 0
		.amdhsa_private_segment_fixed_size 0
		.amdhsa_kernarg_size 1992
		.amdhsa_user_sgpr_count 2
		.amdhsa_user_sgpr_dispatch_ptr 0
		.amdhsa_user_sgpr_queue_ptr 0
		.amdhsa_user_sgpr_kernarg_segment_ptr 1
		.amdhsa_user_sgpr_dispatch_id 0
		.amdhsa_user_sgpr_private_segment_size 0
		.amdhsa_wavefront_size32 1
		.amdhsa_uses_dynamic_stack 0
		.amdhsa_enable_private_segment 0
		.amdhsa_system_sgpr_workgroup_id_x 1
		.amdhsa_system_sgpr_workgroup_id_y 0
		.amdhsa_system_sgpr_workgroup_id_z 0
		.amdhsa_system_sgpr_workgroup_info 0
		.amdhsa_system_vgpr_workitem_id 0
		.amdhsa_next_free_vgpr 61
		.amdhsa_next_free_sgpr 72
		.amdhsa_reserve_vcc 1
		.amdhsa_float_round_mode_32 0
		.amdhsa_float_round_mode_16_64 0
		.amdhsa_float_denorm_mode_32 3
		.amdhsa_float_denorm_mode_16_64 3
		.amdhsa_fp16_overflow 0
		.amdhsa_workgroup_processor_mode 1
		.amdhsa_memory_ordered 1
		.amdhsa_forward_progress 1
		.amdhsa_inst_pref_size 43
		.amdhsa_round_robin_scheduling 0
		.amdhsa_exception_fp_ieee_invalid_op 0
		.amdhsa_exception_fp_denorm_src 0
		.amdhsa_exception_fp_ieee_div_zero 0
		.amdhsa_exception_fp_ieee_overflow 0
		.amdhsa_exception_fp_ieee_underflow 0
		.amdhsa_exception_fp_ieee_inexact 0
		.amdhsa_exception_int_div_zero 0
	.end_amdhsa_kernel
	.section	.text._ZN2at6native12_GLOBAL__N_16kernel17lstm_cell_forwardIddiLi1EEEvNS_4cuda6detail10TensorInfoIT_T1_EES9_S9_S9_S9_S9_S9_S9_S8_S8_,"axG",@progbits,_ZN2at6native12_GLOBAL__N_16kernel17lstm_cell_forwardIddiLi1EEEvNS_4cuda6detail10TensorInfoIT_T1_EES9_S9_S9_S9_S9_S9_S9_S8_S8_,comdat
.Lfunc_end0:
	.size	_ZN2at6native12_GLOBAL__N_16kernel17lstm_cell_forwardIddiLi1EEEvNS_4cuda6detail10TensorInfoIT_T1_EES9_S9_S9_S9_S9_S9_S9_S8_S8_, .Lfunc_end0-_ZN2at6native12_GLOBAL__N_16kernel17lstm_cell_forwardIddiLi1EEEvNS_4cuda6detail10TensorInfoIT_T1_EES9_S9_S9_S9_S9_S9_S9_S8_S8_
                                        ; -- End function
	.set _ZN2at6native12_GLOBAL__N_16kernel17lstm_cell_forwardIddiLi1EEEvNS_4cuda6detail10TensorInfoIT_T1_EES9_S9_S9_S9_S9_S9_S9_S8_S8_.num_vgpr, 61
	.set _ZN2at6native12_GLOBAL__N_16kernel17lstm_cell_forwardIddiLi1EEEvNS_4cuda6detail10TensorInfoIT_T1_EES9_S9_S9_S9_S9_S9_S9_S8_S8_.num_agpr, 0
	.set _ZN2at6native12_GLOBAL__N_16kernel17lstm_cell_forwardIddiLi1EEEvNS_4cuda6detail10TensorInfoIT_T1_EES9_S9_S9_S9_S9_S9_S9_S8_S8_.numbered_sgpr, 72
	.set _ZN2at6native12_GLOBAL__N_16kernel17lstm_cell_forwardIddiLi1EEEvNS_4cuda6detail10TensorInfoIT_T1_EES9_S9_S9_S9_S9_S9_S9_S8_S8_.num_named_barrier, 0
	.set _ZN2at6native12_GLOBAL__N_16kernel17lstm_cell_forwardIddiLi1EEEvNS_4cuda6detail10TensorInfoIT_T1_EES9_S9_S9_S9_S9_S9_S9_S8_S8_.private_seg_size, 0
	.set _ZN2at6native12_GLOBAL__N_16kernel17lstm_cell_forwardIddiLi1EEEvNS_4cuda6detail10TensorInfoIT_T1_EES9_S9_S9_S9_S9_S9_S9_S8_S8_.uses_vcc, 1
	.set _ZN2at6native12_GLOBAL__N_16kernel17lstm_cell_forwardIddiLi1EEEvNS_4cuda6detail10TensorInfoIT_T1_EES9_S9_S9_S9_S9_S9_S9_S8_S8_.uses_flat_scratch, 0
	.set _ZN2at6native12_GLOBAL__N_16kernel17lstm_cell_forwardIddiLi1EEEvNS_4cuda6detail10TensorInfoIT_T1_EES9_S9_S9_S9_S9_S9_S9_S8_S8_.has_dyn_sized_stack, 0
	.set _ZN2at6native12_GLOBAL__N_16kernel17lstm_cell_forwardIddiLi1EEEvNS_4cuda6detail10TensorInfoIT_T1_EES9_S9_S9_S9_S9_S9_S9_S8_S8_.has_recursion, 0
	.set _ZN2at6native12_GLOBAL__N_16kernel17lstm_cell_forwardIddiLi1EEEvNS_4cuda6detail10TensorInfoIT_T1_EES9_S9_S9_S9_S9_S9_S9_S8_S8_.has_indirect_call, 0
	.section	.AMDGPU.csdata,"",@progbits
; Kernel info:
; codeLenInByte = 5468
; TotalNumSgprs: 74
; NumVgprs: 61
; ScratchSize: 0
; MemoryBound: 0
; FloatMode: 240
; IeeeMode: 1
; LDSByteSize: 0 bytes/workgroup (compile time only)
; SGPRBlocks: 0
; VGPRBlocks: 7
; NumSGPRsForWavesPerEU: 74
; NumVGPRsForWavesPerEU: 61
; Occupancy: 16
; WaveLimiterHint : 1
; COMPUTE_PGM_RSRC2:SCRATCH_EN: 0
; COMPUTE_PGM_RSRC2:USER_SGPR: 2
; COMPUTE_PGM_RSRC2:TRAP_HANDLER: 0
; COMPUTE_PGM_RSRC2:TGID_X_EN: 1
; COMPUTE_PGM_RSRC2:TGID_Y_EN: 0
; COMPUTE_PGM_RSRC2:TGID_Z_EN: 0
; COMPUTE_PGM_RSRC2:TIDIG_COMP_CNT: 0
	.section	.text._ZN2at6native12_GLOBAL__N_16kernel17lstm_cell_forwardIddiLi2EEEvNS_4cuda6detail10TensorInfoIT_T1_EES9_S9_S9_S9_S9_S9_S9_S8_S8_,"axG",@progbits,_ZN2at6native12_GLOBAL__N_16kernel17lstm_cell_forwardIddiLi2EEEvNS_4cuda6detail10TensorInfoIT_T1_EES9_S9_S9_S9_S9_S9_S9_S8_S8_,comdat
	.globl	_ZN2at6native12_GLOBAL__N_16kernel17lstm_cell_forwardIddiLi2EEEvNS_4cuda6detail10TensorInfoIT_T1_EES9_S9_S9_S9_S9_S9_S9_S8_S8_ ; -- Begin function _ZN2at6native12_GLOBAL__N_16kernel17lstm_cell_forwardIddiLi2EEEvNS_4cuda6detail10TensorInfoIT_T1_EES9_S9_S9_S9_S9_S9_S9_S8_S8_
	.p2align	8
	.type	_ZN2at6native12_GLOBAL__N_16kernel17lstm_cell_forwardIddiLi2EEEvNS_4cuda6detail10TensorInfoIT_T1_EES9_S9_S9_S9_S9_S9_S9_S8_S8_,@function
_ZN2at6native12_GLOBAL__N_16kernel17lstm_cell_forwardIddiLi2EEEvNS_4cuda6detail10TensorInfoIT_T1_EES9_S9_S9_S9_S9_S9_S9_S8_S8_: ; @_ZN2at6native12_GLOBAL__N_16kernel17lstm_cell_forwardIddiLi2EEEvNS_4cuda6detail10TensorInfoIT_T1_EES9_S9_S9_S9_S9_S9_S9_S8_S8_
; %bb.0:
	s_clause 0x1
	s_load_b32 s2, s[0:1], 0x6d4
	s_load_b64 s[6:7], s[0:1], 0x6c0
	s_mov_b32 s3, exec_lo
	s_wait_kmcnt 0x0
	s_and_b32 s2, s2, 0xffff
	s_delay_alu instid0(SALU_CYCLE_1) | instskip(NEXT) | instid1(VALU_DEP_1)
	v_mad_co_u64_u32 v[0:1], null, ttmp9, s2, v[0:1]
	v_cmpx_gt_i32_e64 s7, v0
	s_cbranch_execz .LBB1_6
; %bb.1:
	s_clause 0x2
	s_load_b64 s[8:9], s[0:1], 0x1b0
	s_load_b32 s33, s[0:1], 0xc
	s_load_b32 s70, s[0:1], 0xe4
	s_add_nc_u64 s[4:5], s[0:1], 0x6c8
	s_clause 0x9
	s_load_b64 s[10:11], s[0:1], 0x0
	s_load_b64 s[12:13], s[0:1], 0x6c
	;; [unrolled: 1-line block ×4, first 2 shown]
	s_load_b32 s71, s[0:1], 0x21c
	s_load_b64 s[18:19], s[0:1], 0x288
	s_load_b32 s72, s[0:1], 0x2f4
	s_load_b64 s[20:21], s[0:1], 0x360
	s_load_b32 s3, s[0:1], 0x36c
	s_load_b32 s73, s[0:1], 0x5f4
	;; [unrolled: 1-line block ×3, first 2 shown]
	s_clause 0x3
	s_load_b64 s[22:23], s[0:1], 0x3cc
	s_load_b64 s[24:25], s[0:1], 0x438
	s_load_b32 s38, s[0:1], 0x444
	s_load_b64 s[26:27], s[0:1], 0x4a4
	s_mov_b32 s42, 0x3b39803f
	s_mov_b32 s44, 0xfca7ab0c
	;; [unrolled: 1-line block ×13, first 2 shown]
	s_wait_kmcnt 0x0
	s_cmp_lg_u64 s[8:9], 0
	s_mov_b32 s78, 0
	s_cselect_b32 s74, -1, 0
	s_abs_i32 s75, s6
	s_abs_i32 s76, s33
	s_cvt_f32_u32 s4, s75
	s_cvt_f32_u32 s5, s76
	s_abs_i32 s77, s70
	s_abs_i32 s82, s73
	v_rcp_iflag_f32_e32 v1, s4
	v_rcp_iflag_f32_e32 v2, s5
	s_cvt_f32_u32 s39, s77
	s_clause 0x4
	s_load_b64 s[28:29], s[0:1], 0x510
	s_load_b32 s4, s[0:1], 0x51c
	s_load_b64 s[30:31], s[0:1], 0x57c
	s_load_b64 s[34:35], s[0:1], 0x5e8
	;; [unrolled: 1-line block ×3, first 2 shown]
	s_cvt_f32_u32 s5, s82
	s_mul_i32 s79, s79, s2
	v_rcp_iflag_f32_e32 v3, s39
	s_sub_co_i32 s2, 0, s75
	s_sub_co_i32 s40, 0, s76
	s_abs_i32 s84, s3
	v_readfirstlane_b32 s0, v1
	v_readfirstlane_b32 s1, v2
	s_wait_alu 0xfffe
	v_rcp_iflag_f32_e32 v1, s5
	s_abs_i32 s88, s38
	s_ashr_i32 s94, s38, 31
	s_mul_f32 s0, s0, 0x4f7ffffe
	s_mul_f32 s1, s1, 0x4f7ffffe
	v_readfirstlane_b32 s39, v3
	s_sub_co_i32 s101, 0, s38
	s_wait_alu 0xfffe
	s_cvt_u32_f32 s0, s0
	s_cvt_u32_f32 s1, s1
	s_wait_kmcnt 0x0
	s_abs_i32 s89, s4
	s_mul_f32 s5, s39, 0x4f7ffffe
	s_wait_alu 0xfffe
	s_mul_i32 s2, s2, s0
	s_mul_i32 s40, s40, s1
	s_wait_alu 0xfffe
	s_mul_hi_u32 s2, s0, s2
	s_cvt_u32_f32 s5, s5
	s_wait_alu 0xfffe
	s_add_co_i32 s83, s0, s2
	s_cvt_f32_u32 s2, s84
	s_mul_hi_u32 s0, s1, s40
	s_mov_b32 s40, 0xfefa39ef
	s_wait_alu 0xfffe
	s_add_co_i32 s85, s1, s0
	s_sub_co_i32 s0, 0, s77
	v_rcp_iflag_f32_e32 v2, s2
	v_readfirstlane_b32 s1, v1
	s_wait_alu 0xfffe
	s_mul_i32 s0, s0, s5
	s_ashr_i32 s80, s6, 31
	s_wait_alu 0xfffe
	s_mul_hi_u32 s0, s5, s0
	s_ashr_i32 s81, s33, 31
	s_wait_alu 0xfffe
	s_add_co_i32 s87, s5, s0
	s_mul_f32 s0, s1, 0x4f7ffffe
	s_cvt_f32_u32 s1, s88
	s_cvt_f32_u32 s5, s89
	v_readfirstlane_b32 s2, v2
	s_wait_alu 0xfffe
	s_cvt_u32_f32 s0, s0
	v_rcp_iflag_f32_e32 v1, s1
	v_rcp_iflag_f32_e32 v2, s5
	s_sub_co_i32 s1, 0, s82
	s_mul_f32 s2, s2, 0x4f7ffffe
	s_wait_alu 0xfffe
	s_mul_i32 s1, s1, s0
	s_sub_co_i32 s5, 0, s84
	s_wait_alu 0xfffe
	s_mul_hi_u32 s1, s0, s1
	s_cvt_u32_f32 s2, s2
	s_wait_alu 0xfffe
	s_add_co_i32 s91, s0, s1
	s_ashr_i32 s86, s70, 31
	v_readfirstlane_b32 s39, v1
	v_readfirstlane_b32 s0, v2
	s_mul_i32 s5, s5, s2
	s_ashr_i32 s90, s73, 31
	s_wait_alu 0xfffe
	s_mul_hi_u32 s1, s2, s5
	s_mul_f32 s5, s39, 0x4f7ffffe
	s_mul_f32 s0, s0, 0x4f7ffffe
	s_wait_alu 0xfffe
	s_add_co_i32 s93, s2, s1
	s_sub_co_i32 s2, 0, s88
	s_cvt_u32_f32 s1, s5
	s_cvt_u32_f32 s0, s0
	s_sub_co_i32 s5, 0, s89
	s_mov_b32 s38, 0x652b82fe
	s_wait_alu 0xfffe
	s_mul_i32 s2, s2, s1
	s_mul_i32 s5, s5, s0
	s_wait_alu 0xfffe
	s_mul_hi_u32 s2, s1, s2
	s_ashr_i32 s92, s3, 31
	s_wait_alu 0xfffe
	s_add_co_i32 s95, s1, s2
	s_mul_hi_u32 s1, s0, s5
	s_ashr_i32 s96, s4, 31
	s_wait_alu 0xfffe
	s_add_co_i32 s97, s0, s1
	s_mul_i32 s98, s6, 3
	s_sub_co_i32 s99, 0, s6
	s_sub_co_i32 s100, 0, s3
	;; [unrolled: 1-line block ×3, first 2 shown]
	s_mov_b32 s39, 0xbff71547
	s_mov_b32 s41, 0xbfe62e42
	;; [unrolled: 1-line block ×17, first 2 shown]
	s_branch .LBB1_4
.LBB1_2:                                ;   in Loop: Header=BB1_4 Depth=1
	v_sub_nc_u32_e32 v11, v8, v9
	v_mad_co_u64_u32 v[8:9], null, s99, v10, v[0:1]
	s_delay_alu instid0(VALU_DEP_2) | instskip(SKIP_2) | instid1(VALU_DEP_4)
	v_mul_lo_u32 v10, s6, v11
	v_add_nc_u32_e32 v22, 2, v11
	v_add_nc_u32_e32 v11, 3, v11
	v_mul_lo_u32 v9, v8, s71
	s_delay_alu instid0(VALU_DEP_3) | instskip(SKIP_1) | instid1(VALU_DEP_4)
	v_mad_co_u64_u32 v[22:23], null, s6, v22, v[0:1]
	v_add3_u32 v31, v10, s6, v0
	v_mad_co_u64_u32 v[23:24], null, s6, v11, v[0:1]
	v_mul_lo_u32 v24, v8, s72
	v_ashrrev_i32_e32 v10, 31, v9
	s_delay_alu instid0(VALU_DEP_4)
	v_mul_lo_u32 v28, v31, s71
	v_mul_lo_u32 v8, v22, s71
	;; [unrolled: 1-line block ×5, first 2 shown]
	v_lshlrev_b64_e32 v[10:11], 3, v[9:10]
	v_ashrrev_i32_e32 v25, 31, v24
	v_ashrrev_i32_e32 v29, 31, v28
	;; [unrolled: 1-line block ×4, first 2 shown]
	v_add_co_u32 v10, vcc_lo, s8, v10
	v_ashrrev_i32_e32 v31, 31, v30
	v_lshlrev_b64_e32 v[28:29], 3, v[28:29]
	v_lshlrev_b64_e32 v[8:9], 3, v[8:9]
	s_wait_alu 0xfffd
	v_add_co_ci_u32_e64 v11, null, s9, v11, vcc_lo
	v_lshlrev_b64_e32 v[30:31], 3, v[30:31]
	v_lshlrev_b64_e32 v[24:25], 3, v[24:25]
	v_add_co_u32 v28, vcc_lo, s8, v28
	s_wait_alu 0xfffd
	v_add_co_ci_u32_e64 v29, null, s9, v29, vcc_lo
	v_add_co_u32 v8, vcc_lo, s8, v8
	s_wait_alu 0xfffd
	v_add_co_ci_u32_e64 v9, null, s9, v9, vcc_lo
	v_add_co_u32 v49, vcc_lo, s8, v30
	v_mul_lo_u32 v30, v23, s72
	v_ashrrev_i32_e32 v23, 31, v22
	s_wait_alu 0xfffd
	v_add_co_ci_u32_e64 v50, null, s9, v31, vcc_lo
	v_lshlrev_b64_e32 v[32:33], 3, v[32:33]
	v_add_co_u32 v24, vcc_lo, s18, v24
	v_lshlrev_b64_e32 v[22:23], 3, v[22:23]
	v_ashrrev_i32_e32 v31, 31, v30
	s_wait_alu 0xfffd
	v_add_co_ci_u32_e64 v25, null, s19, v25, vcc_lo
	v_add_co_u32 v32, vcc_lo, s18, v32
	s_delay_alu instid0(VALU_DEP_3)
	v_lshlrev_b64_e32 v[30:31], 3, v[30:31]
	s_wait_alu 0xfffd
	v_add_co_ci_u32_e64 v33, null, s19, v33, vcc_lo
	v_add_co_u32 v51, vcc_lo, s18, v22
	s_wait_alu 0xfffd
	v_add_co_ci_u32_e64 v52, null, s19, v23, vcc_lo
	v_add_co_u32 v53, vcc_lo, s18, v30
	s_wait_alu 0xfffd
	v_add_co_ci_u32_e64 v54, null, s19, v31, vcc_lo
	s_clause 0x3
	global_load_b64 v[30:31], v[10:11], off
	global_load_b64 v[28:29], v[28:29], off
	;; [unrolled: 1-line block ×4, first 2 shown]
	s_clause 0x3
	global_load_b64 v[24:25], v[24:25], off
	global_load_b64 v[22:23], v[32:33], off
	;; [unrolled: 1-line block ×4, first 2 shown]
.LBB1_3:                                ;   in Loop: Header=BB1_4 Depth=1
	s_wait_loadcnt 0x2
	v_add_f64_e32 v[20:21], v[20:21], v[26:27]
	s_mov_b32 s4, s38
	s_mov_b32 s65, s41
	v_add_f64_e32 v[12:13], v[12:13], v[16:17]
	v_add_f64_e32 v[14:15], v[14:15], v[18:19]
	s_wait_loadcnt 0x1
	v_add_f64_e32 v[2:3], v[2:3], v[4:5]
	s_delay_alu instid0(VALU_DEP_4) | instskip(NEXT) | instid1(VALU_DEP_4)
	v_add_f64_e32 v[20:21], v[20:21], v[34:35]
	v_add_f64_e32 v[12:13], v[12:13], v[30:31]
	s_delay_alu instid0(VALU_DEP_4) | instskip(NEXT) | instid1(VALU_DEP_4)
	v_add_f64_e32 v[14:15], v[14:15], v[28:29]
	v_add_f64_e32 v[2:3], v[2:3], v[10:11]
	s_delay_alu instid0(VALU_DEP_4) | instskip(NEXT) | instid1(VALU_DEP_4)
	v_add_f64_e32 v[20:21], v[32:33], v[20:21]
	v_add_f64_e32 v[12:13], v[24:25], v[12:13]
	s_delay_alu instid0(VALU_DEP_4) | instskip(SKIP_1) | instid1(VALU_DEP_4)
	v_add_f64_e32 v[14:15], v[22:23], v[14:15]
	s_wait_loadcnt 0x0
	v_add_f64_e32 v[2:3], v[8:9], v[2:3]
	s_wait_alu 0xfffe
	s_delay_alu instid0(VALU_DEP_4) | instskip(NEXT) | instid1(VALU_DEP_4)
	v_mul_f64_e64 v[26:27], |v[20:21]|, s[4:5]
	v_mul_f64_e32 v[22:23], s[38:39], v[12:13]
	s_delay_alu instid0(VALU_DEP_4)
	v_mul_f64_e32 v[24:25], s[38:39], v[14:15]
	v_cmp_nlt_f64_e64 s1, 0x4090cc00, v[12:13]
	v_cmp_ngt_f64_e64 s2, 0xc0900000, v[14:15]
	v_rndne_f64_e32 v[26:27], v[26:27]
	v_rndne_f64_e32 v[22:23], v[22:23]
	;; [unrolled: 1-line block ×3, first 2 shown]
	s_delay_alu instid0(VALU_DEP_3) | instskip(SKIP_1) | instid1(VALU_DEP_3)
	v_fma_f64 v[32:33], v[26:27], s[64:65], |v[20:21]|
	v_mul_f64_e32 v[34:35], s[66:67], v[26:27]
	v_fma_f64 v[30:31], v[24:25], s[40:41], -v[14:15]
	s_delay_alu instid0(VALU_DEP_3) | instskip(NEXT) | instid1(VALU_DEP_2)
	v_add_f64_e32 v[49:50], 0, v[32:33]
	v_fma_f64 v[30:31], v[24:25], s[42:43], v[30:31]
	s_delay_alu instid0(VALU_DEP_2) | instskip(SKIP_1) | instid1(VALU_DEP_2)
	v_add_f64_e64 v[51:52], v[49:50], -v[34:35]
	v_add_f64_e64 v[32:33], v[32:33], -v[49:50]
	v_add_f64_e64 v[49:50], v[49:50], -v[51:52]
	s_delay_alu instid0(VALU_DEP_2) | instskip(NEXT) | instid1(VALU_DEP_2)
	v_add_f64_e32 v[32:33], 0, v[32:33]
	v_add_f64_e64 v[34:35], v[49:50], -v[34:35]
	s_delay_alu instid0(VALU_DEP_1) | instskip(SKIP_1) | instid1(VALU_DEP_2)
	v_add_f64_e32 v[32:33], v[32:33], v[34:35]
	v_mul_f64_e32 v[34:35], s[68:69], v[26:27]
	v_add_f64_e32 v[49:50], v[51:52], v[32:33]
	s_delay_alu instid0(VALU_DEP_1) | instskip(SKIP_1) | instid1(VALU_DEP_2)
	v_add_f64_e64 v[53:54], v[49:50], -v[34:35]
	v_add_f64_e64 v[51:52], v[51:52], -v[49:50]
	;; [unrolled: 1-line block ×3, first 2 shown]
	s_delay_alu instid0(VALU_DEP_2) | instskip(NEXT) | instid1(VALU_DEP_2)
	v_add_f64_e32 v[32:33], v[32:33], v[51:52]
	v_add_f64_e64 v[34:35], v[49:50], -v[34:35]
	s_delay_alu instid0(VALU_DEP_1) | instskip(NEXT) | instid1(VALU_DEP_1)
	v_add_f64_e32 v[32:33], v[32:33], v[34:35]
	v_add_f64_e32 v[34:35], v[53:54], v[32:33]
	s_delay_alu instid0(VALU_DEP_1) | instskip(SKIP_2) | instid1(VALU_DEP_3)
	v_fma_f64 v[49:50], v[34:35], s[46:47], s[44:45]
	v_add_f64_e64 v[51:52], v[53:54], -v[34:35]
	v_mul_f64_e32 v[53:54], v[34:35], v[34:35]
	v_fma_f64 v[49:50], v[34:35], v[49:50], s[48:49]
	s_delay_alu instid0(VALU_DEP_3) | instskip(NEXT) | instid1(VALU_DEP_3)
	v_add_f64_e32 v[32:33], v[32:33], v[51:52]
	v_fma_f64 v[51:52], v[34:35], v[34:35], -v[53:54]
	s_delay_alu instid0(VALU_DEP_3) | instskip(NEXT) | instid1(VALU_DEP_3)
	v_fma_f64 v[49:50], v[34:35], v[49:50], s[50:51]
	v_add_f64_e32 v[55:56], v[32:33], v[32:33]
	s_delay_alu instid0(VALU_DEP_2) | instskip(NEXT) | instid1(VALU_DEP_2)
	v_fma_f64 v[49:50], v[34:35], v[49:50], s[52:53]
	v_fma_f64 v[51:52], v[34:35], v[55:56], v[51:52]
	s_delay_alu instid0(VALU_DEP_2) | instskip(NEXT) | instid1(VALU_DEP_2)
	v_fma_f64 v[49:50], v[34:35], v[49:50], s[54:55]
	v_add_f64_e32 v[55:56], v[53:54], v[51:52]
	s_delay_alu instid0(VALU_DEP_2) | instskip(NEXT) | instid1(VALU_DEP_2)
	v_fma_f64 v[49:50], v[34:35], v[49:50], s[56:57]
	v_add_f64_e64 v[53:54], v[55:56], -v[53:54]
	s_delay_alu instid0(VALU_DEP_2) | instskip(NEXT) | instid1(VALU_DEP_2)
	v_fma_f64 v[49:50], v[34:35], v[49:50], s[58:59]
	v_add_f64_e64 v[51:52], v[51:52], -v[53:54]
	s_delay_alu instid0(VALU_DEP_2) | instskip(NEXT) | instid1(VALU_DEP_1)
	v_fma_f64 v[49:50], v[34:35], v[49:50], s[60:61]
	v_fma_f64 v[49:50], v[34:35], v[49:50], s[62:63]
	s_delay_alu instid0(VALU_DEP_1) | instskip(NEXT) | instid1(VALU_DEP_1)
	v_mul_f64_e32 v[57:58], v[55:56], v[49:50]
	v_fma_f64 v[53:54], v[55:56], v[49:50], -v[57:58]
	s_delay_alu instid0(VALU_DEP_1) | instskip(NEXT) | instid1(VALU_DEP_1)
	v_fma_f64 v[49:50], v[51:52], v[49:50], v[53:54]
	v_add_f64_e32 v[51:52], v[57:58], v[49:50]
	s_delay_alu instid0(VALU_DEP_1) | instskip(SKIP_1) | instid1(VALU_DEP_2)
	v_add_f64_e32 v[53:54], v[34:35], v[51:52]
	v_add_f64_e64 v[55:56], v[51:52], -v[57:58]
	v_add_f64_e64 v[34:35], v[53:54], -v[34:35]
	s_delay_alu instid0(VALU_DEP_2) | instskip(SKIP_1) | instid1(VALU_DEP_3)
	v_add_f64_e64 v[49:50], v[49:50], -v[55:56]
	v_cvt_i32_f64_e32 v55, v[26:27]
	v_add_f64_e64 v[34:35], v[51:52], -v[34:35]
	s_delay_alu instid0(VALU_DEP_3) | instskip(NEXT) | instid1(VALU_DEP_1)
	v_add_f64_e32 v[32:33], v[32:33], v[49:50]
	v_add_f64_e32 v[32:33], v[32:33], v[34:35]
	s_delay_alu instid0(VALU_DEP_1) | instskip(NEXT) | instid1(VALU_DEP_1)
	v_add_f64_e32 v[34:35], v[53:54], v[32:33]
	v_add_f64_e32 v[49:50], 1.0, v[34:35]
	v_add_f64_e64 v[51:52], v[34:35], -v[53:54]
	s_delay_alu instid0(VALU_DEP_2) | instskip(NEXT) | instid1(VALU_DEP_2)
	v_add_f64_e32 v[53:54], -1.0, v[49:50]
	v_add_f64_e64 v[32:33], v[32:33], -v[51:52]
	s_delay_alu instid0(VALU_DEP_2) | instskip(NEXT) | instid1(VALU_DEP_1)
	v_add_f64_e64 v[34:35], v[34:35], -v[53:54]
	v_add_f64_e32 v[32:33], v[32:33], v[34:35]
	s_delay_alu instid0(VALU_DEP_1) | instskip(NEXT) | instid1(VALU_DEP_1)
	v_add_f64_e32 v[26:27], v[49:50], v[32:33]
	v_ldexp_f64 v[34:35], v[26:27], v55
	v_add_f64_e64 v[26:27], v[26:27], -v[49:50]
	s_delay_alu instid0(VALU_DEP_2) | instskip(NEXT) | instid1(VALU_DEP_1)
	v_rcp_f64_e32 v[51:52], v[34:35]
	v_add_f64_e64 v[26:27], v[32:33], -v[26:27]
	s_delay_alu instid0(VALU_DEP_1) | instskip(NEXT) | instid1(TRANS32_DEP_1)
	v_ldexp_f64 v[26:27], v[26:27], v55
	v_fma_f64 v[53:54], -v[34:35], v[51:52], 1.0
	s_delay_alu instid0(VALU_DEP_1) | instskip(NEXT) | instid1(VALU_DEP_1)
	v_fma_f64 v[51:52], v[53:54], v[51:52], v[51:52]
	v_fma_f64 v[53:54], -v[34:35], v[51:52], 1.0
	s_delay_alu instid0(VALU_DEP_1) | instskip(NEXT) | instid1(VALU_DEP_1)
	v_fma_f64 v[49:50], v[53:54], v[51:52], v[51:52]
	v_mul_f64_e32 v[32:33], v[34:35], v[49:50]
	s_delay_alu instid0(VALU_DEP_1) | instskip(NEXT) | instid1(VALU_DEP_1)
	v_fma_f64 v[51:52], v[49:50], v[34:35], -v[32:33]
	v_fma_f64 v[51:52], v[49:50], v[26:27], v[51:52]
	s_delay_alu instid0(VALU_DEP_1) | instskip(NEXT) | instid1(VALU_DEP_1)
	v_add_f64_e32 v[53:54], v[32:33], v[51:52]
	v_add_f64_e64 v[55:56], -v[53:54], 1.0
	v_add_f64_e64 v[32:33], v[53:54], -v[32:33]
	s_delay_alu instid0(VALU_DEP_2) | instskip(NEXT) | instid1(VALU_DEP_2)
	v_add_f64_e64 v[57:58], -v[55:56], 1.0
	v_add_f64_e64 v[32:33], v[32:33], -v[51:52]
	s_delay_alu instid0(VALU_DEP_2) | instskip(NEXT) | instid1(VALU_DEP_1)
	v_add_f64_e64 v[51:52], v[57:58], -v[53:54]
	v_add_f64_e32 v[32:33], v[32:33], v[51:52]
	s_delay_alu instid0(VALU_DEP_1) | instskip(NEXT) | instid1(VALU_DEP_1)
	v_add_f64_e32 v[51:52], v[55:56], v[32:33]
	v_mul_f64_e32 v[53:54], v[49:50], v[51:52]
	v_add_f64_e64 v[55:56], v[55:56], -v[51:52]
	s_delay_alu instid0(VALU_DEP_2) | instskip(NEXT) | instid1(VALU_DEP_2)
	v_mul_f64_e32 v[57:58], v[34:35], v[53:54]
	v_add_f64_e32 v[32:33], v[32:33], v[55:56]
	v_add_f64_e32 v[28:29], v[49:50], v[53:54]
	s_delay_alu instid0(VALU_DEP_3) | instskip(NEXT) | instid1(VALU_DEP_1)
	v_fma_f64 v[59:60], v[53:54], v[34:35], -v[57:58]
	v_fma_f64 v[59:60], v[53:54], v[26:27], v[59:60]
	s_delay_alu instid0(VALU_DEP_1) | instskip(NEXT) | instid1(VALU_DEP_1)
	v_add_f64_e32 v[61:62], v[57:58], v[59:60]
	v_add_f64_e64 v[63:64], v[51:52], -v[61:62]
	v_add_f64_e64 v[55:56], v[61:62], -v[57:58]
	s_delay_alu instid0(VALU_DEP_2) | instskip(NEXT) | instid1(VALU_DEP_2)
	v_add_f64_e64 v[51:52], v[51:52], -v[63:64]
	v_add_f64_e64 v[16:17], v[55:56], -v[59:60]
	s_delay_alu instid0(VALU_DEP_2) | instskip(NEXT) | instid1(VALU_DEP_1)
	v_add_f64_e64 v[51:52], v[51:52], -v[61:62]
	v_add_f64_e32 v[18:19], v[32:33], v[51:52]
	s_delay_alu instid0(VALU_DEP_1) | instskip(SKIP_1) | instid1(VALU_DEP_2)
	v_add_f64_e32 v[16:17], v[16:17], v[18:19]
	v_add_f64_e64 v[18:19], v[28:29], -v[49:50]
	v_add_f64_e32 v[16:17], v[63:64], v[16:17]
	s_delay_alu instid0(VALU_DEP_2) | instskip(SKIP_1) | instid1(VALU_DEP_3)
	v_add_f64_e64 v[18:19], v[53:54], -v[18:19]
	v_fma_f64 v[53:54], v[30:31], s[46:47], s[44:45]
	v_mul_f64_e32 v[16:17], v[49:50], v[16:17]
	s_delay_alu instid0(VALU_DEP_1) | instskip(SKIP_1) | instid1(VALU_DEP_2)
	v_add_f64_e32 v[16:17], v[18:19], v[16:17]
	v_fma_f64 v[18:19], v[22:23], s[40:41], -v[12:13]
	v_add_f64_e32 v[32:33], v[28:29], v[16:17]
	s_delay_alu instid0(VALU_DEP_2) | instskip(NEXT) | instid1(VALU_DEP_2)
	v_fma_f64 v[18:19], v[22:23], s[42:43], v[18:19]
	v_add_f64_e32 v[49:50], v[34:35], v[32:33]
	v_add_f64_e64 v[28:29], v[32:33], -v[28:29]
	s_delay_alu instid0(VALU_DEP_3) | instskip(SKIP_1) | instid1(VALU_DEP_4)
	v_fma_f64 v[51:52], v[18:19], s[46:47], s[44:45]
	v_add_f64_e64 v[57:58], v[34:35], -v[32:33]
	v_add_f64_e64 v[55:56], v[49:50], -v[34:35]
	s_delay_alu instid0(VALU_DEP_4) | instskip(NEXT) | instid1(VALU_DEP_4)
	v_add_f64_e64 v[16:17], v[16:17], -v[28:29]
	v_fma_f64 v[28:29], v[18:19], v[51:52], s[48:49]
	v_fma_f64 v[51:52], v[30:31], v[53:54], s[48:49]
	v_add_f64_e64 v[34:35], v[34:35], -v[57:58]
	v_add_f64_e64 v[53:54], v[32:33], -v[55:56]
	v_add_f64_e32 v[55:56], v[26:27], v[16:17]
	v_fma_f64 v[28:29], v[18:19], v[28:29], s[50:51]
	v_fma_f64 v[51:52], v[30:31], v[51:52], s[50:51]
	v_add_f64_e64 v[32:33], v[34:35], -v[32:33]
	s_delay_alu instid0(VALU_DEP_4) | instskip(NEXT) | instid1(VALU_DEP_4)
	v_add_f64_e32 v[53:54], v[55:56], v[53:54]
	v_fma_f64 v[28:29], v[18:19], v[28:29], s[52:53]
	s_delay_alu instid0(VALU_DEP_4) | instskip(NEXT) | instid1(VALU_DEP_4)
	v_fma_f64 v[51:52], v[30:31], v[51:52], s[52:53]
	v_add_f64_e32 v[26:27], v[26:27], v[32:33]
	s_delay_alu instid0(VALU_DEP_4) | instskip(NEXT) | instid1(VALU_DEP_4)
	v_add_f64_e32 v[55:56], v[49:50], v[53:54]
	v_fma_f64 v[28:29], v[18:19], v[28:29], s[54:55]
	s_delay_alu instid0(VALU_DEP_4) | instskip(NEXT) | instid1(VALU_DEP_4)
	v_fma_f64 v[51:52], v[30:31], v[51:52], s[54:55]
	v_add_f64_e64 v[16:17], v[26:27], -v[16:17]
	s_delay_alu instid0(VALU_DEP_4) | instskip(NEXT) | instid1(VALU_DEP_3)
	v_rcp_f64_e32 v[59:60], v[55:56]
	v_fma_f64 v[28:29], v[18:19], v[28:29], s[56:57]
	s_delay_alu instid0(VALU_DEP_3) | instskip(NEXT) | instid1(VALU_DEP_2)
	v_fma_f64 v[51:52], v[30:31], v[51:52], s[56:57]
	v_fma_f64 v[28:29], v[18:19], v[28:29], s[58:59]
	s_delay_alu instid0(TRANS32_DEP_1) | instskip(NEXT) | instid1(VALU_DEP_3)
	v_fma_f64 v[34:35], -v[55:56], v[59:60], 1.0
	v_fma_f64 v[51:52], v[30:31], v[51:52], s[58:59]
	s_delay_alu instid0(VALU_DEP_3) | instskip(NEXT) | instid1(VALU_DEP_3)
	v_fma_f64 v[28:29], v[18:19], v[28:29], s[60:61]
	v_fma_f64 v[32:33], v[34:35], v[59:60], v[59:60]
	s_delay_alu instid0(VALU_DEP_3)
	v_fma_f64 v[34:35], v[30:31], v[51:52], s[60:61]
	v_add_f64_e32 v[51:52], v[57:58], v[16:17]
	v_cvt_i32_f64_e32 v59, v[22:23]
	v_cvt_i32_f64_e32 v60, v[24:25]
	v_add_f64_e64 v[24:25], v[55:56], -v[49:50]
	v_fma_f64 v[28:29], v[18:19], v[28:29], s[62:63]
	v_fma_f64 v[26:27], -v[55:56], v[32:33], 1.0
	v_fma_f64 v[34:35], v[30:31], v[34:35], s[62:63]
	s_delay_alu instid0(VALU_DEP_4) | instskip(NEXT) | instid1(VALU_DEP_4)
	v_add_f64_e64 v[24:25], v[53:54], -v[24:25]
	v_fma_f64 v[28:29], v[18:19], v[28:29], 1.0
	s_delay_alu instid0(VALU_DEP_4) | instskip(NEXT) | instid1(VALU_DEP_4)
	v_fma_f64 v[26:27], v[26:27], v[32:33], v[32:33]
	v_fma_f64 v[32:33], v[30:31], v[34:35], 1.0
	s_delay_alu instid0(VALU_DEP_3) | instskip(NEXT) | instid1(VALU_DEP_3)
	v_fma_f64 v[18:19], v[18:19], v[28:29], 1.0
	v_mul_f64_e32 v[34:35], v[51:52], v[26:27]
	s_delay_alu instid0(VALU_DEP_3) | instskip(NEXT) | instid1(VALU_DEP_3)
	v_fma_f64 v[22:23], v[30:31], v[32:33], 1.0
	v_ldexp_f64 v[18:19], v[18:19], v59
	s_delay_alu instid0(VALU_DEP_3) | instskip(NEXT) | instid1(VALU_DEP_3)
	v_mul_f64_e32 v[28:29], v[55:56], v[34:35]
	v_ldexp_f64 v[22:23], v[22:23], v60
	s_delay_alu instid0(VALU_DEP_3) | instskip(NEXT) | instid1(VALU_DEP_3)
	v_add_f64_e32 v[18:19], 1.0, v[18:19]
	v_fma_f64 v[30:31], v[34:35], v[55:56], -v[28:29]
	s_delay_alu instid0(VALU_DEP_3) | instskip(NEXT) | instid1(VALU_DEP_2)
	v_add_f64_e32 v[22:23], 1.0, v[22:23]
	v_fma_f64 v[24:25], v[34:35], v[24:25], v[30:31]
	s_delay_alu instid0(VALU_DEP_4) | instskip(NEXT) | instid1(VALU_DEP_3)
	v_div_scale_f64 v[30:31], null, v[18:19], v[18:19], 1.0
	v_div_scale_f64 v[32:33], null, v[22:23], v[22:23], 1.0
	s_delay_alu instid0(VALU_DEP_3) | instskip(NEXT) | instid1(VALU_DEP_3)
	v_add_f64_e32 v[49:50], v[28:29], v[24:25]
	v_rcp_f64_e32 v[53:54], v[30:31]
	s_delay_alu instid0(VALU_DEP_2) | instskip(NEXT) | instid1(VALU_DEP_1)
	v_rcp_f64_e32 v[55:56], v[32:33]
	v_add_f64_e64 v[59:60], v[51:52], -v[49:50]
	v_add_f64_e64 v[28:29], v[49:50], -v[28:29]
	s_delay_alu instid0(TRANS32_DEP_2) | instskip(NEXT) | instid1(TRANS32_DEP_1)
	v_fma_f64 v[61:62], -v[30:31], v[53:54], 1.0
	v_fma_f64 v[63:64], -v[32:33], v[55:56], 1.0
	s_delay_alu instid0(VALU_DEP_4)
	v_add_f64_e64 v[65:66], v[51:52], -v[59:60]
	v_add_f64_e64 v[51:52], v[51:52], -v[57:58]
	;; [unrolled: 1-line block ×3, first 2 shown]
	v_fma_f64 v[53:54], v[53:54], v[61:62], v[53:54]
	v_fma_f64 v[55:56], v[55:56], v[63:64], v[55:56]
	v_add_f64_e64 v[28:29], v[65:66], -v[49:50]
	v_add_f64_e64 v[16:17], v[16:17], -v[51:52]
	v_div_scale_f64 v[51:52], s0, 1.0, v[22:23], 1.0
	v_fma_f64 v[49:50], -v[30:31], v[53:54], 1.0
	v_fma_f64 v[57:58], -v[32:33], v[55:56], 1.0
	v_add_f64_e64 v[24:25], v[28:29], -v[24:25]
	v_div_scale_f64 v[28:29], vcc_lo, 1.0, v[18:19], 1.0
	s_delay_alu instid0(VALU_DEP_4) | instskip(NEXT) | instid1(VALU_DEP_4)
	v_fma_f64 v[49:50], v[53:54], v[49:50], v[53:54]
	v_fma_f64 v[53:54], v[55:56], v[57:58], v[55:56]
	s_delay_alu instid0(VALU_DEP_4) | instskip(NEXT) | instid1(VALU_DEP_3)
	v_add_f64_e32 v[16:17], v[16:17], v[24:25]
	v_mul_f64_e32 v[24:25], v[28:29], v[49:50]
	s_delay_alu instid0(VALU_DEP_3) | instskip(NEXT) | instid1(VALU_DEP_3)
	v_mul_f64_e32 v[55:56], v[51:52], v[53:54]
	v_add_f64_e32 v[16:17], v[59:60], v[16:17]
	s_delay_alu instid0(VALU_DEP_3) | instskip(NEXT) | instid1(VALU_DEP_3)
	v_fma_f64 v[28:29], -v[30:31], v[24:25], v[28:29]
	v_fma_f64 v[30:31], -v[32:33], v[55:56], v[51:52]
	s_delay_alu instid0(VALU_DEP_3) | instskip(SKIP_1) | instid1(VALU_DEP_3)
	v_mul_f64_e32 v[16:17], v[26:27], v[16:17]
	s_wait_alu 0xfffd
	v_div_fmas_f64 v[24:25], v[28:29], v[49:50], v[24:25]
	s_mov_b32 vcc_lo, s0
	v_cmp_ngt_f64_e64 s0, 0xc0900000, v[12:13]
	s_wait_alu 0xfffe
	s_delay_alu instid0(VALU_DEP_4)
	v_div_fmas_f64 v[26:27], v[30:31], v[53:54], v[55:56]
	v_cmp_nlt_f64_e64 vcc_lo, 0x40331000, |v[20:21]|
	v_and_b32_e32 v13, 0x7fffffff, v21
	v_add_f64_e32 v[16:17], v[34:35], v[16:17]
	v_div_fixup_f64 v[18:19], v[24:25], v[18:19], 1.0
	v_div_fixup_f64 v[22:23], v[26:27], v[22:23], 1.0
	s_wait_alu 0xfffd
	s_delay_alu instid0(VALU_DEP_3) | instskip(NEXT) | instid1(VALU_DEP_4)
	v_cndmask_b32_e32 v17, 0x3ff00000, v17, vcc_lo
	v_cndmask_b32_e32 v16, 0, v16, vcc_lo
	v_cmp_gt_f64_e64 vcc_lo, 0x3e400000, |v[20:21]|
	s_wait_alu 0xf1ff
	v_cndmask_b32_e64 v19, 0, v19, s0
	s_and_b32 s0, s1, s0
	v_cndmask_b32_e64 v23, 0, v23, s2
	s_wait_alu 0xfffd
	v_dual_cndmask_b32 v12, v16, v20 :: v_dual_cndmask_b32 v13, v17, v13
	v_cmp_nlt_f64_e32 vcc_lo, 0x4090cc00, v[14:15]
	v_cndmask_b32_e64 v15, 0x3ff00000, v19, s1
	s_wait_alu 0xfffe
	v_cndmask_b32_e64 v14, 0, v18, s0
	v_bfi_b32 v13, 0x7fffffff, v13, v21
	s_delay_alu instid0(VALU_DEP_1)
	v_mul_f64_e32 v[16:17], v[14:15], v[12:13]
	s_wait_alu 0xfffd
	v_cndmask_b32_e32 v19, 0x3ff00000, v23, vcc_lo
	s_and_b32 vcc_lo, vcc_lo, s2
	s_wait_alu 0xfffe
	v_cndmask_b32_e32 v18, 0, v22, vcc_lo
	s_delay_alu instid0(VALU_DEP_1) | instskip(NEXT) | instid1(VALU_DEP_1)
	v_fma_f64 v[6:7], v[6:7], v[18:19], v[16:17]
	v_mul_f64_e64 v[16:17], |v[6:7]|, s[4:5]
	s_delay_alu instid0(VALU_DEP_1) | instskip(NEXT) | instid1(VALU_DEP_1)
	v_rndne_f64_e32 v[16:17], v[16:17]
	v_fma_f64 v[20:21], v[16:17], s[64:65], |v[6:7]|
	v_mul_f64_e32 v[22:23], s[66:67], v[16:17]
	s_delay_alu instid0(VALU_DEP_2) | instskip(NEXT) | instid1(VALU_DEP_1)
	v_add_f64_e32 v[24:25], 0, v[20:21]
	v_add_f64_e64 v[26:27], v[24:25], -v[22:23]
	v_add_f64_e64 v[20:21], v[20:21], -v[24:25]
	s_delay_alu instid0(VALU_DEP_2) | instskip(NEXT) | instid1(VALU_DEP_2)
	v_add_f64_e64 v[24:25], v[24:25], -v[26:27]
	v_add_f64_e32 v[20:21], 0, v[20:21]
	s_delay_alu instid0(VALU_DEP_2) | instskip(NEXT) | instid1(VALU_DEP_1)
	v_add_f64_e64 v[22:23], v[24:25], -v[22:23]
	v_add_f64_e32 v[20:21], v[20:21], v[22:23]
	v_mul_f64_e32 v[22:23], s[68:69], v[16:17]
	s_delay_alu instid0(VALU_DEP_2) | instskip(NEXT) | instid1(VALU_DEP_1)
	v_add_f64_e32 v[24:25], v[26:27], v[20:21]
	v_add_f64_e64 v[28:29], v[24:25], -v[22:23]
	v_add_f64_e64 v[26:27], v[26:27], -v[24:25]
	s_delay_alu instid0(VALU_DEP_2) | instskip(NEXT) | instid1(VALU_DEP_2)
	v_add_f64_e64 v[24:25], v[24:25], -v[28:29]
	v_add_f64_e32 v[20:21], v[20:21], v[26:27]
	s_delay_alu instid0(VALU_DEP_2) | instskip(NEXT) | instid1(VALU_DEP_1)
	v_add_f64_e64 v[22:23], v[24:25], -v[22:23]
	v_add_f64_e32 v[20:21], v[20:21], v[22:23]
	s_delay_alu instid0(VALU_DEP_1) | instskip(NEXT) | instid1(VALU_DEP_1)
	v_add_f64_e32 v[22:23], v[28:29], v[20:21]
	v_fma_f64 v[24:25], v[22:23], s[46:47], s[44:45]
	v_add_f64_e64 v[26:27], v[28:29], -v[22:23]
	v_mul_f64_e32 v[28:29], v[22:23], v[22:23]
	s_delay_alu instid0(VALU_DEP_3) | instskip(NEXT) | instid1(VALU_DEP_3)
	v_fma_f64 v[24:25], v[22:23], v[24:25], s[48:49]
	v_add_f64_e32 v[20:21], v[20:21], v[26:27]
	s_delay_alu instid0(VALU_DEP_3) | instskip(NEXT) | instid1(VALU_DEP_3)
	v_fma_f64 v[26:27], v[22:23], v[22:23], -v[28:29]
	v_fma_f64 v[24:25], v[22:23], v[24:25], s[50:51]
	s_delay_alu instid0(VALU_DEP_3) | instskip(NEXT) | instid1(VALU_DEP_2)
	v_add_f64_e32 v[30:31], v[20:21], v[20:21]
	v_fma_f64 v[24:25], v[22:23], v[24:25], s[52:53]
	s_delay_alu instid0(VALU_DEP_2) | instskip(NEXT) | instid1(VALU_DEP_2)
	v_fma_f64 v[26:27], v[22:23], v[30:31], v[26:27]
	v_fma_f64 v[24:25], v[22:23], v[24:25], s[54:55]
	s_delay_alu instid0(VALU_DEP_2) | instskip(NEXT) | instid1(VALU_DEP_2)
	v_add_f64_e32 v[30:31], v[28:29], v[26:27]
	v_fma_f64 v[24:25], v[22:23], v[24:25], s[56:57]
	s_delay_alu instid0(VALU_DEP_2) | instskip(NEXT) | instid1(VALU_DEP_2)
	v_add_f64_e64 v[28:29], v[30:31], -v[28:29]
	v_fma_f64 v[24:25], v[22:23], v[24:25], s[58:59]
	s_delay_alu instid0(VALU_DEP_2) | instskip(NEXT) | instid1(VALU_DEP_2)
	v_add_f64_e64 v[26:27], v[26:27], -v[28:29]
	v_fma_f64 v[24:25], v[22:23], v[24:25], s[60:61]
	s_delay_alu instid0(VALU_DEP_1) | instskip(NEXT) | instid1(VALU_DEP_1)
	v_fma_f64 v[24:25], v[22:23], v[24:25], s[62:63]
	v_mul_f64_e32 v[32:33], v[30:31], v[24:25]
	s_delay_alu instid0(VALU_DEP_1) | instskip(NEXT) | instid1(VALU_DEP_1)
	v_fma_f64 v[28:29], v[30:31], v[24:25], -v[32:33]
	v_fma_f64 v[24:25], v[26:27], v[24:25], v[28:29]
	s_delay_alu instid0(VALU_DEP_1) | instskip(NEXT) | instid1(VALU_DEP_1)
	v_add_f64_e32 v[26:27], v[32:33], v[24:25]
	v_add_f64_e32 v[28:29], v[22:23], v[26:27]
	v_add_f64_e64 v[30:31], v[26:27], -v[32:33]
	s_delay_alu instid0(VALU_DEP_2) | instskip(NEXT) | instid1(VALU_DEP_2)
	v_add_f64_e64 v[22:23], v[28:29], -v[22:23]
	v_add_f64_e64 v[24:25], v[24:25], -v[30:31]
	v_cvt_i32_f64_e32 v30, v[16:17]
	s_delay_alu instid0(VALU_DEP_3) | instskip(NEXT) | instid1(VALU_DEP_3)
	v_add_f64_e64 v[22:23], v[26:27], -v[22:23]
	v_add_f64_e32 v[20:21], v[20:21], v[24:25]
	s_delay_alu instid0(VALU_DEP_1) | instskip(NEXT) | instid1(VALU_DEP_1)
	v_add_f64_e32 v[20:21], v[20:21], v[22:23]
	v_add_f64_e32 v[22:23], v[28:29], v[20:21]
	s_delay_alu instid0(VALU_DEP_1) | instskip(SKIP_1) | instid1(VALU_DEP_2)
	v_add_f64_e32 v[24:25], 1.0, v[22:23]
	v_add_f64_e64 v[26:27], v[22:23], -v[28:29]
	v_add_f64_e32 v[28:29], -1.0, v[24:25]
	s_delay_alu instid0(VALU_DEP_2) | instskip(NEXT) | instid1(VALU_DEP_2)
	v_add_f64_e64 v[20:21], v[20:21], -v[26:27]
	v_add_f64_e64 v[22:23], v[22:23], -v[28:29]
	s_delay_alu instid0(VALU_DEP_1) | instskip(NEXT) | instid1(VALU_DEP_1)
	v_add_f64_e32 v[20:21], v[20:21], v[22:23]
	v_add_f64_e32 v[16:17], v[24:25], v[20:21]
	s_delay_alu instid0(VALU_DEP_1) | instskip(SKIP_1) | instid1(VALU_DEP_2)
	v_ldexp_f64 v[22:23], v[16:17], v30
	v_add_f64_e64 v[16:17], v[16:17], -v[24:25]
	v_rcp_f64_e32 v[26:27], v[22:23]
	s_delay_alu instid0(VALU_DEP_1) | instskip(NEXT) | instid1(VALU_DEP_1)
	v_add_f64_e64 v[16:17], v[20:21], -v[16:17]
	v_ldexp_f64 v[16:17], v[16:17], v30
	s_delay_alu instid0(TRANS32_DEP_1) | instskip(NEXT) | instid1(VALU_DEP_1)
	v_fma_f64 v[28:29], -v[22:23], v[26:27], 1.0
	v_fma_f64 v[26:27], v[28:29], v[26:27], v[26:27]
	s_delay_alu instid0(VALU_DEP_1) | instskip(NEXT) | instid1(VALU_DEP_1)
	v_fma_f64 v[28:29], -v[22:23], v[26:27], 1.0
	v_fma_f64 v[24:25], v[28:29], v[26:27], v[26:27]
	s_delay_alu instid0(VALU_DEP_1) | instskip(NEXT) | instid1(VALU_DEP_1)
	v_mul_f64_e32 v[20:21], v[22:23], v[24:25]
	v_fma_f64 v[26:27], v[24:25], v[22:23], -v[20:21]
	s_delay_alu instid0(VALU_DEP_1) | instskip(NEXT) | instid1(VALU_DEP_1)
	v_fma_f64 v[26:27], v[24:25], v[16:17], v[26:27]
	v_add_f64_e32 v[28:29], v[20:21], v[26:27]
	s_delay_alu instid0(VALU_DEP_1) | instskip(SKIP_1) | instid1(VALU_DEP_2)
	v_add_f64_e64 v[30:31], -v[28:29], 1.0
	v_add_f64_e64 v[20:21], v[28:29], -v[20:21]
	v_add_f64_e64 v[32:33], -v[30:31], 1.0
	s_delay_alu instid0(VALU_DEP_2) | instskip(NEXT) | instid1(VALU_DEP_2)
	v_add_f64_e64 v[20:21], v[20:21], -v[26:27]
	v_add_f64_e64 v[26:27], v[32:33], -v[28:29]
	s_delay_alu instid0(VALU_DEP_1) | instskip(NEXT) | instid1(VALU_DEP_1)
	v_add_f64_e32 v[20:21], v[20:21], v[26:27]
	v_add_f64_e32 v[26:27], v[30:31], v[20:21]
	s_delay_alu instid0(VALU_DEP_1) | instskip(SKIP_1) | instid1(VALU_DEP_2)
	v_mul_f64_e32 v[28:29], v[24:25], v[26:27]
	v_add_f64_e64 v[30:31], v[30:31], -v[26:27]
	v_mul_f64_e32 v[32:33], v[22:23], v[28:29]
	s_delay_alu instid0(VALU_DEP_2) | instskip(SKIP_1) | instid1(VALU_DEP_3)
	v_add_f64_e32 v[20:21], v[20:21], v[30:31]
	v_add_f64_e32 v[10:11], v[24:25], v[28:29]
	v_fma_f64 v[34:35], v[28:29], v[22:23], -v[32:33]
	s_delay_alu instid0(VALU_DEP_2) | instskip(NEXT) | instid1(VALU_DEP_2)
	v_add_f64_e64 v[8:9], v[10:11], -v[24:25]
	v_fma_f64 v[34:35], v[28:29], v[16:17], v[34:35]
	s_delay_alu instid0(VALU_DEP_2) | instskip(NEXT) | instid1(VALU_DEP_2)
	v_add_f64_e64 v[8:9], v[28:29], -v[8:9]
	v_add_f64_e32 v[49:50], v[32:33], v[34:35]
	s_delay_alu instid0(VALU_DEP_1) | instskip(SKIP_1) | instid1(VALU_DEP_2)
	v_add_f64_e64 v[51:52], v[26:27], -v[49:50]
	v_add_f64_e64 v[30:31], v[49:50], -v[32:33]
	v_add_f64_e64 v[26:27], v[26:27], -v[51:52]
	s_delay_alu instid0(VALU_DEP_2) | instskip(NEXT) | instid1(VALU_DEP_2)
	v_add_f64_e64 v[4:5], v[30:31], -v[34:35]
	v_add_f64_e64 v[26:27], v[26:27], -v[49:50]
	s_delay_alu instid0(VALU_DEP_1) | instskip(NEXT) | instid1(VALU_DEP_1)
	v_add_f64_e32 v[20:21], v[20:21], v[26:27]
	v_add_f64_e32 v[4:5], v[4:5], v[20:21]
	v_mul_f64_e32 v[20:21], s[38:39], v[2:3]
	s_delay_alu instid0(VALU_DEP_2) | instskip(NEXT) | instid1(VALU_DEP_2)
	v_add_f64_e32 v[4:5], v[51:52], v[4:5]
	v_rndne_f64_e32 v[20:21], v[20:21]
	s_delay_alu instid0(VALU_DEP_2) | instskip(NEXT) | instid1(VALU_DEP_1)
	v_mul_f64_e32 v[4:5], v[24:25], v[4:5]
	v_add_f64_e32 v[4:5], v[8:9], v[4:5]
	s_delay_alu instid0(VALU_DEP_3) | instskip(NEXT) | instid1(VALU_DEP_2)
	v_fma_f64 v[8:9], v[20:21], s[40:41], -v[2:3]
	v_add_f64_e32 v[24:25], v[10:11], v[4:5]
	s_delay_alu instid0(VALU_DEP_2) | instskip(NEXT) | instid1(VALU_DEP_2)
	v_fma_f64 v[8:9], v[20:21], s[42:43], v[8:9]
	v_add_f64_e32 v[26:27], v[22:23], v[24:25]
	v_add_f64_e64 v[10:11], v[24:25], -v[10:11]
	s_delay_alu instid0(VALU_DEP_3) | instskip(SKIP_1) | instid1(VALU_DEP_4)
	v_fma_f64 v[28:29], v[8:9], s[46:47], s[44:45]
	v_add_f64_e64 v[32:33], v[22:23], -v[24:25]
	v_add_f64_e64 v[30:31], v[26:27], -v[22:23]
	s_delay_alu instid0(VALU_DEP_4) | instskip(NEXT) | instid1(VALU_DEP_4)
	v_add_f64_e64 v[4:5], v[4:5], -v[10:11]
	v_fma_f64 v[10:11], v[8:9], v[28:29], s[48:49]
	s_delay_alu instid0(VALU_DEP_4) | instskip(NEXT) | instid1(VALU_DEP_4)
	v_add_f64_e64 v[22:23], v[22:23], -v[32:33]
	v_add_f64_e64 v[28:29], v[24:25], -v[30:31]
	s_delay_alu instid0(VALU_DEP_4) | instskip(NEXT) | instid1(VALU_DEP_4)
	v_add_f64_e32 v[30:31], v[16:17], v[4:5]
	v_fma_f64 v[10:11], v[8:9], v[10:11], s[50:51]
	s_delay_alu instid0(VALU_DEP_4) | instskip(NEXT) | instid1(VALU_DEP_3)
	v_add_f64_e64 v[22:23], v[22:23], -v[24:25]
	v_add_f64_e32 v[28:29], v[30:31], v[28:29]
	s_delay_alu instid0(VALU_DEP_3) | instskip(NEXT) | instid1(VALU_DEP_3)
	v_fma_f64 v[10:11], v[8:9], v[10:11], s[52:53]
	v_add_f64_e32 v[16:17], v[16:17], v[22:23]
	s_delay_alu instid0(VALU_DEP_3) | instskip(NEXT) | instid1(VALU_DEP_3)
	v_add_f64_e32 v[30:31], v[26:27], v[28:29]
	v_fma_f64 v[10:11], v[8:9], v[10:11], s[54:55]
	s_delay_alu instid0(VALU_DEP_3) | instskip(NEXT) | instid1(VALU_DEP_3)
	v_add_f64_e64 v[4:5], v[16:17], -v[4:5]
	v_rcp_f64_e32 v[34:35], v[30:31]
	s_delay_alu instid0(VALU_DEP_2) | instskip(NEXT) | instid1(VALU_DEP_1)
	v_fma_f64 v[10:11], v[8:9], v[10:11], s[56:57]
	v_fma_f64 v[10:11], v[8:9], v[10:11], s[58:59]
	s_delay_alu instid0(TRANS32_DEP_1) | instskip(NEXT) | instid1(VALU_DEP_2)
	v_fma_f64 v[24:25], -v[30:31], v[34:35], 1.0
	v_fma_f64 v[10:11], v[8:9], v[10:11], s[60:61]
	s_delay_alu instid0(VALU_DEP_2) | instskip(SKIP_2) | instid1(VALU_DEP_4)
	v_fma_f64 v[22:23], v[24:25], v[34:35], v[34:35]
	v_add_f64_e32 v[24:25], v[32:33], v[4:5]
	v_cvt_i32_f64_e32 v34, v[20:21]
	v_fma_f64 v[10:11], v[8:9], v[10:11], s[62:63]
	s_delay_alu instid0(VALU_DEP_4) | instskip(NEXT) | instid1(VALU_DEP_2)
	v_fma_f64 v[16:17], -v[30:31], v[22:23], 1.0
	v_fma_f64 v[10:11], v[8:9], v[10:11], 1.0
	s_delay_alu instid0(VALU_DEP_2) | instskip(NEXT) | instid1(VALU_DEP_2)
	v_fma_f64 v[16:17], v[16:17], v[22:23], v[22:23]
	v_fma_f64 v[8:9], v[8:9], v[10:11], 1.0
	s_delay_alu instid0(VALU_DEP_2) | instskip(SKIP_1) | instid1(VALU_DEP_3)
	v_mul_f64_e32 v[22:23], v[24:25], v[16:17]
	v_add_f64_e64 v[10:11], v[30:31], -v[26:27]
	v_ldexp_f64 v[8:9], v[8:9], v34
	s_delay_alu instid0(VALU_DEP_3) | instskip(NEXT) | instid1(VALU_DEP_3)
	v_mul_f64_e32 v[20:21], v[30:31], v[22:23]
	v_add_f64_e64 v[10:11], v[28:29], -v[10:11]
	s_delay_alu instid0(VALU_DEP_3) | instskip(NEXT) | instid1(VALU_DEP_3)
	v_add_f64_e32 v[8:9], 1.0, v[8:9]
	v_fma_f64 v[26:27], v[22:23], v[30:31], -v[20:21]
	s_delay_alu instid0(VALU_DEP_1) | instskip(NEXT) | instid1(VALU_DEP_3)
	v_fma_f64 v[10:11], v[22:23], v[10:11], v[26:27]
	v_div_scale_f64 v[26:27], null, v[8:9], v[8:9], 1.0
	s_delay_alu instid0(VALU_DEP_2) | instskip(NEXT) | instid1(VALU_DEP_2)
	v_add_f64_e32 v[28:29], v[20:21], v[10:11]
	v_rcp_f64_e32 v[30:31], v[26:27]
	s_delay_alu instid0(VALU_DEP_1) | instskip(SKIP_1) | instid1(TRANS32_DEP_1)
	v_add_f64_e64 v[34:35], v[24:25], -v[28:29]
	v_add_f64_e64 v[20:21], v[28:29], -v[20:21]
	v_fma_f64 v[49:50], -v[26:27], v[30:31], 1.0
	s_delay_alu instid0(VALU_DEP_3) | instskip(SKIP_1) | instid1(VALU_DEP_4)
	v_add_f64_e64 v[51:52], v[24:25], -v[34:35]
	v_add_f64_e64 v[24:25], v[24:25], -v[32:33]
	;; [unrolled: 1-line block ×3, first 2 shown]
	s_delay_alu instid0(VALU_DEP_4)
	v_fma_f64 v[30:31], v[30:31], v[49:50], v[30:31]
	v_xor_b32_e32 v32, s90, v44
	v_mul_hi_u32 v33, v48, s91
	v_add_f64_e64 v[20:21], v[51:52], -v[28:29]
	v_add_f64_e64 v[4:5], v[4:5], -v[24:25]
	v_fma_f64 v[28:29], -v[26:27], v[30:31], 1.0
	s_delay_alu instid0(VALU_DEP_3) | instskip(SKIP_1) | instid1(VALU_DEP_3)
	v_add_f64_e64 v[10:11], v[20:21], -v[10:11]
	v_div_scale_f64 v[20:21], vcc_lo, 1.0, v[8:9], 1.0
	v_fma_f64 v[24:25], v[30:31], v[28:29], v[30:31]
	v_xor_b32_e32 v28, s90, v42
	v_mul_hi_u32 v29, v46, s91
	v_xor_b32_e32 v30, s90, v45
	v_mul_hi_u32 v31, v47, s91
	s_delay_alu instid0(VALU_DEP_3) | instskip(SKIP_3) | instid1(VALU_DEP_2)
	v_mul_lo_u32 v45, v29, s82
	v_add_nc_u32_e32 v49, 1, v29
	v_add_f64_e32 v[4:5], v[4:5], v[10:11]
	v_mul_f64_e32 v[10:11], v[20:21], v[24:25]
	v_add_f64_e32 v[4:5], v[34:35], v[4:5]
	v_mul_hi_u32 v35, v37, s95
	v_xor_b32_e32 v34, s94, v38
	s_delay_alu instid0(VALU_DEP_4) | instskip(SKIP_4) | instid1(VALU_DEP_4)
	v_fma_f64 v[20:21], -v[26:27], v[10:11], v[20:21]
	v_mul_hi_u32 v27, v43, s91
	v_xor_b32_e32 v26, s90, v41
	v_mul_hi_u32 v41, v37, s97
	v_xor_b32_e32 v38, s96, v38
	v_mul_lo_u32 v42, v27, s82
	v_add_nc_u32_e32 v44, 1, v27
	s_delay_alu instid0(VALU_DEP_2) | instskip(SKIP_1) | instid1(VALU_DEP_1)
	v_sub_nc_u32_e32 v42, v43, v42
	v_sub_nc_u32_e32 v43, v46, v45
	v_cmp_le_u32_e64 s0, s82, v43
	s_wait_alu 0xf1ff
	s_delay_alu instid0(VALU_DEP_1)
	v_cndmask_b32_e64 v29, v29, v49, s0
	v_mul_f64_e32 v[4:5], v[16:17], v[4:5]
	v_mul_lo_u32 v16, v31, s82
	s_wait_alu 0xfffd
	v_div_fmas_f64 v[10:11], v[20:21], v[24:25], v[10:11]
	v_mul_lo_u32 v24, v35, s88
	v_mul_lo_u32 v25, v41, s89
	v_cmp_le_u32_e32 vcc_lo, s82, v42
	v_add_nc_u32_e32 v50, 1, v35
	v_mul_lo_u32 v20, v33, s82
	v_sub_nc_u32_e32 v16, v47, v16
	s_wait_alu 0xfffd
	v_cndmask_b32_e32 v27, v27, v44, vcc_lo
	v_sub_nc_u32_e32 v24, v37, v24
	v_sub_nc_u32_e32 v25, v37, v25
	v_subrev_nc_u32_e32 v37, s82, v42
	v_subrev_nc_u32_e32 v44, s82, v43
	v_sub_nc_u32_e32 v20, v48, v20
	v_cmp_le_u32_e64 s1, s82, v16
	v_cmp_le_u32_e64 s3, s88, v24
	v_dual_cndmask_b32 v37, v42, v37 :: v_dual_add_nc_u32 v42, 1, v27
	v_cmp_nlt_f64_e64 vcc_lo, 0x40331000, |v[6:7]|
	v_cmp_le_u32_e64 s2, s82, v20
	v_subrev_nc_u32_e32 v45, s88, v24
	s_wait_alu 0xf1ff
	v_cndmask_b32_e64 v35, v35, v50, s3
	v_cmp_le_u32_e64 s4, s89, v25
	v_subrev_nc_u32_e32 v46, s89, v25
	v_cndmask_b32_e64 v24, v24, v45, s3
	s_wait_alu 0xf1ff
	s_delay_alu instid0(VALU_DEP_2)
	v_cndmask_b32_e64 v25, v25, v46, s4
	v_add_f64_e32 v[4:5], v[22:23], v[4:5]
	v_cndmask_b32_e64 v22, v43, v44, s0
	v_cmp_le_u32_e64 s0, s82, v37
	v_add_nc_u32_e32 v17, 1, v31
	v_add_nc_u32_e32 v23, 1, v29
	v_div_fixup_f64 v[8:9], v[10:11], v[8:9], 1.0
	v_add_nc_u32_e32 v51, 1, v41
	s_wait_alu 0xf1ff
	v_cndmask_b32_e64 v27, v27, v42, s0
	v_cmp_le_u32_e64 s0, s82, v22
	v_cndmask_b32_e64 v17, v31, v17, s1
	v_subrev_nc_u32_e32 v31, s82, v16
	v_cndmask_b32_e64 v41, v41, v51, s4
	s_wait_alu 0xf1ff
	v_cndmask_b32_e64 v22, v29, v23, s0
	v_add_nc_u32_e32 v10, 1, v17
	v_cndmask_b32_e64 v16, v16, v31, s1
	v_add_nc_u32_e32 v31, 1, v35
	v_cmp_nlt_f64_e64 s1, 0x4090cc00, v[2:3]
	s_delay_alu instid0(VALU_DEP_3) | instskip(SKIP_1) | instid1(VALU_DEP_1)
	v_cmp_le_u32_e64 s0, s82, v16
	s_wait_alu 0xf1ff
	v_cndmask_b32_e64 v10, v17, v10, s0
	s_delay_alu instid0(VALU_DEP_1) | instskip(SKIP_3) | instid1(VALU_DEP_1)
	v_xor_b32_e32 v10, v10, v30
	s_wait_alu 0xfffd
	v_cndmask_b32_e32 v23, 0, v4, vcc_lo
	v_add_nc_u32_e32 v21, 1, v33
	v_cndmask_b32_e64 v21, v33, v21, s2
	v_subrev_nc_u32_e32 v33, s82, v20
	s_delay_alu instid0(VALU_DEP_1) | instskip(NEXT) | instid1(VALU_DEP_3)
	v_cndmask_b32_e64 v11, v20, v33, s2
	v_add_nc_u32_e32 v20, 1, v21
	v_add_nc_u32_e32 v33, 1, v41
	s_delay_alu instid0(VALU_DEP_3) | instskip(SKIP_1) | instid1(VALU_DEP_1)
	v_cmp_le_u32_e64 s0, s82, v11
	s_wait_alu 0xf1ff
	v_cndmask_b32_e64 v11, v21, v20, s0
	v_cmp_le_u32_e64 s0, s88, v24
	v_xor_b32_e32 v21, v22, v28
	v_cndmask_b32_e32 v22, 0x3ff00000, v5, vcc_lo
	v_cmp_gt_f64_e64 vcc_lo, 0x3e400000, |v[6:7]|
	v_xor_b32_e32 v20, v27, v26
	s_wait_alu 0xf1ff
	v_cndmask_b32_e64 v16, v35, v31, s0
	v_cmp_le_u32_e64 s0, s89, v25
	v_xor_b32_e32 v11, v11, v32
	v_sub_nc_u32_e32 v24, v10, v30
	v_sub_nc_u32_e32 v20, v20, v26
	v_xor_b32_e32 v16, v16, v34
	s_wait_alu 0xf1ff
	v_cndmask_b32_e64 v17, v41, v33, s0
	v_cmp_ngt_f64_e64 s0, 0xc0900000, v[2:3]
	v_sub_nc_u32_e32 v21, v21, v28
	v_sub_nc_u32_e32 v26, v11, v32
	;; [unrolled: 1-line block ×3, first 2 shown]
	v_xor_b32_e32 v17, v17, v38
	v_mul_lo_u32 v16, v20, s73
	v_mul_lo_u32 v5, v21, s73
	s_delay_alu instid0(VALU_DEP_4) | instskip(NEXT) | instid1(VALU_DEP_4)
	v_mad_co_u64_u32 v[2:3], null, s101, v10, v[0:1]
	v_sub_nc_u32_e32 v11, v17, v38
	v_mul_lo_u32 v17, v26, s73
	s_delay_alu instid0(VALU_DEP_4) | instskip(NEXT) | instid1(VALU_DEP_3)
	v_sub_nc_u32_e32 v5, v1, v5
	v_mad_co_u64_u32 v[3:4], null, s102, v11, v[0:1]
	v_sub_nc_u32_e32 v4, v36, v16
	v_mul_lo_u32 v1, v2, s27
	v_sub_nc_u32_e32 v16, v40, v17
	v_add_nc_u32_e32 v27, v0, v5
	s_delay_alu instid0(VALU_DEP_4) | instskip(SKIP_1) | instid1(VALU_DEP_4)
	v_add_nc_u32_e32 v17, v0, v4
	v_mul_lo_u32 v2, v3, s31
	v_add_nc_u32_e32 v16, v0, v16
	s_delay_alu instid0(VALU_DEP_3) | instskip(NEXT) | instid1(VALU_DEP_3)
	v_mul_lo_u32 v5, v17, s37
	v_mad_co_u64_u32 v[3:4], null, v10, s26, v[1:2]
	s_wait_alu 0xf1ff
	v_cndmask_b32_e64 v25, 0, v9, s0
	v_mul_lo_u32 v9, v24, s73
	s_delay_alu instid0(VALU_DEP_3)
	v_mad_co_u64_u32 v[1:2], null, v11, s30, v[2:3]
	v_mul_lo_u32 v11, v16, s37
	v_mad_co_u64_u32 v[16:17], null, v20, s36, v[5:6]
	v_ashrrev_i32_e32 v4, 31, v3
	v_sub_nc_u32_e32 v9, v39, v9
	v_ashrrev_i32_e32 v2, 31, v1
	s_delay_alu instid0(VALU_DEP_3) | instskip(SKIP_1) | instid1(VALU_DEP_4)
	v_lshlrev_b64_e32 v[3:4], 3, v[3:4]
	v_ashrrev_i32_e32 v17, 31, v16
	v_add_nc_u32_e32 v28, v0, v9
	v_mul_lo_u32 v9, v27, s37
	s_wait_alu 0xfffd
	v_dual_cndmask_b32 v20, v23, v6 :: v_dual_and_b32 v27, 0x7fffffff, v7
	v_lshlrev_b64_e32 v[1:2], 3, v[1:2]
	v_mul_lo_u32 v10, v28, s37
	v_lshlrev_b64_e32 v[16:17], 3, v[16:17]
	s_delay_alu instid0(VALU_DEP_4)
	v_cndmask_b32_e32 v5, v22, v27, vcc_lo
	s_and_b32 vcc_lo, s1, s0
	v_add_nc_u32_e32 v0, s79, v0
	s_wait_alu 0xfffe
	v_cndmask_b32_e32 v8, 0, v8, vcc_lo
	v_add_co_u32 v3, s0, s24, v3
	v_mad_co_u64_u32 v[22:23], null, v21, s36, v[9:10]
	v_cndmask_b32_e64 v9, 0x3ff00000, v25, s1
	v_bfi_b32 v21, 0x7fffffff, v5, v7
	v_mad_co_u64_u32 v[24:25], null, v24, s36, v[10:11]
	v_mad_co_u64_u32 v[10:11], null, v26, s36, v[11:12]
	s_delay_alu instid0(VALU_DEP_3)
	v_mul_f64_e32 v[20:21], v[8:9], v[20:21]
	v_ashrrev_i32_e32 v23, 31, v22
	s_wait_alu 0xf1ff
	v_add_co_ci_u32_e64 v4, null, s25, v4, s0
	v_ashrrev_i32_e32 v25, 31, v24
	v_add_co_u32 v1, s0, s28, v1
	v_ashrrev_i32_e32 v11, 31, v10
	v_lshlrev_b64_e32 v[22:23], 3, v[22:23]
	s_delay_alu instid0(VALU_DEP_4)
	v_lshlrev_b64_e32 v[24:25], 3, v[24:25]
	s_wait_alu 0xf1ff
	v_add_co_ci_u32_e64 v2, null, s29, v2, s0
	v_lshlrev_b64_e32 v[10:11], 3, v[10:11]
	v_add_co_u32 v16, s0, s34, v16
	v_cmp_le_i32_e32 vcc_lo, s7, v0
	s_wait_alu 0xf1ff
	v_add_co_ci_u32_e64 v17, null, s35, v17, s0
	v_add_co_u32 v22, s0, s34, v22
	s_wait_alu 0xf1ff
	v_add_co_ci_u32_e64 v23, null, s35, v23, s0
	v_add_co_u32 v24, s0, s34, v24
	;; [unrolled: 3-line block ×3, first 2 shown]
	s_or_b32 s78, vcc_lo, s78
	v_add_co_ci_u32_e64 v11, null, s35, v11, s0
	global_store_b64 v[3:4], v[20:21], off
	global_store_b64 v[1:2], v[6:7], off
	s_clause 0x3
	global_store_b64 v[16:17], v[14:15], off
	global_store_b64 v[22:23], v[18:19], off
	;; [unrolled: 1-line block ×4, first 2 shown]
	s_wait_alu 0xfffe
	s_and_not1_b32 exec_lo, exec_lo, s78
	s_cbranch_execz .LBB1_6
.LBB1_4:                                ; =>This Inner Loop Header: Depth=1
	v_sub_nc_u32_e32 v1, 0, v0
	v_ashrrev_i32_e32 v38, 31, v0
	s_delay_alu instid0(VALU_DEP_2) | instskip(NEXT) | instid1(VALU_DEP_2)
	v_max_i32_e32 v37, v0, v1
	v_xor_b32_e32 v8, s80, v38
	s_delay_alu instid0(VALU_DEP_2) | instskip(NEXT) | instid1(VALU_DEP_1)
	v_mul_hi_u32 v1, v37, s83
	v_mul_lo_u32 v2, v1, s75
	s_delay_alu instid0(VALU_DEP_1) | instskip(NEXT) | instid1(VALU_DEP_1)
	v_sub_nc_u32_e32 v2, v37, v2
	v_subrev_nc_u32_e32 v4, s75, v2
	v_cmp_le_u32_e32 vcc_lo, s75, v2
	s_wait_alu 0xfffd
	s_delay_alu instid0(VALU_DEP_2) | instskip(NEXT) | instid1(VALU_DEP_1)
	v_dual_cndmask_b32 v2, v2, v4 :: v_dual_add_nc_u32 v3, 1, v1
	v_cndmask_b32_e32 v1, v1, v3, vcc_lo
	s_delay_alu instid0(VALU_DEP_2) | instskip(NEXT) | instid1(VALU_DEP_2)
	v_cmp_le_u32_e32 vcc_lo, s75, v2
	v_add_nc_u32_e32 v3, 1, v1
	s_wait_alu 0xfffd
	s_delay_alu instid0(VALU_DEP_1) | instskip(NEXT) | instid1(VALU_DEP_1)
	v_cndmask_b32_e32 v1, v1, v3, vcc_lo
	v_xor_b32_e32 v9, v1, v8
	v_mul_i32_i24_e32 v1, 3, v8
	s_delay_alu instid0(VALU_DEP_2) | instskip(SKIP_1) | instid1(VALU_DEP_2)
	v_lshl_add_u32 v2, v9, 1, v9
	v_sub_nc_u32_e32 v10, v9, v8
	v_sub_nc_u32_e32 v3, v2, v1
	s_delay_alu instid0(VALU_DEP_2) | instskip(NEXT) | instid1(VALU_DEP_2)
	v_mul_lo_u32 v36, s98, v10
	v_mad_co_u64_u32 v[1:2], null, s6, v3, s[6:7]
	v_add_nc_u32_e32 v2, 2, v3
	v_add_nc_u32_e32 v3, 3, v3
	s_delay_alu instid0(VALU_DEP_4) | instskip(NEXT) | instid1(VALU_DEP_3)
	v_add_nc_u32_e32 v4, v0, v36
	v_mul_lo_u32 v39, s6, v2
	s_delay_alu instid0(VALU_DEP_3) | instskip(NEXT) | instid1(VALU_DEP_3)
	v_mul_lo_u32 v40, s6, v3
	v_ashrrev_i32_e32 v41, 31, v4
	s_delay_alu instid0(VALU_DEP_1) | instskip(SKIP_1) | instid1(VALU_DEP_4)
	v_add3_u32 v4, v41, v36, v0
	v_xor_b32_e32 v3, s81, v41
	v_add_nc_u32_e32 v5, v0, v40
	v_xor_b32_e32 v6, s86, v41
	s_delay_alu instid0(VALU_DEP_4) | instskip(NEXT) | instid1(VALU_DEP_3)
	v_xor_b32_e32 v43, v4, v41
	v_ashrrev_i32_e32 v44, 31, v5
	s_delay_alu instid0(VALU_DEP_2) | instskip(NEXT) | instid1(VALU_DEP_2)
	v_mul_hi_u32 v14, v43, s87
	v_add3_u32 v12, v44, v40, v0
	v_xor_b32_e32 v11, s81, v44
	s_delay_alu instid0(VALU_DEP_2) | instskip(NEXT) | instid1(VALU_DEP_4)
	v_xor_b32_e32 v48, v12, v44
	v_mul_lo_u32 v18, v14, s77
	s_delay_alu instid0(VALU_DEP_2) | instskip(SKIP_1) | instid1(VALU_DEP_3)
	v_mul_hi_u32 v23, v48, s87
	v_mul_hi_u32 v21, v48, s85
	v_sub_nc_u32_e32 v18, v43, v18
	s_delay_alu instid0(VALU_DEP_3) | instskip(SKIP_2) | instid1(VALU_DEP_4)
	v_add_nc_u32_e32 v35, 1, v23
	v_add_nc_u32_e32 v2, v0, v1
	v_mul_lo_u32 v34, v23, s77
	v_cmp_le_u32_e64 s0, s77, v18
	v_mul_lo_u32 v30, v21, s76
	v_add_nc_u32_e32 v31, 1, v21
	v_ashrrev_i32_e32 v42, 31, v2
	v_add_nc_u32_e32 v2, v0, v39
	v_sub_nc_u32_e32 v34, v48, v34
	s_delay_alu instid0(VALU_DEP_3) | instskip(NEXT) | instid1(VALU_DEP_3)
	v_add3_u32 v7, v42, v1, v0
	v_ashrrev_i32_e32 v45, 31, v2
	v_mul_hi_u32 v2, v43, s85
	v_sub_nc_u32_e32 v30, v48, v30
	v_xor_b32_e32 v4, s81, v42
	v_xor_b32_e32 v46, v7, v42
	v_add3_u32 v7, v45, v39, v0
	v_xor_b32_e32 v5, s81, v45
	v_xor_b32_e32 v13, s86, v42
	;; [unrolled: 1-line block ×3, first 2 shown]
	v_mul_lo_u32 v12, v2, s76
	v_xor_b32_e32 v47, v7, v45
	v_mul_hi_u32 v16, v46, s85
	v_mul_hi_u32 v7, v46, s87
	s_delay_alu instid0(VALU_DEP_3) | instskip(SKIP_4) | instid1(VALU_DEP_3)
	v_mul_hi_u32 v20, v47, s85
	v_mul_hi_u32 v22, v47, s87
	v_sub_nc_u32_e32 v12, v43, v12
	v_mul_lo_u32 v24, v16, s76
	v_mul_lo_u32 v26, v7, s77
	v_cmp_le_u32_e32 vcc_lo, s76, v12
	v_add_nc_u32_e32 v29, 1, v20
	v_add_nc_u32_e32 v25, 1, v16
	;; [unrolled: 1-line block ×3, first 2 shown]
	v_mul_lo_u32 v28, v20, s76
	v_sub_nc_u32_e32 v24, v46, v24
	v_mul_lo_u32 v32, v22, s77
	v_sub_nc_u32_e32 v26, v46, v26
	s_wait_alu 0xfffd
	v_cndmask_b32_e32 v2, v2, v17, vcc_lo
	v_subrev_nc_u32_e32 v17, s76, v12
	v_add_nc_u32_e32 v33, 1, v22
	v_sub_nc_u32_e32 v28, v47, v28
	s_delay_alu instid0(VALU_DEP_3) | instskip(SKIP_3) | instid1(VALU_DEP_4)
	v_cndmask_b32_e32 v12, v12, v17, vcc_lo
	v_cmp_le_u32_e32 vcc_lo, s76, v24
	v_add_nc_u32_e32 v17, 1, v2
	v_sub_nc_u32_e32 v32, v47, v32
	v_cmp_le_u32_e64 s1, s76, v12
	s_wait_alu 0xfffd
	v_cndmask_b32_e32 v16, v16, v25, vcc_lo
	v_subrev_nc_u32_e32 v25, s76, v24
	v_add_nc_u32_e32 v19, 1, v14
	s_wait_alu 0xf1ff
	v_cndmask_b32_e64 v2, v2, v17, s1
	s_delay_alu instid0(VALU_DEP_3) | instskip(NEXT) | instid1(VALU_DEP_3)
	v_dual_cndmask_b32 v12, v24, v25 :: v_dual_add_nc_u32 v17, 1, v16
	v_cndmask_b32_e64 v14, v14, v19, s0
	v_subrev_nc_u32_e32 v19, s77, v18
	v_cmp_le_u32_e32 vcc_lo, s76, v28
	v_subrev_nc_u32_e32 v24, s76, v28
	v_cmp_le_u32_e64 s1, s76, v30
	v_subrev_nc_u32_e32 v25, s76, v30
	v_cndmask_b32_e64 v18, v18, v19, s0
	s_wait_alu 0xfffd
	v_dual_cndmask_b32 v20, v20, v29 :: v_dual_add_nc_u32 v19, 1, v14
	v_xor_b32_e32 v2, v2, v3
	s_wait_alu 0xf1ff
	v_cndmask_b32_e64 v21, v21, v31, s1
	v_cmp_le_u32_e64 s2, s77, v18
	v_cndmask_b32_e64 v18, v30, v25, s1
	v_cmp_le_u32_e64 s0, s77, v26
	s_wait_alu 0xf1ff
	s_delay_alu instid0(VALU_DEP_3) | instskip(SKIP_2) | instid1(VALU_DEP_3)
	v_cndmask_b32_e64 v14, v14, v19, s2
	v_cmp_le_u32_e64 s2, s76, v12
	v_add_nc_u32_e32 v19, 1, v21
	v_xor_b32_e32 v14, v14, v6
	s_wait_alu 0xf1ff
	s_delay_alu instid0(VALU_DEP_3)
	v_cndmask_b32_e64 v12, v16, v17, s2
	v_cndmask_b32_e32 v16, v28, v24, vcc_lo
	v_add_nc_u32_e32 v17, 1, v20
	v_sub_nc_u32_e32 v24, v2, v3
	v_sub_nc_u32_e32 v14, v14, v6
	v_xor_b32_e32 v2, v12, v4
	v_cmp_le_u32_e32 vcc_lo, s76, v16
	s_delay_alu instid0(VALU_DEP_4) | instskip(SKIP_4) | instid1(VALU_DEP_3)
	v_mul_lo_u32 v16, v24, s33
	s_wait_alu 0xfffd
	v_cndmask_b32_e32 v3, v20, v17, vcc_lo
	v_cmp_le_u32_e32 vcc_lo, s76, v18
	v_sub_nc_u32_e32 v17, v2, v4
	v_xor_b32_e32 v2, v3, v5
	s_wait_alu 0xfffd
	v_cndmask_b32_e32 v12, v21, v19, vcc_lo
	s_delay_alu instid0(VALU_DEP_3)
	v_mul_lo_u32 v18, v17, s33
	v_cmp_le_u32_e32 vcc_lo, s77, v32
	v_add_nc_u32_e32 v27, 1, v7
	v_sub_nc_u32_e32 v19, v2, v5
	v_xor_b32_e32 v12, v12, v11
	v_sub_nc_u32_e32 v2, v36, v16
	s_wait_alu 0xfffd
	v_cndmask_b32_e32 v20, v22, v33, vcc_lo
	v_cndmask_b32_e64 v7, v7, v27, s0
	v_subrev_nc_u32_e32 v27, s77, v26
	v_sub_nc_u32_e32 v16, v12, v11
	v_sub_nc_u32_e32 v12, v1, v18
	v_add_nc_u32_e32 v2, v0, v2
	v_mul_lo_u32 v11, v19, s33
	v_cndmask_b32_e64 v3, v26, v27, s0
	v_mul_lo_u32 v21, v16, s33
	v_add_nc_u32_e32 v12, v0, v12
	v_mul_lo_u32 v2, v2, s13
	v_subrev_nc_u32_e32 v5, s77, v32
	v_cmp_le_u32_e64 s0, s77, v3
	v_add_nc_u32_e32 v4, 1, v7
	v_mul_lo_u32 v3, v12, s13
	v_sub_nc_u32_e32 v11, v39, v11
	v_cndmask_b32_e32 v25, v32, v5, vcc_lo
	v_subrev_nc_u32_e32 v18, s77, v34
	s_wait_alu 0xf1ff
	v_cndmask_b32_e64 v22, v7, v4, s0
	v_sub_nc_u32_e32 v7, v40, v21
	v_add_nc_u32_e32 v11, v0, v11
	v_add_nc_u32_e32 v21, 1, v20
	v_mad_co_u64_u32 v[4:5], null, v24, s12, v[2:3]
	s_delay_alu instid0(VALU_DEP_4) | instskip(NEXT) | instid1(VALU_DEP_4)
	v_add_nc_u32_e32 v5, v0, v7
	v_mul_lo_u32 v2, v11, s13
	v_cmp_le_u32_e64 s0, s77, v25
	s_delay_alu instid0(VALU_DEP_4) | instskip(NEXT) | instid1(VALU_DEP_4)
	v_mad_co_u64_u32 v[6:7], null, v17, s12, v[3:4]
	v_mul_lo_u32 v3, v5, s13
	v_ashrrev_i32_e32 v5, 31, v4
	v_mul_lo_u32 v17, v14, s70
	s_delay_alu instid0(VALU_DEP_4) | instskip(NEXT) | instid1(VALU_DEP_3)
	v_ashrrev_i32_e32 v7, 31, v6
	v_lshlrev_b64_e32 v[4:5], 3, v[4:5]
	v_mad_co_u64_u32 v[11:12], null, v19, s12, v[2:3]
	v_xor_b32_e32 v19, v22, v13
	s_delay_alu instid0(VALU_DEP_4)
	v_lshlrev_b64_e32 v[6:7], 3, v[6:7]
	v_sub_nc_u32_e32 v22, v36, v17
	v_mad_co_u64_u32 v[2:3], null, v16, s12, v[3:4]
	v_add_co_u32 v4, vcc_lo, s10, v4
	v_ashrrev_i32_e32 v12, 31, v11
	s_wait_alu 0xfffd
	v_add_co_ci_u32_e64 v5, null, s11, v5, vcc_lo
	v_add_co_u32 v6, vcc_lo, s10, v6
	s_delay_alu instid0(VALU_DEP_3) | instskip(SKIP_4) | instid1(VALU_DEP_4)
	v_lshlrev_b64_e32 v[11:12], 3, v[11:12]
	s_wait_alu 0xfffd
	v_add_co_ci_u32_e64 v7, null, s11, v7, vcc_lo
	v_sub_nc_u32_e32 v13, v19, v13
	v_mul_hi_u32 v19, v37, s93
	v_add_co_u32 v16, vcc_lo, s10, v11
	s_wait_alu 0xfffd
	v_add_co_ci_u32_e64 v17, null, s11, v12, vcc_lo
	v_cmp_le_u32_e32 vcc_lo, s77, v34
	s_wait_alu 0xf1ff
	v_cndmask_b32_e64 v11, v20, v21, s0
	v_xor_b32_e32 v21, s86, v44
	v_mul_lo_u32 v20, v13, s70
	s_wait_alu 0xfffd
	v_dual_cndmask_b32 v3, v23, v35 :: v_dual_cndmask_b32 v12, v34, v18
	v_xor_b32_e32 v11, v11, v15
	s_delay_alu instid0(VALU_DEP_2) | instskip(NEXT) | instid1(VALU_DEP_3)
	v_add_nc_u32_e32 v18, 1, v3
	v_cmp_le_u32_e32 vcc_lo, s77, v12
	s_delay_alu instid0(VALU_DEP_3)
	v_sub_nc_u32_e32 v15, v11, v15
	v_add_nc_u32_e32 v11, v0, v22
	v_sub_nc_u32_e32 v20, v1, v20
	s_wait_alu 0xfffd
	v_cndmask_b32_e32 v12, v3, v18, vcc_lo
	v_mul_lo_u32 v18, v19, s84
	v_mul_lo_u32 v11, v11, s17
	;; [unrolled: 1-line block ×3, first 2 shown]
	v_ashrrev_i32_e32 v3, 31, v2
	v_xor_b32_e32 v12, v12, v21
	v_add_nc_u32_e32 v20, v0, v20
	s_delay_alu instid0(VALU_DEP_3) | instskip(NEXT) | instid1(VALU_DEP_3)
	v_lshlrev_b64_e32 v[2:3], 3, v[2:3]
	v_sub_nc_u32_e32 v28, v12, v21
	v_sub_nc_u32_e32 v12, v37, v18
	v_add_nc_u32_e32 v18, 1, v19
	v_sub_nc_u32_e32 v21, v39, v22
	s_delay_alu instid0(VALU_DEP_4) | instskip(NEXT) | instid1(VALU_DEP_4)
	v_mul_lo_u32 v22, v28, s70
	v_subrev_nc_u32_e32 v23, s84, v12
	v_cmp_le_u32_e32 vcc_lo, s84, v12
	s_wait_alu 0xfffd
	v_cndmask_b32_e32 v24, v19, v18, vcc_lo
	v_mad_co_u64_u32 v[18:19], null, v14, s16, v[11:12]
	v_cndmask_b32_e32 v12, v12, v23, vcc_lo
	v_add_nc_u32_e32 v19, v0, v21
	s_delay_alu instid0(VALU_DEP_4)
	v_add_nc_u32_e32 v14, 1, v24
	v_mul_lo_u32 v11, v20, s17
	v_sub_nc_u32_e32 v20, v40, v22
	v_cmp_le_u32_e32 vcc_lo, s84, v12
	v_xor_b32_e32 v21, s92, v38
	v_mul_lo_u32 v12, v19, s17
	v_ashrrev_i32_e32 v19, 31, v18
	v_add_nc_u32_e32 v20, v0, v20
	s_wait_alu 0xfffd
	v_cndmask_b32_e32 v14, v24, v14, vcc_lo
	v_add_co_u32 v2, vcc_lo, s10, v2
	s_wait_alu 0xfffd
	v_add_co_ci_u32_e64 v3, null, s11, v3, vcc_lo
	s_delay_alu instid0(VALU_DEP_3) | instskip(SKIP_2) | instid1(VALU_DEP_3)
	v_xor_b32_e32 v14, v14, v21
	v_mad_co_u64_u32 v[22:23], null, v13, s16, v[11:12]
	v_mad_co_u64_u32 v[24:25], null, v15, s16, v[12:13]
	v_sub_nc_u32_e32 v29, v14, v21
	v_mul_lo_u32 v11, v20, s17
	s_clause 0x3
	global_load_b64 v[12:13], v[4:5], off
	global_load_b64 v[14:15], v[6:7], off
	;; [unrolled: 1-line block ×4, first 2 shown]
	v_lshlrev_b64_e32 v[4:5], 3, v[18:19]
	v_ashrrev_i32_e32 v23, 31, v22
	v_mad_co_u64_u32 v[26:27], null, s100, v29, v[0:1]
	v_ashrrev_i32_e32 v25, 31, v24
	s_delay_alu instid0(VALU_DEP_3) | instskip(SKIP_1) | instid1(VALU_DEP_3)
	v_lshlrev_b64_e32 v[18:19], 3, v[22:23]
	v_add_co_u32 v4, vcc_lo, s14, v4
	v_lshlrev_b64_e32 v[22:23], 3, v[24:25]
	v_mul_lo_u32 v6, v26, s23
	s_wait_alu 0xfffd
	v_add_co_ci_u32_e64 v5, null, s15, v5, vcc_lo
	v_add_co_u32 v18, vcc_lo, s14, v18
	s_wait_alu 0xfffd
	v_add_co_ci_u32_e64 v19, null, s15, v19, vcc_lo
	v_add_co_u32 v22, vcc_lo, s14, v22
	v_mad_co_u64_u32 v[6:7], null, v29, s22, v[6:7]
	s_wait_alu 0xfffd
	v_add_co_ci_u32_e64 v23, null, s15, v23, vcc_lo
	s_delay_alu instid0(VALU_DEP_2) | instskip(NEXT) | instid1(VALU_DEP_1)
	v_ashrrev_i32_e32 v7, 31, v6
	v_lshlrev_b64_e32 v[6:7], 3, v[6:7]
	s_wait_loadcnt 0x3
	v_mad_co_u64_u32 v[16:17], null, v28, s16, v[11:12]
	s_delay_alu instid0(VALU_DEP_1) | instskip(NEXT) | instid1(VALU_DEP_1)
	v_ashrrev_i32_e32 v17, 31, v16
	v_lshlrev_b64_e32 v[16:17], 3, v[16:17]
	s_delay_alu instid0(VALU_DEP_1) | instskip(SKIP_1) | instid1(VALU_DEP_2)
	v_add_co_u32 v24, vcc_lo, s14, v16
	s_wait_alu 0xfffd
	v_add_co_ci_u32_e64 v25, null, s15, v17, vcc_lo
	v_add_co_u32 v6, vcc_lo, s20, v6
	s_wait_alu 0xfffd
	v_add_co_ci_u32_e64 v7, null, s21, v7, vcc_lo
	s_clause 0x3
	global_load_b64 v[16:17], v[4:5], off
	global_load_b64 v[18:19], v[18:19], off
	global_load_b64 v[26:27], v[22:23], off
	global_load_b64 v[4:5], v[24:25], off
	global_load_b64 v[6:7], v[6:7], off
	s_and_not1_b32 vcc_lo, exec_lo, s74
	s_wait_alu 0xfffe
	s_cbranch_vccz .LBB1_2
; %bb.5:                                ;   in Loop: Header=BB1_4 Depth=1
	v_mov_b32_e32 v22, 0
	v_mov_b32_e32 v8, 0
	;; [unrolled: 1-line block ×3, first 2 shown]
	v_dual_mov_b32 v28, 0 :: v_dual_mov_b32 v23, 0
	v_dual_mov_b32 v32, 0 :: v_dual_mov_b32 v9, 0
	;; [unrolled: 1-line block ×5, first 2 shown]
	v_mov_b32_e32 v25, 0
	v_mov_b32_e32 v35, 0
	;; [unrolled: 1-line block ×3, first 2 shown]
	s_branch .LBB1_3
.LBB1_6:
	s_endpgm
	.section	.rodata,"a",@progbits
	.p2align	6, 0x0
	.amdhsa_kernel _ZN2at6native12_GLOBAL__N_16kernel17lstm_cell_forwardIddiLi2EEEvNS_4cuda6detail10TensorInfoIT_T1_EES9_S9_S9_S9_S9_S9_S9_S8_S8_
		.amdhsa_group_segment_fixed_size 0
		.amdhsa_private_segment_fixed_size 0
		.amdhsa_kernarg_size 1992
		.amdhsa_user_sgpr_count 2
		.amdhsa_user_sgpr_dispatch_ptr 0
		.amdhsa_user_sgpr_queue_ptr 0
		.amdhsa_user_sgpr_kernarg_segment_ptr 1
		.amdhsa_user_sgpr_dispatch_id 0
		.amdhsa_user_sgpr_private_segment_size 0
		.amdhsa_wavefront_size32 1
		.amdhsa_uses_dynamic_stack 0
		.amdhsa_enable_private_segment 0
		.amdhsa_system_sgpr_workgroup_id_x 1
		.amdhsa_system_sgpr_workgroup_id_y 0
		.amdhsa_system_sgpr_workgroup_id_z 0
		.amdhsa_system_sgpr_workgroup_info 0
		.amdhsa_system_vgpr_workitem_id 0
		.amdhsa_next_free_vgpr 67
		.amdhsa_next_free_sgpr 103
		.amdhsa_reserve_vcc 1
		.amdhsa_float_round_mode_32 0
		.amdhsa_float_round_mode_16_64 0
		.amdhsa_float_denorm_mode_32 3
		.amdhsa_float_denorm_mode_16_64 3
		.amdhsa_fp16_overflow 0
		.amdhsa_workgroup_processor_mode 1
		.amdhsa_memory_ordered 1
		.amdhsa_forward_progress 1
		.amdhsa_inst_pref_size 61
		.amdhsa_round_robin_scheduling 0
		.amdhsa_exception_fp_ieee_invalid_op 0
		.amdhsa_exception_fp_denorm_src 0
		.amdhsa_exception_fp_ieee_div_zero 0
		.amdhsa_exception_fp_ieee_overflow 0
		.amdhsa_exception_fp_ieee_underflow 0
		.amdhsa_exception_fp_ieee_inexact 0
		.amdhsa_exception_int_div_zero 0
	.end_amdhsa_kernel
	.section	.text._ZN2at6native12_GLOBAL__N_16kernel17lstm_cell_forwardIddiLi2EEEvNS_4cuda6detail10TensorInfoIT_T1_EES9_S9_S9_S9_S9_S9_S9_S8_S8_,"axG",@progbits,_ZN2at6native12_GLOBAL__N_16kernel17lstm_cell_forwardIddiLi2EEEvNS_4cuda6detail10TensorInfoIT_T1_EES9_S9_S9_S9_S9_S9_S9_S8_S8_,comdat
.Lfunc_end1:
	.size	_ZN2at6native12_GLOBAL__N_16kernel17lstm_cell_forwardIddiLi2EEEvNS_4cuda6detail10TensorInfoIT_T1_EES9_S9_S9_S9_S9_S9_S9_S8_S8_, .Lfunc_end1-_ZN2at6native12_GLOBAL__N_16kernel17lstm_cell_forwardIddiLi2EEEvNS_4cuda6detail10TensorInfoIT_T1_EES9_S9_S9_S9_S9_S9_S9_S8_S8_
                                        ; -- End function
	.set _ZN2at6native12_GLOBAL__N_16kernel17lstm_cell_forwardIddiLi2EEEvNS_4cuda6detail10TensorInfoIT_T1_EES9_S9_S9_S9_S9_S9_S9_S8_S8_.num_vgpr, 67
	.set _ZN2at6native12_GLOBAL__N_16kernel17lstm_cell_forwardIddiLi2EEEvNS_4cuda6detail10TensorInfoIT_T1_EES9_S9_S9_S9_S9_S9_S9_S8_S8_.num_agpr, 0
	.set _ZN2at6native12_GLOBAL__N_16kernel17lstm_cell_forwardIddiLi2EEEvNS_4cuda6detail10TensorInfoIT_T1_EES9_S9_S9_S9_S9_S9_S9_S8_S8_.numbered_sgpr, 103
	.set _ZN2at6native12_GLOBAL__N_16kernel17lstm_cell_forwardIddiLi2EEEvNS_4cuda6detail10TensorInfoIT_T1_EES9_S9_S9_S9_S9_S9_S9_S8_S8_.num_named_barrier, 0
	.set _ZN2at6native12_GLOBAL__N_16kernel17lstm_cell_forwardIddiLi2EEEvNS_4cuda6detail10TensorInfoIT_T1_EES9_S9_S9_S9_S9_S9_S9_S8_S8_.private_seg_size, 0
	.set _ZN2at6native12_GLOBAL__N_16kernel17lstm_cell_forwardIddiLi2EEEvNS_4cuda6detail10TensorInfoIT_T1_EES9_S9_S9_S9_S9_S9_S9_S8_S8_.uses_vcc, 1
	.set _ZN2at6native12_GLOBAL__N_16kernel17lstm_cell_forwardIddiLi2EEEvNS_4cuda6detail10TensorInfoIT_T1_EES9_S9_S9_S9_S9_S9_S9_S8_S8_.uses_flat_scratch, 0
	.set _ZN2at6native12_GLOBAL__N_16kernel17lstm_cell_forwardIddiLi2EEEvNS_4cuda6detail10TensorInfoIT_T1_EES9_S9_S9_S9_S9_S9_S9_S8_S8_.has_dyn_sized_stack, 0
	.set _ZN2at6native12_GLOBAL__N_16kernel17lstm_cell_forwardIddiLi2EEEvNS_4cuda6detail10TensorInfoIT_T1_EES9_S9_S9_S9_S9_S9_S9_S8_S8_.has_recursion, 0
	.set _ZN2at6native12_GLOBAL__N_16kernel17lstm_cell_forwardIddiLi2EEEvNS_4cuda6detail10TensorInfoIT_T1_EES9_S9_S9_S9_S9_S9_S9_S8_S8_.has_indirect_call, 0
	.section	.AMDGPU.csdata,"",@progbits
; Kernel info:
; codeLenInByte = 7700
; TotalNumSgprs: 105
; NumVgprs: 67
; ScratchSize: 0
; MemoryBound: 0
; FloatMode: 240
; IeeeMode: 1
; LDSByteSize: 0 bytes/workgroup (compile time only)
; SGPRBlocks: 0
; VGPRBlocks: 8
; NumSGPRsForWavesPerEU: 105
; NumVGPRsForWavesPerEU: 67
; Occupancy: 16
; WaveLimiterHint : 1
; COMPUTE_PGM_RSRC2:SCRATCH_EN: 0
; COMPUTE_PGM_RSRC2:USER_SGPR: 2
; COMPUTE_PGM_RSRC2:TRAP_HANDLER: 0
; COMPUTE_PGM_RSRC2:TGID_X_EN: 1
; COMPUTE_PGM_RSRC2:TGID_Y_EN: 0
; COMPUTE_PGM_RSRC2:TGID_Z_EN: 0
; COMPUTE_PGM_RSRC2:TIDIG_COMP_CNT: 0
	.section	.text._ZN2at6native12_GLOBAL__N_16kernel17lstm_cell_forwardIddlLi1EEEvNS_4cuda6detail10TensorInfoIT_T1_EES9_S9_S9_S9_S9_S9_S9_S8_S8_,"axG",@progbits,_ZN2at6native12_GLOBAL__N_16kernel17lstm_cell_forwardIddlLi1EEEvNS_4cuda6detail10TensorInfoIT_T1_EES9_S9_S9_S9_S9_S9_S9_S8_S8_,comdat
	.globl	_ZN2at6native12_GLOBAL__N_16kernel17lstm_cell_forwardIddlLi1EEEvNS_4cuda6detail10TensorInfoIT_T1_EES9_S9_S9_S9_S9_S9_S9_S8_S8_ ; -- Begin function _ZN2at6native12_GLOBAL__N_16kernel17lstm_cell_forwardIddlLi1EEEvNS_4cuda6detail10TensorInfoIT_T1_EES9_S9_S9_S9_S9_S9_S9_S8_S8_
	.p2align	8
	.type	_ZN2at6native12_GLOBAL__N_16kernel17lstm_cell_forwardIddlLi1EEEvNS_4cuda6detail10TensorInfoIT_T1_EES9_S9_S9_S9_S9_S9_S9_S8_S8_,@function
_ZN2at6native12_GLOBAL__N_16kernel17lstm_cell_forwardIddlLi1EEEvNS_4cuda6detail10TensorInfoIT_T1_EES9_S9_S9_S9_S9_S9_S9_S8_S8_: ; @_ZN2at6native12_GLOBAL__N_16kernel17lstm_cell_forwardIddlLi1EEEvNS_4cuda6detail10TensorInfoIT_T1_EES9_S9_S9_S9_S9_S9_S9_S8_S8_
; %bb.0:
	s_clause 0x1
	s_load_b32 s2, s[0:1], 0xd1c
	s_load_b128 s[4:7], s[0:1], 0xd00
	v_mov_b32_e32 v1, 0
	s_mov_b32 s3, exec_lo
	s_wait_kmcnt 0x0
	s_and_b32 s2, s2, 0xffff
	s_delay_alu instid0(VALU_DEP_1) | instid1(SALU_CYCLE_1)
	v_mad_co_u64_u32 v[3:4], null, ttmp9, s2, v[0:1]
	v_mov_b32_e32 v4, v1
	s_delay_alu instid0(VALU_DEP_1)
	v_cmpx_gt_i64_e64 s[6:7], v[3:4]
	s_cbranch_execz .LBB2_10
; %bb.1:
	s_clause 0x1
	s_load_b64 s[8:9], s[0:1], 0x340
	s_load_b64 s[36:37], s[0:1], 0x750
	s_add_nc_u64 s[10:11], s[0:1], 0xd10
	s_load_b32 s3, s[10:11], 0x0
	s_clause 0xd
	s_load_b64 s[38:39], s[0:1], 0x680
	s_load_b64 s[40:41], s[0:1], 0x8f0
	;; [unrolled: 1-line block ×14, first 2 shown]
	s_mov_b32 s48, 0x3b39803f
	s_mov_b32 s50, 0xfca7ab0c
	;; [unrolled: 1-line block ×5, first 2 shown]
	s_wait_kmcnt 0x0
	s_mul_i32 s28, s3, s2
	s_mov_b32 s3, 0
	v_mul_lo_u32 v11, 0, s40
	v_mul_lo_u32 v12, v3, s41
	v_mad_co_u64_u32 v[7:8], null, v3, s40, 0
	s_wait_alu 0xfffe
	s_mov_b32 s29, s3
	s_mov_b32 s58, 0x14761f6e
	v_mad_co_u64_u32 v[9:10], null, v3, s44, 0
	s_cmp_lg_u64 s[8:9], 0
	v_mul_lo_u32 v0, 0, s36
	v_mul_lo_u32 v2, v3, s37
	v_mad_co_u64_u32 v[5:6], null, v3, s36, 0
	v_add3_u32 v8, v8, v12, v11
	s_mul_u64 s[0:1], s[28:29], s[36:37]
	s_cselect_b32 s33, -1, 0
	s_wait_alu 0xfffe
	s_lshl_b64 s[36:37], s[0:1], 3
	s_mul_u64 s[0:1], s[28:29], s[40:41]
	v_lshlrev_b64_e32 v[7:8], 3, v[7:8]
	v_add3_u32 v6, v6, v2, v0
	v_mul_lo_u32 v0, 0, s44
	v_mul_lo_u32 v2, v3, s45
	s_mov_b32 s60, 0x1852b7b0
	s_mov_b32 s62, 0x11122322
	v_lshlrev_b64_e32 v[5:6], 3, v[5:6]
	s_mov_b32 s64, 0x555502a1
	s_mov_b32 s66, 0x55555511
	;; [unrolled: 1-line block ×4, first 2 shown]
	v_add3_u32 v10, v10, v2, v0
	v_cvt_f32_u32_e32 v0, s4
	v_add_co_u32 v5, vcc_lo, s38, v5
	s_delay_alu instid0(VALU_DEP_1) | instskip(NEXT) | instid1(VALU_DEP_3)
	v_add_co_ci_u32_e64 v6, null, s39, v6, vcc_lo
	v_rcp_iflag_f32_e32 v0, v0
	v_lshlrev_b64_e32 v[9:10], 3, v[9:10]
	v_add_co_u32 v7, vcc_lo, s42, v7
	s_wait_alu 0xfffd
	v_add_co_ci_u32_e64 v8, null, s43, v8, vcc_lo
	s_wait_alu 0xfffe
	s_lshl_b64 s[38:39], s[0:1], 3
	v_add_co_u32 v9, vcc_lo, s46, v9
	s_wait_alu 0xfffd
	v_add_co_ci_u32_e64 v10, null, s47, v10, vcc_lo
	v_mul_f32_e32 v0, 0x4f7ffffe, v0
	s_mul_u64 s[0:1], s[28:29], s[44:45]
	s_mov_b32 s44, 0x652b82fe
	s_mov_b32 s46, 0xfefa39ef
	;; [unrolled: 1-line block ×3, first 2 shown]
	v_cvt_u32_f32_e32 v0, v0
	s_mul_u64 s[30:31], s[4:5], 3
	s_sub_nc_u64 s[34:35], 0, s[4:5]
	s_wait_alu 0xfffe
	s_lshl_b64 s[40:41], s[0:1], 3
	s_ashr_i32 s42, s5, 31
	s_mov_b32 s45, 0xbff71547
	s_mov_b32 s47, 0xbfe62e42
	;; [unrolled: 1-line block ×18, first 2 shown]
	s_branch .LBB2_5
.LBB2_2:                                ;   in Loop: Header=BB2_5 Depth=1
	s_wait_alu 0xfffe
	s_or_b32 exec_lo, exec_lo, s0
	s_delay_alu instid0(VALU_DEP_1) | instskip(SKIP_3) | instid1(VALU_DEP_4)
	v_mad_co_u64_u32 v[16:17], null, v22, 3, 0
	v_mul_lo_u32 v14, s31, v22
	v_mad_co_u64_u32 v[11:12], null, s30, v22, v[3:4]
	v_mul_lo_u32 v2, s30, v23
	v_mov_b32_e32 v13, v17
	s_delay_alu instid0(VALU_DEP_3) | instskip(NEXT) | instid1(VALU_DEP_3)
	v_mul_lo_u32 v26, v11, s13
	v_add3_u32 v2, v14, v12, v2
	s_delay_alu instid0(VALU_DEP_3) | instskip(SKIP_4) | instid1(VALU_DEP_4)
	v_mad_co_u64_u32 v[17:18], null, v23, 3, v[13:14]
	v_add_co_u32 v12, vcc_lo, v16, 1
	v_add_co_u32 v13, s0, v16, 2
	v_mad_co_u64_u32 v[18:19], null, v11, s12, 0
	s_wait_alu 0xfffd
	v_add_co_ci_u32_e64 v20, null, 0, v17, vcc_lo
	v_mul_lo_u32 v21, s5, v12
	v_mad_co_u64_u32 v[14:15], null, s4, v12, v[3:4]
	s_delay_alu instid0(VALU_DEP_3)
	v_mul_lo_u32 v20, s4, v20
	v_add_co_u32 v16, vcc_lo, v16, 3
	s_wait_alu 0xf1ff
	v_add_co_ci_u32_e64 v24, null, 0, v17, s0
	s_wait_alu 0xfffd
	v_add_co_ci_u32_e64 v17, null, 0, v17, vcc_lo
	v_mul_lo_u32 v27, v2, s12
	v_add3_u32 v51, v21, v15, v20
	v_mul_lo_u32 v25, s5, v13
	v_mad_co_u64_u32 v[12:13], null, s4, v13, v[3:4]
	v_mul_lo_u32 v24, s4, v24
	v_mul_lo_u32 v28, v14, s13
	v_mad_co_u64_u32 v[20:21], null, v14, s12, 0
	v_mul_lo_u32 v29, v51, s12
	v_mul_lo_u32 v17, s4, v17
	;; [unrolled: 1-line block ×3, first 2 shown]
	v_mad_co_u64_u32 v[15:16], null, s4, v16, v[3:4]
	v_add3_u32 v13, v25, v13, v24
	v_add3_u32 v19, v19, v26, v27
	v_mul_lo_u32 v32, v12, s13
	v_add3_u32 v21, v21, v28, v29
	v_mad_co_u64_u32 v[24:25], null, v12, s12, 0
	v_add3_u32 v50, v30, v16, v17
	v_mul_lo_u32 v31, v13, s12
	v_lshlrev_b64_e32 v[16:17], 3, v[18:19]
	v_lshlrev_b64_e32 v[18:19], 3, v[20:21]
	v_mul_lo_u32 v27, v15, s13
	v_mul_lo_u32 v26, v50, s12
	v_mad_co_u64_u32 v[20:21], null, v15, s12, 0
	v_mul_lo_u32 v30, v11, s17
	v_add3_u32 v25, v25, v32, v31
	v_mul_lo_u32 v31, v2, s16
	v_mul_lo_u32 v32, v51, s16
	;; [unrolled: 1-line block ×3, first 2 shown]
	v_mad_co_u64_u32 v[28:29], null, v14, s16, 0
	v_add3_u32 v21, v21, v27, v26
	v_mad_co_u64_u32 v[26:27], null, v11, s16, 0
	v_mul_lo_u32 v34, v13, s16
	v_mul_lo_u32 v35, v12, s17
	v_lshlrev_b64_e32 v[24:25], 3, v[24:25]
	v_add3_u32 v29, v29, v33, v32
	v_mul_lo_u32 v38, v50, s16
	v_mul_lo_u32 v39, v15, s17
	v_add3_u32 v27, v27, v30, v31
	v_mad_co_u64_u32 v[30:31], null, v12, s16, 0
	v_mad_co_u64_u32 v[32:33], null, v15, s16, 0
	v_add_co_u32 v16, vcc_lo, s10, v16
	v_lshlrev_b64_e32 v[20:21], 3, v[20:21]
	s_wait_alu 0xfffd
	v_add_co_ci_u32_e64 v17, null, s11, v17, vcc_lo
	v_add_co_u32 v18, vcc_lo, s10, v18
	v_lshlrev_b64_e32 v[26:27], 3, v[26:27]
	s_wait_alu 0xfffd
	v_add_co_ci_u32_e64 v19, null, s11, v19, vcc_lo
	v_add_co_u32 v24, vcc_lo, s10, v24
	v_lshlrev_b64_e32 v[28:29], 3, v[28:29]
	v_add3_u32 v31, v31, v35, v34
	s_wait_alu 0xfffd
	v_add_co_ci_u32_e64 v25, null, s11, v25, vcc_lo
	v_add_co_u32 v20, vcc_lo, s10, v20
	v_add3_u32 v33, v33, v39, v38
	s_wait_alu 0xfffd
	v_add_co_ci_u32_e64 v21, null, s11, v21, vcc_lo
	v_add_co_u32 v36, vcc_lo, s14, v26
	s_wait_alu 0xfffd
	v_add_co_ci_u32_e64 v37, null, s15, v27, vcc_lo
	v_lshlrev_b64_e32 v[26:27], 3, v[30:31]
	v_add_co_u32 v38, vcc_lo, s14, v28
	s_wait_alu 0xfffd
	v_add_co_ci_u32_e64 v39, null, s15, v29, vcc_lo
	v_lshlrev_b64_e32 v[28:29], 3, v[32:33]
	s_delay_alu instid0(VALU_DEP_4) | instskip(SKIP_2) | instid1(VALU_DEP_3)
	v_add_co_u32 v40, vcc_lo, s14, v26
	s_wait_alu 0xfffd
	v_add_co_ci_u32_e64 v41, null, s15, v27, vcc_lo
	v_add_co_u32 v42, vcc_lo, s14, v28
	s_wait_alu 0xfffd
	v_add_co_ci_u32_e64 v43, null, s15, v29, vcc_lo
	s_clause 0x3
	global_load_b64 v[26:27], v[16:17], off
	global_load_b64 v[28:29], v[18:19], off
	;; [unrolled: 1-line block ×4, first 2 shown]
	s_clause 0x3
	global_load_b64 v[30:31], v[36:37], off
	global_load_b64 v[32:33], v[38:39], off
	;; [unrolled: 1-line block ×5, first 2 shown]
	s_and_not1_b32 vcc_lo, exec_lo, s33
	s_wait_alu 0xfffe
	s_cbranch_vccnz .LBB2_9
; %bb.3:                                ;   in Loop: Header=BB2_5 Depth=1
	v_sub_co_u32 v38, vcc_lo, 1, v22
	s_wait_alu 0xfffd
	v_sub_co_ci_u32_e64 v39, null, 0, v23, vcc_lo
	v_mad_co_u64_u32 v[24:25], null, s34, v22, v[3:4]
	v_mul_lo_u32 v40, s34, v23
	v_mul_lo_u32 v41, s35, v22
	s_delay_alu instid0(VALU_DEP_4)
	v_mul_lo_u32 v42, s4, v39
	v_mul_lo_u32 v43, s5, v38
	v_mad_co_u64_u32 v[38:39], null, s4, v38, v[3:4]
	v_mul_lo_u32 v46, v24, s19
	v_add3_u32 v25, v41, v25, v40
	v_sub_co_u32 v41, vcc_lo, 2, v22
	s_delay_alu instid0(VALU_DEP_4) | instskip(SKIP_2) | instid1(VALU_DEP_3)
	v_add3_u32 v52, v43, v39, v42
	s_wait_alu 0xfffd
	v_sub_co_ci_u32_e64 v42, null, 0, v23, vcc_lo
	v_mul_lo_u32 v44, s5, v41
	v_sub_co_u32 v45, vcc_lo, 3, v22
	s_delay_alu instid0(VALU_DEP_3)
	v_mul_lo_u32 v43, s4, v42
	v_mad_co_u64_u32 v[41:42], null, s4, v41, v[3:4]
	s_wait_alu 0xfffd
	v_sub_co_ci_u32_e64 v49, null, 0, v23, vcc_lo
	v_mul_lo_u32 v55, s5, v45
	v_mul_lo_u32 v47, v25, s18
	v_mad_co_u64_u32 v[39:40], null, v24, s18, 0
	v_add3_u32 v54, v44, v42, v43
	v_mul_lo_u32 v49, s4, v49
	v_mad_co_u64_u32 v[42:43], null, s4, v45, v[3:4]
	v_mul_lo_u32 v48, v52, s18
	v_mul_lo_u32 v53, v38, s19
	v_mad_co_u64_u32 v[22:23], null, v38, s18, 0
	v_mul_lo_u32 v56, v54, s18
	v_mul_lo_u32 v57, v41, s19
	v_mad_co_u64_u32 v[44:45], null, v41, s18, 0
	v_add3_u32 v55, v55, v43, v49
	v_add3_u32 v40, v40, v46, v47
	;; [unrolled: 1-line block ×3, first 2 shown]
	v_mul_lo_u32 v49, v42, s19
	v_mad_co_u64_u32 v[46:47], null, v42, s18, 0
	v_add3_u32 v45, v45, v57, v56
	v_mul_lo_u32 v48, v55, s18
	v_lshlrev_b64_e32 v[39:40], 3, v[39:40]
	v_lshlrev_b64_e32 v[22:23], 3, v[22:23]
	v_mul_lo_u32 v56, v25, s22
	v_lshlrev_b64_e32 v[43:44], 3, v[44:45]
	v_mul_lo_u32 v57, v52, s22
	v_mul_lo_u32 v58, v38, s23
	v_add_co_u32 v39, vcc_lo, s8, v39
	v_add3_u32 v47, v47, v49, v48
	s_wait_alu 0xfffd
	v_add_co_ci_u32_e64 v40, null, s9, v40, vcc_lo
	v_add_co_u32 v22, vcc_lo, s8, v22
	s_wait_alu 0xfffd
	v_add_co_ci_u32_e64 v23, null, s9, v23, vcc_lo
	v_add_co_u32 v48, vcc_lo, s8, v43
	s_wait_alu 0xfffd
	v_add_co_ci_u32_e64 v49, null, s9, v44, vcc_lo
	v_lshlrev_b64_e32 v[43:44], 3, v[46:47]
	v_mul_lo_u32 v47, v24, s23
	v_mad_co_u64_u32 v[24:25], null, v24, s22, 0
	v_mad_co_u64_u32 v[45:46], null, v38, s22, 0
	s_delay_alu instid0(VALU_DEP_4) | instskip(SKIP_2) | instid1(VALU_DEP_4)
	v_add_co_u32 v52, vcc_lo, s8, v43
	s_wait_alu 0xfffd
	v_add_co_ci_u32_e64 v53, null, s9, v44, vcc_lo
	v_add3_u32 v25, v25, v47, v56
	v_mul_lo_u32 v38, v54, s22
	v_mul_lo_u32 v47, v41, s23
	v_mad_co_u64_u32 v[43:44], null, v41, s22, 0
	v_add3_u32 v46, v46, v58, v57
	v_mul_lo_u32 v56, v55, s22
	v_mul_lo_u32 v57, v42, s23
	v_mad_co_u64_u32 v[41:42], null, v42, s22, 0
	v_lshlrev_b64_e32 v[24:25], 3, v[24:25]
	v_add3_u32 v44, v44, v47, v38
	v_lshlrev_b64_e32 v[45:46], 3, v[45:46]
	s_delay_alu instid0(VALU_DEP_4) | instskip(NEXT) | instid1(VALU_DEP_4)
	v_add3_u32 v42, v42, v57, v56
	v_add_co_u32 v54, vcc_lo, s20, v24
	s_wait_alu 0xfffd
	v_add_co_ci_u32_e64 v55, null, s21, v25, vcc_lo
	v_lshlrev_b64_e32 v[24:25], 3, v[43:44]
	v_lshlrev_b64_e32 v[41:42], 3, v[41:42]
	v_add_co_u32 v56, vcc_lo, s20, v45
	s_wait_alu 0xfffd
	v_add_co_ci_u32_e64 v57, null, s21, v46, vcc_lo
	s_delay_alu instid0(VALU_DEP_4)
	v_add_co_u32 v46, vcc_lo, s20, v24
	s_wait_alu 0xfffd
	v_add_co_ci_u32_e64 v47, null, s21, v25, vcc_lo
	v_add_co_u32 v58, vcc_lo, s20, v41
	s_wait_alu 0xfffd
	v_add_co_ci_u32_e64 v59, null, s21, v42, vcc_lo
	s_clause 0x3
	global_load_b64 v[44:45], v[39:40], off
	global_load_b64 v[42:43], v[22:23], off
	global_load_b64 v[48:49], v[48:49], off
	global_load_b64 v[24:25], v[52:53], off
	s_clause 0x3
	global_load_b64 v[40:41], v[54:55], off
	global_load_b64 v[38:39], v[56:57], off
	;; [unrolled: 1-line block ×4, first 2 shown]
.LBB2_4:                                ;   in Loop: Header=BB2_5 Depth=1
	s_wait_loadcnt 0x2
	v_add_f64_e32 v[34:35], v[34:35], v[36:37]
	s_mov_b32 s70, s44
	s_mov_b32 s73, s47
	v_add_f64_e32 v[26:27], v[26:27], v[30:31]
	v_add_f64_e32 v[28:29], v[28:29], v[32:33]
	s_wait_loadcnt 0x1
	v_add_f64_e32 v[16:17], v[16:17], v[18:19]
	v_mul_lo_u32 v2, v2, s26
	v_add_f64_e32 v[34:35], v[34:35], v[48:49]
	v_add_f64_e32 v[26:27], v[26:27], v[44:45]
	v_add_f64_e32 v[28:29], v[28:29], v[42:43]
	v_add_f64_e32 v[16:17], v[16:17], v[24:25]
	s_delay_alu instid0(VALU_DEP_4) | instskip(NEXT) | instid1(VALU_DEP_4)
	v_add_f64_e32 v[34:35], v[46:47], v[34:35]
	v_add_f64_e32 v[26:27], v[40:41], v[26:27]
	s_delay_alu instid0(VALU_DEP_4) | instskip(SKIP_1) | instid1(VALU_DEP_4)
	v_add_f64_e32 v[28:29], v[38:39], v[28:29]
	s_wait_loadcnt 0x0
	v_add_f64_e32 v[16:17], v[22:23], v[16:17]
	s_wait_alu 0xfffe
	s_delay_alu instid0(VALU_DEP_4) | instskip(NEXT) | instid1(VALU_DEP_4)
	v_mul_f64_e64 v[36:37], |v[34:35]|, s[70:71]
	v_mul_f64_e32 v[38:39], s[44:45], v[26:27]
	s_delay_alu instid0(VALU_DEP_4)
	v_mul_f64_e32 v[40:41], s[44:45], v[28:29]
	v_cmp_nlt_f64_e64 s1, 0x4090cc00, v[26:27]
	v_cmp_ngt_f64_e64 s2, 0xc0900000, v[28:29]
	v_rndne_f64_e32 v[36:37], v[36:37]
	v_rndne_f64_e32 v[38:39], v[38:39]
	;; [unrolled: 1-line block ×3, first 2 shown]
	s_delay_alu instid0(VALU_DEP_3) | instskip(SKIP_1) | instid1(VALU_DEP_3)
	v_fma_f64 v[46:47], v[36:37], s[72:73], |v[34:35]|
	v_mul_f64_e32 v[48:49], s[74:75], v[36:37]
	v_fma_f64 v[44:45], v[40:41], s[46:47], -v[28:29]
	s_delay_alu instid0(VALU_DEP_3) | instskip(NEXT) | instid1(VALU_DEP_2)
	v_add_f64_e32 v[52:53], 0, v[46:47]
	v_fma_f64 v[44:45], v[40:41], s[48:49], v[44:45]
	s_delay_alu instid0(VALU_DEP_2) | instskip(SKIP_1) | instid1(VALU_DEP_2)
	v_add_f64_e64 v[54:55], v[52:53], -v[48:49]
	v_add_f64_e64 v[46:47], v[46:47], -v[52:53]
	;; [unrolled: 1-line block ×3, first 2 shown]
	s_delay_alu instid0(VALU_DEP_2) | instskip(NEXT) | instid1(VALU_DEP_2)
	v_add_f64_e32 v[46:47], 0, v[46:47]
	v_add_f64_e64 v[48:49], v[52:53], -v[48:49]
	s_delay_alu instid0(VALU_DEP_1) | instskip(SKIP_1) | instid1(VALU_DEP_2)
	v_add_f64_e32 v[46:47], v[46:47], v[48:49]
	v_mul_f64_e32 v[48:49], s[76:77], v[36:37]
	v_add_f64_e32 v[52:53], v[54:55], v[46:47]
	s_delay_alu instid0(VALU_DEP_1) | instskip(SKIP_1) | instid1(VALU_DEP_2)
	v_add_f64_e64 v[56:57], v[52:53], -v[48:49]
	v_add_f64_e64 v[54:55], v[54:55], -v[52:53]
	;; [unrolled: 1-line block ×3, first 2 shown]
	s_delay_alu instid0(VALU_DEP_2) | instskip(NEXT) | instid1(VALU_DEP_2)
	v_add_f64_e32 v[46:47], v[46:47], v[54:55]
	v_add_f64_e64 v[48:49], v[52:53], -v[48:49]
	s_delay_alu instid0(VALU_DEP_1) | instskip(NEXT) | instid1(VALU_DEP_1)
	v_add_f64_e32 v[46:47], v[46:47], v[48:49]
	v_add_f64_e32 v[48:49], v[56:57], v[46:47]
	s_delay_alu instid0(VALU_DEP_1) | instskip(SKIP_2) | instid1(VALU_DEP_3)
	v_fma_f64 v[52:53], v[48:49], s[52:53], s[50:51]
	v_add_f64_e64 v[54:55], v[56:57], -v[48:49]
	v_mul_f64_e32 v[56:57], v[48:49], v[48:49]
	v_fma_f64 v[52:53], v[48:49], v[52:53], s[54:55]
	s_delay_alu instid0(VALU_DEP_3) | instskip(NEXT) | instid1(VALU_DEP_3)
	v_add_f64_e32 v[46:47], v[46:47], v[54:55]
	v_fma_f64 v[54:55], v[48:49], v[48:49], -v[56:57]
	s_delay_alu instid0(VALU_DEP_3) | instskip(NEXT) | instid1(VALU_DEP_3)
	v_fma_f64 v[52:53], v[48:49], v[52:53], s[56:57]
	v_add_f64_e32 v[58:59], v[46:47], v[46:47]
	s_delay_alu instid0(VALU_DEP_2) | instskip(NEXT) | instid1(VALU_DEP_2)
	v_fma_f64 v[52:53], v[48:49], v[52:53], s[58:59]
	v_fma_f64 v[54:55], v[48:49], v[58:59], v[54:55]
	s_delay_alu instid0(VALU_DEP_2) | instskip(NEXT) | instid1(VALU_DEP_2)
	v_fma_f64 v[52:53], v[48:49], v[52:53], s[60:61]
	v_add_f64_e32 v[58:59], v[56:57], v[54:55]
	s_delay_alu instid0(VALU_DEP_2) | instskip(NEXT) | instid1(VALU_DEP_2)
	v_fma_f64 v[52:53], v[48:49], v[52:53], s[62:63]
	v_add_f64_e64 v[56:57], v[58:59], -v[56:57]
	s_delay_alu instid0(VALU_DEP_2) | instskip(NEXT) | instid1(VALU_DEP_2)
	v_fma_f64 v[52:53], v[48:49], v[52:53], s[64:65]
	v_add_f64_e64 v[54:55], v[54:55], -v[56:57]
	s_delay_alu instid0(VALU_DEP_2) | instskip(NEXT) | instid1(VALU_DEP_1)
	v_fma_f64 v[52:53], v[48:49], v[52:53], s[66:67]
	v_fma_f64 v[52:53], v[48:49], v[52:53], s[68:69]
	s_delay_alu instid0(VALU_DEP_1) | instskip(NEXT) | instid1(VALU_DEP_1)
	v_mul_f64_e32 v[60:61], v[58:59], v[52:53]
	v_fma_f64 v[56:57], v[58:59], v[52:53], -v[60:61]
	s_delay_alu instid0(VALU_DEP_1) | instskip(NEXT) | instid1(VALU_DEP_1)
	v_fma_f64 v[52:53], v[54:55], v[52:53], v[56:57]
	v_add_f64_e32 v[54:55], v[60:61], v[52:53]
	s_delay_alu instid0(VALU_DEP_1) | instskip(SKIP_1) | instid1(VALU_DEP_2)
	v_add_f64_e32 v[56:57], v[48:49], v[54:55]
	v_add_f64_e64 v[58:59], v[54:55], -v[60:61]
	v_add_f64_e64 v[48:49], v[56:57], -v[48:49]
	s_delay_alu instid0(VALU_DEP_2) | instskip(SKIP_1) | instid1(VALU_DEP_3)
	v_add_f64_e64 v[52:53], v[52:53], -v[58:59]
	v_cvt_i32_f64_e32 v58, v[36:37]
	v_add_f64_e64 v[48:49], v[54:55], -v[48:49]
	s_delay_alu instid0(VALU_DEP_3) | instskip(NEXT) | instid1(VALU_DEP_1)
	v_add_f64_e32 v[46:47], v[46:47], v[52:53]
	v_add_f64_e32 v[46:47], v[46:47], v[48:49]
	s_delay_alu instid0(VALU_DEP_1) | instskip(NEXT) | instid1(VALU_DEP_1)
	v_add_f64_e32 v[48:49], v[56:57], v[46:47]
	v_add_f64_e32 v[52:53], 1.0, v[48:49]
	v_add_f64_e64 v[54:55], v[48:49], -v[56:57]
	s_delay_alu instid0(VALU_DEP_2) | instskip(NEXT) | instid1(VALU_DEP_2)
	v_add_f64_e32 v[56:57], -1.0, v[52:53]
	v_add_f64_e64 v[46:47], v[46:47], -v[54:55]
	s_delay_alu instid0(VALU_DEP_2) | instskip(NEXT) | instid1(VALU_DEP_1)
	v_add_f64_e64 v[48:49], v[48:49], -v[56:57]
	v_add_f64_e32 v[46:47], v[46:47], v[48:49]
	s_delay_alu instid0(VALU_DEP_1) | instskip(NEXT) | instid1(VALU_DEP_1)
	v_add_f64_e32 v[36:37], v[52:53], v[46:47]
	v_ldexp_f64 v[48:49], v[36:37], v58
	v_add_f64_e64 v[36:37], v[36:37], -v[52:53]
	s_delay_alu instid0(VALU_DEP_2) | instskip(NEXT) | instid1(VALU_DEP_1)
	v_rcp_f64_e32 v[54:55], v[48:49]
	v_add_f64_e64 v[36:37], v[46:47], -v[36:37]
	s_delay_alu instid0(VALU_DEP_1) | instskip(NEXT) | instid1(TRANS32_DEP_1)
	v_ldexp_f64 v[36:37], v[36:37], v58
	v_fma_f64 v[56:57], -v[48:49], v[54:55], 1.0
	s_delay_alu instid0(VALU_DEP_1) | instskip(NEXT) | instid1(VALU_DEP_1)
	v_fma_f64 v[54:55], v[56:57], v[54:55], v[54:55]
	v_fma_f64 v[56:57], -v[48:49], v[54:55], 1.0
	s_delay_alu instid0(VALU_DEP_1) | instskip(NEXT) | instid1(VALU_DEP_1)
	v_fma_f64 v[52:53], v[56:57], v[54:55], v[54:55]
	v_mul_f64_e32 v[46:47], v[48:49], v[52:53]
	s_delay_alu instid0(VALU_DEP_1) | instskip(NEXT) | instid1(VALU_DEP_1)
	v_fma_f64 v[54:55], v[52:53], v[48:49], -v[46:47]
	v_fma_f64 v[54:55], v[52:53], v[36:37], v[54:55]
	s_delay_alu instid0(VALU_DEP_1) | instskip(NEXT) | instid1(VALU_DEP_1)
	v_add_f64_e32 v[56:57], v[46:47], v[54:55]
	v_add_f64_e64 v[58:59], -v[56:57], 1.0
	v_add_f64_e64 v[46:47], v[56:57], -v[46:47]
	s_delay_alu instid0(VALU_DEP_2) | instskip(NEXT) | instid1(VALU_DEP_2)
	v_add_f64_e64 v[60:61], -v[58:59], 1.0
	v_add_f64_e64 v[46:47], v[46:47], -v[54:55]
	s_delay_alu instid0(VALU_DEP_2) | instskip(NEXT) | instid1(VALU_DEP_1)
	v_add_f64_e64 v[54:55], v[60:61], -v[56:57]
	v_add_f64_e32 v[46:47], v[46:47], v[54:55]
	s_delay_alu instid0(VALU_DEP_1) | instskip(NEXT) | instid1(VALU_DEP_1)
	v_add_f64_e32 v[54:55], v[58:59], v[46:47]
	v_mul_f64_e32 v[56:57], v[52:53], v[54:55]
	v_add_f64_e64 v[58:59], v[58:59], -v[54:55]
	s_delay_alu instid0(VALU_DEP_2) | instskip(NEXT) | instid1(VALU_DEP_2)
	v_mul_f64_e32 v[60:61], v[48:49], v[56:57]
	v_add_f64_e32 v[46:47], v[46:47], v[58:59]
	v_add_f64_e32 v[42:43], v[52:53], v[56:57]
	s_delay_alu instid0(VALU_DEP_3) | instskip(NEXT) | instid1(VALU_DEP_1)
	v_fma_f64 v[62:63], v[56:57], v[48:49], -v[60:61]
	v_fma_f64 v[62:63], v[56:57], v[36:37], v[62:63]
	s_delay_alu instid0(VALU_DEP_1) | instskip(NEXT) | instid1(VALU_DEP_1)
	v_add_f64_e32 v[64:65], v[60:61], v[62:63]
	v_add_f64_e64 v[66:67], v[54:55], -v[64:65]
	v_add_f64_e64 v[58:59], v[64:65], -v[60:61]
	s_delay_alu instid0(VALU_DEP_2) | instskip(NEXT) | instid1(VALU_DEP_2)
	v_add_f64_e64 v[54:55], v[54:55], -v[66:67]
	v_add_f64_e64 v[30:31], v[58:59], -v[62:63]
	s_delay_alu instid0(VALU_DEP_2) | instskip(NEXT) | instid1(VALU_DEP_1)
	v_add_f64_e64 v[54:55], v[54:55], -v[64:65]
	v_add_f64_e32 v[32:33], v[46:47], v[54:55]
	s_delay_alu instid0(VALU_DEP_1) | instskip(SKIP_1) | instid1(VALU_DEP_2)
	v_add_f64_e32 v[30:31], v[30:31], v[32:33]
	v_add_f64_e64 v[32:33], v[42:43], -v[52:53]
	v_add_f64_e32 v[30:31], v[66:67], v[30:31]
	s_delay_alu instid0(VALU_DEP_2) | instskip(SKIP_1) | instid1(VALU_DEP_3)
	v_add_f64_e64 v[32:33], v[56:57], -v[32:33]
	v_fma_f64 v[56:57], v[44:45], s[52:53], s[50:51]
	v_mul_f64_e32 v[30:31], v[52:53], v[30:31]
	s_delay_alu instid0(VALU_DEP_1) | instskip(SKIP_1) | instid1(VALU_DEP_2)
	v_add_f64_e32 v[30:31], v[32:33], v[30:31]
	v_fma_f64 v[32:33], v[38:39], s[46:47], -v[26:27]
	v_add_f64_e32 v[46:47], v[42:43], v[30:31]
	s_delay_alu instid0(VALU_DEP_2) | instskip(NEXT) | instid1(VALU_DEP_2)
	v_fma_f64 v[32:33], v[38:39], s[48:49], v[32:33]
	v_add_f64_e32 v[52:53], v[48:49], v[46:47]
	v_add_f64_e64 v[42:43], v[46:47], -v[42:43]
	s_delay_alu instid0(VALU_DEP_3) | instskip(SKIP_1) | instid1(VALU_DEP_4)
	v_fma_f64 v[54:55], v[32:33], s[52:53], s[50:51]
	v_add_f64_e64 v[60:61], v[48:49], -v[46:47]
	v_add_f64_e64 v[58:59], v[52:53], -v[48:49]
	s_delay_alu instid0(VALU_DEP_4) | instskip(NEXT) | instid1(VALU_DEP_4)
	v_add_f64_e64 v[30:31], v[30:31], -v[42:43]
	v_fma_f64 v[42:43], v[32:33], v[54:55], s[54:55]
	v_fma_f64 v[54:55], v[44:45], v[56:57], s[54:55]
	v_add_f64_e64 v[48:49], v[48:49], -v[60:61]
	v_add_f64_e64 v[56:57], v[46:47], -v[58:59]
	v_add_f64_e32 v[58:59], v[36:37], v[30:31]
	v_fma_f64 v[42:43], v[32:33], v[42:43], s[56:57]
	v_fma_f64 v[54:55], v[44:45], v[54:55], s[56:57]
	v_add_f64_e64 v[46:47], v[48:49], -v[46:47]
	s_delay_alu instid0(VALU_DEP_4) | instskip(NEXT) | instid1(VALU_DEP_4)
	v_add_f64_e32 v[56:57], v[58:59], v[56:57]
	v_fma_f64 v[42:43], v[32:33], v[42:43], s[58:59]
	s_delay_alu instid0(VALU_DEP_4) | instskip(NEXT) | instid1(VALU_DEP_4)
	v_fma_f64 v[54:55], v[44:45], v[54:55], s[58:59]
	v_add_f64_e32 v[36:37], v[36:37], v[46:47]
	s_delay_alu instid0(VALU_DEP_4) | instskip(NEXT) | instid1(VALU_DEP_4)
	v_add_f64_e32 v[58:59], v[52:53], v[56:57]
	v_fma_f64 v[42:43], v[32:33], v[42:43], s[60:61]
	s_delay_alu instid0(VALU_DEP_4) | instskip(NEXT) | instid1(VALU_DEP_4)
	v_fma_f64 v[54:55], v[44:45], v[54:55], s[60:61]
	v_add_f64_e64 v[30:31], v[36:37], -v[30:31]
	s_delay_alu instid0(VALU_DEP_4) | instskip(NEXT) | instid1(VALU_DEP_3)
	v_rcp_f64_e32 v[62:63], v[58:59]
	v_fma_f64 v[42:43], v[32:33], v[42:43], s[62:63]
	s_delay_alu instid0(VALU_DEP_3) | instskip(NEXT) | instid1(VALU_DEP_2)
	v_fma_f64 v[54:55], v[44:45], v[54:55], s[62:63]
	v_fma_f64 v[42:43], v[32:33], v[42:43], s[64:65]
	s_delay_alu instid0(TRANS32_DEP_1) | instskip(NEXT) | instid1(VALU_DEP_3)
	v_fma_f64 v[48:49], -v[58:59], v[62:63], 1.0
	v_fma_f64 v[54:55], v[44:45], v[54:55], s[64:65]
	s_delay_alu instid0(VALU_DEP_3) | instskip(NEXT) | instid1(VALU_DEP_3)
	v_fma_f64 v[42:43], v[32:33], v[42:43], s[66:67]
	v_fma_f64 v[46:47], v[48:49], v[62:63], v[62:63]
	s_delay_alu instid0(VALU_DEP_3)
	v_fma_f64 v[48:49], v[44:45], v[54:55], s[66:67]
	v_add_f64_e32 v[54:55], v[60:61], v[30:31]
	v_cvt_i32_f64_e32 v62, v[38:39]
	v_cvt_i32_f64_e32 v63, v[40:41]
	v_add_f64_e64 v[40:41], v[58:59], -v[52:53]
	v_fma_f64 v[42:43], v[32:33], v[42:43], s[68:69]
	v_fma_f64 v[36:37], -v[58:59], v[46:47], 1.0
	v_fma_f64 v[48:49], v[44:45], v[48:49], s[68:69]
	s_delay_alu instid0(VALU_DEP_4) | instskip(NEXT) | instid1(VALU_DEP_4)
	v_add_f64_e64 v[40:41], v[56:57], -v[40:41]
	v_fma_f64 v[42:43], v[32:33], v[42:43], 1.0
	s_delay_alu instid0(VALU_DEP_4) | instskip(NEXT) | instid1(VALU_DEP_4)
	v_fma_f64 v[36:37], v[36:37], v[46:47], v[46:47]
	v_fma_f64 v[46:47], v[44:45], v[48:49], 1.0
	s_delay_alu instid0(VALU_DEP_3) | instskip(NEXT) | instid1(VALU_DEP_3)
	v_fma_f64 v[32:33], v[32:33], v[42:43], 1.0
	v_mul_f64_e32 v[48:49], v[54:55], v[36:37]
	s_delay_alu instid0(VALU_DEP_3) | instskip(NEXT) | instid1(VALU_DEP_3)
	v_fma_f64 v[38:39], v[44:45], v[46:47], 1.0
	v_ldexp_f64 v[32:33], v[32:33], v62
	s_delay_alu instid0(VALU_DEP_3) | instskip(NEXT) | instid1(VALU_DEP_3)
	v_mul_f64_e32 v[42:43], v[58:59], v[48:49]
	v_ldexp_f64 v[38:39], v[38:39], v63
	s_delay_alu instid0(VALU_DEP_3) | instskip(NEXT) | instid1(VALU_DEP_3)
	v_add_f64_e32 v[32:33], 1.0, v[32:33]
	v_fma_f64 v[44:45], v[48:49], v[58:59], -v[42:43]
	s_delay_alu instid0(VALU_DEP_3) | instskip(NEXT) | instid1(VALU_DEP_2)
	v_add_f64_e32 v[38:39], 1.0, v[38:39]
	v_fma_f64 v[40:41], v[48:49], v[40:41], v[44:45]
	s_delay_alu instid0(VALU_DEP_4) | instskip(NEXT) | instid1(VALU_DEP_3)
	v_div_scale_f64 v[44:45], null, v[32:33], v[32:33], 1.0
	v_div_scale_f64 v[46:47], null, v[38:39], v[38:39], 1.0
	s_delay_alu instid0(VALU_DEP_3) | instskip(NEXT) | instid1(VALU_DEP_3)
	v_add_f64_e32 v[52:53], v[42:43], v[40:41]
	v_rcp_f64_e32 v[56:57], v[44:45]
	s_delay_alu instid0(VALU_DEP_2) | instskip(NEXT) | instid1(VALU_DEP_1)
	v_rcp_f64_e32 v[58:59], v[46:47]
	v_add_f64_e64 v[62:63], v[54:55], -v[52:53]
	v_add_f64_e64 v[42:43], v[52:53], -v[42:43]
	s_delay_alu instid0(TRANS32_DEP_2) | instskip(NEXT) | instid1(TRANS32_DEP_1)
	v_fma_f64 v[64:65], -v[44:45], v[56:57], 1.0
	v_fma_f64 v[66:67], -v[46:47], v[58:59], 1.0
	s_delay_alu instid0(VALU_DEP_4)
	v_add_f64_e64 v[68:69], v[54:55], -v[62:63]
	v_add_f64_e64 v[54:55], v[54:55], -v[60:61]
	;; [unrolled: 1-line block ×3, first 2 shown]
	v_fma_f64 v[56:57], v[56:57], v[64:65], v[56:57]
	v_fma_f64 v[58:59], v[58:59], v[66:67], v[58:59]
	v_add_f64_e64 v[42:43], v[68:69], -v[52:53]
	v_add_f64_e64 v[30:31], v[30:31], -v[54:55]
	v_div_scale_f64 v[54:55], s0, 1.0, v[38:39], 1.0
	v_fma_f64 v[52:53], -v[44:45], v[56:57], 1.0
	v_fma_f64 v[60:61], -v[46:47], v[58:59], 1.0
	v_add_f64_e64 v[40:41], v[42:43], -v[40:41]
	v_div_scale_f64 v[42:43], vcc_lo, 1.0, v[32:33], 1.0
	s_delay_alu instid0(VALU_DEP_4) | instskip(NEXT) | instid1(VALU_DEP_4)
	v_fma_f64 v[52:53], v[56:57], v[52:53], v[56:57]
	v_fma_f64 v[56:57], v[58:59], v[60:61], v[58:59]
	s_delay_alu instid0(VALU_DEP_4) | instskip(NEXT) | instid1(VALU_DEP_3)
	v_add_f64_e32 v[30:31], v[30:31], v[40:41]
	v_mul_f64_e32 v[40:41], v[42:43], v[52:53]
	s_delay_alu instid0(VALU_DEP_3) | instskip(NEXT) | instid1(VALU_DEP_3)
	v_mul_f64_e32 v[58:59], v[54:55], v[56:57]
	v_add_f64_e32 v[30:31], v[62:63], v[30:31]
	s_delay_alu instid0(VALU_DEP_3) | instskip(NEXT) | instid1(VALU_DEP_3)
	v_fma_f64 v[42:43], -v[44:45], v[40:41], v[42:43]
	v_fma_f64 v[44:45], -v[46:47], v[58:59], v[54:55]
	s_delay_alu instid0(VALU_DEP_3) | instskip(SKIP_1) | instid1(VALU_DEP_3)
	v_mul_f64_e32 v[30:31], v[36:37], v[30:31]
	s_wait_alu 0xfffd
	v_div_fmas_f64 v[36:37], v[42:43], v[52:53], v[40:41]
	s_mov_b32 vcc_lo, s0
	v_cmp_ngt_f64_e64 s0, 0xc0900000, v[26:27]
	s_wait_alu 0xfffe
	s_delay_alu instid0(VALU_DEP_4)
	v_div_fmas_f64 v[40:41], v[44:45], v[56:57], v[58:59]
	v_cmp_nlt_f64_e64 vcc_lo, 0x40331000, |v[34:35]|
	v_and_b32_e32 v27, 0x7fffffff, v35
	v_add_f64_e32 v[30:31], v[48:49], v[30:31]
	v_div_fixup_f64 v[32:33], v[36:37], v[32:33], 1.0
	v_div_fixup_f64 v[36:37], v[40:41], v[38:39], 1.0
	s_wait_alu 0xfffd
	s_delay_alu instid0(VALU_DEP_3) | instskip(NEXT) | instid1(VALU_DEP_4)
	v_cndmask_b32_e32 v31, 0x3ff00000, v31, vcc_lo
	v_cndmask_b32_e32 v30, 0, v30, vcc_lo
	v_cmp_gt_f64_e64 vcc_lo, 0x3e400000, |v[34:35]|
	s_wait_alu 0xf1ff
	v_cndmask_b32_e64 v33, 0, v33, s0
	s_and_b32 s0, s1, s0
	v_cndmask_b32_e64 v37, 0, v37, s2
	s_wait_alu 0xfffd
	v_dual_cndmask_b32 v26, v30, v34 :: v_dual_cndmask_b32 v27, v31, v27
	v_cmp_nlt_f64_e32 vcc_lo, 0x4090cc00, v[28:29]
	v_cndmask_b32_e64 v29, 0x3ff00000, v33, s1
	s_wait_alu 0xfffe
	v_cndmask_b32_e64 v28, 0, v32, s0
	v_cmp_ngt_f64_e64 s0, 0xc0900000, v[16:17]
	v_bfi_b32 v27, 0x7fffffff, v27, v35
	v_cmp_nlt_f64_e64 s1, 0x4090cc00, v[16:17]
	s_delay_alu instid0(VALU_DEP_2)
	v_mul_f64_e32 v[30:31], v[28:29], v[26:27]
	s_wait_alu 0xfffd
	v_cndmask_b32_e32 v33, 0x3ff00000, v37, vcc_lo
	s_and_b32 vcc_lo, vcc_lo, s2
	s_wait_alu 0xfffe
	v_cndmask_b32_e32 v32, 0, v36, vcc_lo
	s_delay_alu instid0(VALU_DEP_1) | instskip(NEXT) | instid1(VALU_DEP_1)
	v_fma_f64 v[20:21], v[20:21], v[32:33], v[30:31]
	v_mul_f64_e64 v[30:31], |v[20:21]|, s[70:71]
	s_delay_alu instid0(VALU_DEP_1) | instskip(NEXT) | instid1(VALU_DEP_1)
	v_rndne_f64_e32 v[30:31], v[30:31]
	v_fma_f64 v[34:35], v[30:31], s[72:73], |v[20:21]|
	v_mul_f64_e32 v[36:37], s[74:75], v[30:31]
	s_delay_alu instid0(VALU_DEP_2) | instskip(NEXT) | instid1(VALU_DEP_1)
	v_add_f64_e32 v[38:39], 0, v[34:35]
	v_add_f64_e64 v[40:41], v[38:39], -v[36:37]
	v_add_f64_e64 v[34:35], v[34:35], -v[38:39]
	s_delay_alu instid0(VALU_DEP_2) | instskip(NEXT) | instid1(VALU_DEP_2)
	v_add_f64_e64 v[38:39], v[38:39], -v[40:41]
	v_add_f64_e32 v[34:35], 0, v[34:35]
	s_delay_alu instid0(VALU_DEP_2) | instskip(NEXT) | instid1(VALU_DEP_1)
	v_add_f64_e64 v[36:37], v[38:39], -v[36:37]
	v_add_f64_e32 v[34:35], v[34:35], v[36:37]
	v_mul_f64_e32 v[36:37], s[76:77], v[30:31]
	s_delay_alu instid0(VALU_DEP_2) | instskip(NEXT) | instid1(VALU_DEP_1)
	v_add_f64_e32 v[38:39], v[40:41], v[34:35]
	v_add_f64_e64 v[42:43], v[38:39], -v[36:37]
	v_add_f64_e64 v[40:41], v[40:41], -v[38:39]
	s_delay_alu instid0(VALU_DEP_2) | instskip(NEXT) | instid1(VALU_DEP_2)
	v_add_f64_e64 v[38:39], v[38:39], -v[42:43]
	v_add_f64_e32 v[34:35], v[34:35], v[40:41]
	s_delay_alu instid0(VALU_DEP_2) | instskip(NEXT) | instid1(VALU_DEP_1)
	v_add_f64_e64 v[36:37], v[38:39], -v[36:37]
	v_add_f64_e32 v[34:35], v[34:35], v[36:37]
	s_delay_alu instid0(VALU_DEP_1) | instskip(NEXT) | instid1(VALU_DEP_1)
	v_add_f64_e32 v[36:37], v[42:43], v[34:35]
	v_fma_f64 v[38:39], v[36:37], s[52:53], s[50:51]
	v_add_f64_e64 v[40:41], v[42:43], -v[36:37]
	v_mul_f64_e32 v[42:43], v[36:37], v[36:37]
	s_delay_alu instid0(VALU_DEP_3) | instskip(NEXT) | instid1(VALU_DEP_3)
	v_fma_f64 v[38:39], v[36:37], v[38:39], s[54:55]
	v_add_f64_e32 v[34:35], v[34:35], v[40:41]
	s_delay_alu instid0(VALU_DEP_3) | instskip(NEXT) | instid1(VALU_DEP_3)
	v_fma_f64 v[40:41], v[36:37], v[36:37], -v[42:43]
	v_fma_f64 v[38:39], v[36:37], v[38:39], s[56:57]
	s_delay_alu instid0(VALU_DEP_3) | instskip(NEXT) | instid1(VALU_DEP_2)
	v_add_f64_e32 v[44:45], v[34:35], v[34:35]
	v_fma_f64 v[38:39], v[36:37], v[38:39], s[58:59]
	s_delay_alu instid0(VALU_DEP_2) | instskip(NEXT) | instid1(VALU_DEP_2)
	v_fma_f64 v[40:41], v[36:37], v[44:45], v[40:41]
	v_fma_f64 v[38:39], v[36:37], v[38:39], s[60:61]
	s_delay_alu instid0(VALU_DEP_2) | instskip(NEXT) | instid1(VALU_DEP_2)
	v_add_f64_e32 v[44:45], v[42:43], v[40:41]
	v_fma_f64 v[38:39], v[36:37], v[38:39], s[62:63]
	s_delay_alu instid0(VALU_DEP_2) | instskip(NEXT) | instid1(VALU_DEP_2)
	v_add_f64_e64 v[42:43], v[44:45], -v[42:43]
	v_fma_f64 v[38:39], v[36:37], v[38:39], s[64:65]
	s_delay_alu instid0(VALU_DEP_2) | instskip(NEXT) | instid1(VALU_DEP_2)
	v_add_f64_e64 v[40:41], v[40:41], -v[42:43]
	v_fma_f64 v[38:39], v[36:37], v[38:39], s[66:67]
	s_delay_alu instid0(VALU_DEP_1) | instskip(NEXT) | instid1(VALU_DEP_1)
	v_fma_f64 v[38:39], v[36:37], v[38:39], s[68:69]
	v_mul_f64_e32 v[46:47], v[44:45], v[38:39]
	s_delay_alu instid0(VALU_DEP_1) | instskip(NEXT) | instid1(VALU_DEP_1)
	v_fma_f64 v[42:43], v[44:45], v[38:39], -v[46:47]
	v_fma_f64 v[38:39], v[40:41], v[38:39], v[42:43]
	s_delay_alu instid0(VALU_DEP_1) | instskip(NEXT) | instid1(VALU_DEP_1)
	v_add_f64_e32 v[40:41], v[46:47], v[38:39]
	v_add_f64_e32 v[42:43], v[36:37], v[40:41]
	v_add_f64_e64 v[44:45], v[40:41], -v[46:47]
	s_delay_alu instid0(VALU_DEP_2) | instskip(NEXT) | instid1(VALU_DEP_2)
	v_add_f64_e64 v[36:37], v[42:43], -v[36:37]
	v_add_f64_e64 v[38:39], v[38:39], -v[44:45]
	v_cvt_i32_f64_e32 v44, v[30:31]
	s_delay_alu instid0(VALU_DEP_3) | instskip(NEXT) | instid1(VALU_DEP_3)
	v_add_f64_e64 v[36:37], v[40:41], -v[36:37]
	v_add_f64_e32 v[34:35], v[34:35], v[38:39]
	s_delay_alu instid0(VALU_DEP_1) | instskip(NEXT) | instid1(VALU_DEP_1)
	v_add_f64_e32 v[34:35], v[34:35], v[36:37]
	v_add_f64_e32 v[36:37], v[42:43], v[34:35]
	s_delay_alu instid0(VALU_DEP_1) | instskip(SKIP_1) | instid1(VALU_DEP_2)
	v_add_f64_e32 v[38:39], 1.0, v[36:37]
	v_add_f64_e64 v[40:41], v[36:37], -v[42:43]
	v_add_f64_e32 v[42:43], -1.0, v[38:39]
	s_delay_alu instid0(VALU_DEP_2) | instskip(NEXT) | instid1(VALU_DEP_2)
	v_add_f64_e64 v[34:35], v[34:35], -v[40:41]
	v_add_f64_e64 v[36:37], v[36:37], -v[42:43]
	s_delay_alu instid0(VALU_DEP_1) | instskip(NEXT) | instid1(VALU_DEP_1)
	v_add_f64_e32 v[34:35], v[34:35], v[36:37]
	v_add_f64_e32 v[30:31], v[38:39], v[34:35]
	s_delay_alu instid0(VALU_DEP_1) | instskip(SKIP_1) | instid1(VALU_DEP_2)
	v_ldexp_f64 v[36:37], v[30:31], v44
	v_add_f64_e64 v[30:31], v[30:31], -v[38:39]
	v_rcp_f64_e32 v[40:41], v[36:37]
	s_delay_alu instid0(VALU_DEP_1) | instskip(NEXT) | instid1(VALU_DEP_1)
	v_add_f64_e64 v[30:31], v[34:35], -v[30:31]
	v_ldexp_f64 v[30:31], v[30:31], v44
	s_delay_alu instid0(TRANS32_DEP_1) | instskip(NEXT) | instid1(VALU_DEP_1)
	v_fma_f64 v[42:43], -v[36:37], v[40:41], 1.0
	v_fma_f64 v[40:41], v[42:43], v[40:41], v[40:41]
	s_delay_alu instid0(VALU_DEP_1) | instskip(NEXT) | instid1(VALU_DEP_1)
	v_fma_f64 v[42:43], -v[36:37], v[40:41], 1.0
	v_fma_f64 v[38:39], v[42:43], v[40:41], v[40:41]
	s_delay_alu instid0(VALU_DEP_1) | instskip(NEXT) | instid1(VALU_DEP_1)
	v_mul_f64_e32 v[34:35], v[36:37], v[38:39]
	v_fma_f64 v[40:41], v[38:39], v[36:37], -v[34:35]
	s_delay_alu instid0(VALU_DEP_1) | instskip(NEXT) | instid1(VALU_DEP_1)
	v_fma_f64 v[40:41], v[38:39], v[30:31], v[40:41]
	v_add_f64_e32 v[42:43], v[34:35], v[40:41]
	s_delay_alu instid0(VALU_DEP_1) | instskip(SKIP_1) | instid1(VALU_DEP_2)
	v_add_f64_e64 v[44:45], -v[42:43], 1.0
	v_add_f64_e64 v[34:35], v[42:43], -v[34:35]
	v_add_f64_e64 v[46:47], -v[44:45], 1.0
	s_delay_alu instid0(VALU_DEP_2) | instskip(NEXT) | instid1(VALU_DEP_2)
	v_add_f64_e64 v[34:35], v[34:35], -v[40:41]
	v_add_f64_e64 v[40:41], v[46:47], -v[42:43]
	s_delay_alu instid0(VALU_DEP_1) | instskip(NEXT) | instid1(VALU_DEP_1)
	v_add_f64_e32 v[34:35], v[34:35], v[40:41]
	v_add_f64_e32 v[40:41], v[44:45], v[34:35]
	s_delay_alu instid0(VALU_DEP_1) | instskip(SKIP_1) | instid1(VALU_DEP_2)
	v_mul_f64_e32 v[42:43], v[38:39], v[40:41]
	v_add_f64_e64 v[44:45], v[44:45], -v[40:41]
	v_mul_f64_e32 v[46:47], v[36:37], v[42:43]
	s_delay_alu instid0(VALU_DEP_2) | instskip(SKIP_1) | instid1(VALU_DEP_3)
	v_add_f64_e32 v[34:35], v[34:35], v[44:45]
	v_add_f64_e32 v[24:25], v[38:39], v[42:43]
	v_fma_f64 v[48:49], v[42:43], v[36:37], -v[46:47]
	s_delay_alu instid0(VALU_DEP_2) | instskip(NEXT) | instid1(VALU_DEP_2)
	v_add_f64_e64 v[22:23], v[24:25], -v[38:39]
	v_fma_f64 v[48:49], v[42:43], v[30:31], v[48:49]
	s_delay_alu instid0(VALU_DEP_2) | instskip(NEXT) | instid1(VALU_DEP_2)
	v_add_f64_e64 v[22:23], v[42:43], -v[22:23]
	v_add_f64_e32 v[52:53], v[46:47], v[48:49]
	s_delay_alu instid0(VALU_DEP_1) | instskip(SKIP_1) | instid1(VALU_DEP_2)
	v_add_f64_e64 v[54:55], v[40:41], -v[52:53]
	v_add_f64_e64 v[44:45], v[52:53], -v[46:47]
	;; [unrolled: 1-line block ×3, first 2 shown]
	s_delay_alu instid0(VALU_DEP_2) | instskip(NEXT) | instid1(VALU_DEP_2)
	v_add_f64_e64 v[18:19], v[44:45], -v[48:49]
	v_add_f64_e64 v[40:41], v[40:41], -v[52:53]
	s_delay_alu instid0(VALU_DEP_1) | instskip(NEXT) | instid1(VALU_DEP_1)
	v_add_f64_e32 v[34:35], v[34:35], v[40:41]
	v_add_f64_e32 v[18:19], v[18:19], v[34:35]
	v_mul_f64_e32 v[34:35], s[44:45], v[16:17]
	s_delay_alu instid0(VALU_DEP_2) | instskip(NEXT) | instid1(VALU_DEP_2)
	v_add_f64_e32 v[18:19], v[54:55], v[18:19]
	v_rndne_f64_e32 v[34:35], v[34:35]
	s_delay_alu instid0(VALU_DEP_2) | instskip(NEXT) | instid1(VALU_DEP_1)
	v_mul_f64_e32 v[18:19], v[38:39], v[18:19]
	v_add_f64_e32 v[18:19], v[22:23], v[18:19]
	s_delay_alu instid0(VALU_DEP_3) | instskip(SKIP_1) | instid1(VALU_DEP_3)
	v_fma_f64 v[22:23], v[34:35], s[46:47], -v[16:17]
	v_mad_co_u64_u32 v[16:17], null, v11, s26, 0
	v_add_f64_e32 v[38:39], v[24:25], v[18:19]
	s_delay_alu instid0(VALU_DEP_3) | instskip(NEXT) | instid1(VALU_DEP_2)
	v_fma_f64 v[22:23], v[34:35], s[48:49], v[22:23]
	v_add_f64_e32 v[40:41], v[36:37], v[38:39]
	v_add_f64_e64 v[24:25], v[38:39], -v[24:25]
	s_delay_alu instid0(VALU_DEP_3) | instskip(SKIP_1) | instid1(VALU_DEP_4)
	v_fma_f64 v[42:43], v[22:23], s[52:53], s[50:51]
	v_add_f64_e64 v[46:47], v[36:37], -v[38:39]
	v_add_f64_e64 v[44:45], v[40:41], -v[36:37]
	s_delay_alu instid0(VALU_DEP_4) | instskip(NEXT) | instid1(VALU_DEP_4)
	v_add_f64_e64 v[18:19], v[18:19], -v[24:25]
	v_fma_f64 v[24:25], v[22:23], v[42:43], s[54:55]
	s_delay_alu instid0(VALU_DEP_4) | instskip(NEXT) | instid1(VALU_DEP_4)
	v_add_f64_e64 v[36:37], v[36:37], -v[46:47]
	v_add_f64_e64 v[42:43], v[38:39], -v[44:45]
	s_delay_alu instid0(VALU_DEP_4) | instskip(NEXT) | instid1(VALU_DEP_4)
	v_add_f64_e32 v[44:45], v[30:31], v[18:19]
	v_fma_f64 v[24:25], v[22:23], v[24:25], s[56:57]
	s_delay_alu instid0(VALU_DEP_4) | instskip(NEXT) | instid1(VALU_DEP_3)
	v_add_f64_e64 v[36:37], v[36:37], -v[38:39]
	v_add_f64_e32 v[42:43], v[44:45], v[42:43]
	s_delay_alu instid0(VALU_DEP_3) | instskip(NEXT) | instid1(VALU_DEP_3)
	v_fma_f64 v[24:25], v[22:23], v[24:25], s[58:59]
	v_add_f64_e32 v[30:31], v[30:31], v[36:37]
	s_delay_alu instid0(VALU_DEP_3) | instskip(NEXT) | instid1(VALU_DEP_3)
	v_add_f64_e32 v[44:45], v[40:41], v[42:43]
	v_fma_f64 v[24:25], v[22:23], v[24:25], s[60:61]
	s_delay_alu instid0(VALU_DEP_3) | instskip(NEXT) | instid1(VALU_DEP_3)
	v_add_f64_e64 v[18:19], v[30:31], -v[18:19]
	v_rcp_f64_e32 v[48:49], v[44:45]
	s_delay_alu instid0(VALU_DEP_2) | instskip(NEXT) | instid1(VALU_DEP_1)
	v_fma_f64 v[24:25], v[22:23], v[24:25], s[62:63]
	v_fma_f64 v[24:25], v[22:23], v[24:25], s[64:65]
	s_delay_alu instid0(TRANS32_DEP_1) | instskip(NEXT) | instid1(VALU_DEP_2)
	v_fma_f64 v[38:39], -v[44:45], v[48:49], 1.0
	v_fma_f64 v[24:25], v[22:23], v[24:25], s[66:67]
	s_delay_alu instid0(VALU_DEP_2) | instskip(SKIP_2) | instid1(VALU_DEP_4)
	v_fma_f64 v[36:37], v[38:39], v[48:49], v[48:49]
	v_add_f64_e32 v[38:39], v[46:47], v[18:19]
	v_cvt_i32_f64_e32 v48, v[34:35]
	v_fma_f64 v[24:25], v[22:23], v[24:25], s[68:69]
	s_delay_alu instid0(VALU_DEP_4) | instskip(NEXT) | instid1(VALU_DEP_2)
	v_fma_f64 v[30:31], -v[44:45], v[36:37], 1.0
	v_fma_f64 v[24:25], v[22:23], v[24:25], 1.0
	s_delay_alu instid0(VALU_DEP_2) | instskip(NEXT) | instid1(VALU_DEP_2)
	v_fma_f64 v[30:31], v[30:31], v[36:37], v[36:37]
	v_fma_f64 v[22:23], v[22:23], v[24:25], 1.0
	s_delay_alu instid0(VALU_DEP_2) | instskip(SKIP_1) | instid1(VALU_DEP_3)
	v_mul_f64_e32 v[36:37], v[38:39], v[30:31]
	v_add_f64_e64 v[24:25], v[44:45], -v[40:41]
	v_ldexp_f64 v[22:23], v[22:23], v48
	s_delay_alu instid0(VALU_DEP_3) | instskip(NEXT) | instid1(VALU_DEP_3)
	v_mul_f64_e32 v[34:35], v[44:45], v[36:37]
	v_add_f64_e64 v[24:25], v[42:43], -v[24:25]
	s_delay_alu instid0(VALU_DEP_3) | instskip(NEXT) | instid1(VALU_DEP_3)
	v_add_f64_e32 v[22:23], 1.0, v[22:23]
	v_fma_f64 v[40:41], v[36:37], v[44:45], -v[34:35]
	s_delay_alu instid0(VALU_DEP_1) | instskip(NEXT) | instid1(VALU_DEP_3)
	v_fma_f64 v[24:25], v[36:37], v[24:25], v[40:41]
	v_div_scale_f64 v[40:41], null, v[22:23], v[22:23], 1.0
	s_delay_alu instid0(VALU_DEP_2) | instskip(NEXT) | instid1(VALU_DEP_2)
	v_add_f64_e32 v[42:43], v[34:35], v[24:25]
	v_rcp_f64_e32 v[44:45], v[40:41]
	s_delay_alu instid0(VALU_DEP_1) | instskip(SKIP_1) | instid1(TRANS32_DEP_1)
	v_add_f64_e64 v[48:49], v[38:39], -v[42:43]
	v_add_f64_e64 v[34:35], v[42:43], -v[34:35]
	v_fma_f64 v[52:53], -v[40:41], v[44:45], 1.0
	s_delay_alu instid0(VALU_DEP_3) | instskip(SKIP_1) | instid1(VALU_DEP_4)
	v_add_f64_e64 v[54:55], v[38:39], -v[48:49]
	v_add_f64_e64 v[38:39], v[38:39], -v[46:47]
	;; [unrolled: 1-line block ×3, first 2 shown]
	s_delay_alu instid0(VALU_DEP_4) | instskip(NEXT) | instid1(VALU_DEP_4)
	v_fma_f64 v[44:45], v[44:45], v[52:53], v[44:45]
	v_add_f64_e64 v[34:35], v[54:55], -v[42:43]
	s_delay_alu instid0(VALU_DEP_4) | instskip(NEXT) | instid1(VALU_DEP_3)
	v_add_f64_e64 v[18:19], v[18:19], -v[38:39]
	v_fma_f64 v[42:43], -v[40:41], v[44:45], 1.0
	s_delay_alu instid0(VALU_DEP_3) | instskip(SKIP_1) | instid1(VALU_DEP_3)
	v_add_f64_e64 v[24:25], v[34:35], -v[24:25]
	v_div_scale_f64 v[34:35], vcc_lo, 1.0, v[22:23], 1.0
	v_fma_f64 v[38:39], v[44:45], v[42:43], v[44:45]
	s_delay_alu instid0(VALU_DEP_3) | instskip(NEXT) | instid1(VALU_DEP_2)
	v_add_f64_e32 v[18:19], v[18:19], v[24:25]
	v_mul_f64_e32 v[24:25], v[34:35], v[38:39]
	s_delay_alu instid0(VALU_DEP_2) | instskip(NEXT) | instid1(VALU_DEP_2)
	v_add_f64_e32 v[18:19], v[48:49], v[18:19]
	v_fma_f64 v[34:35], -v[40:41], v[24:25], v[34:35]
	s_delay_alu instid0(VALU_DEP_2) | instskip(SKIP_1) | instid1(VALU_DEP_2)
	v_mul_f64_e32 v[18:19], v[30:31], v[18:19]
	s_wait_alu 0xfffd
	v_div_fmas_f64 v[24:25], v[34:35], v[38:39], v[24:25]
	v_cmp_nlt_f64_e64 vcc_lo, 0x40331000, |v[20:21]|
	v_mul_lo_u32 v34, v11, s27
	v_mul_lo_u32 v35, v51, s26
	;; [unrolled: 1-line block ×3, first 2 shown]
	s_delay_alu instid0(VALU_DEP_3)
	v_add3_u32 v17, v17, v34, v2
	v_add_f64_e32 v[18:19], v[36:37], v[18:19]
	v_mul_lo_u32 v36, v14, s27
	v_mul_lo_u32 v37, v50, s26
	v_div_fixup_f64 v[22:23], v[24:25], v[22:23], 1.0
	s_wait_alu 0xfffd
	s_delay_alu instid0(VALU_DEP_4) | instskip(NEXT) | instid1(VALU_DEP_2)
	v_cndmask_b32_e32 v19, 0x3ff00000, v19, vcc_lo
	v_cndmask_b32_e64 v25, 0, v23, s0
	v_dual_cndmask_b32 v18, 0, v18 :: v_dual_and_b32 v23, 0x7fffffff, v21
	v_cmp_gt_f64_e64 vcc_lo, 0x3e400000, |v[20:21]|
	s_delay_alu instid0(VALU_DEP_3)
	v_cndmask_b32_e64 v31, 0x3ff00000, v25, s1
	v_mul_lo_u32 v25, v12, s27
	s_wait_alu 0xfffd
	v_dual_cndmask_b32 v11, v19, v23 :: v_dual_cndmask_b32 v18, v18, v20
	s_and_b32 vcc_lo, s1, s0
	v_mad_co_u64_u32 v[23:24], null, v14, s26, 0
	s_wait_alu 0xfffe
	v_cndmask_b32_e32 v30, 0, v22, vcc_lo
	v_bfi_b32 v19, 0x7fffffff, v11, v21
	v_mul_lo_u32 v22, v13, s26
	v_mad_co_u64_u32 v[11:12], null, v12, s26, 0
	v_add_co_u32 v3, vcc_lo, v3, s28
	s_delay_alu instid0(VALU_DEP_4)
	v_mul_f64_e32 v[13:14], v[30:31], v[18:19]
	v_mad_co_u64_u32 v[18:19], null, v15, s26, 0
	v_add3_u32 v24, v24, v36, v35
	v_add3_u32 v12, v12, v25, v22
	v_lshlrev_b64_e32 v[15:16], 3, v[16:17]
	s_wait_alu 0xfffd
	v_add_co_ci_u32_e64 v4, null, 0, v4, vcc_lo
	v_lshlrev_b64_e32 v[22:23], 3, v[23:24]
	v_add3_u32 v19, v19, v38, v37
	v_lshlrev_b64_e32 v[11:12], 3, v[11:12]
	v_add_co_u32 v15, s0, s24, v15
	s_wait_alu 0xf1ff
	v_add_co_ci_u32_e64 v16, null, s25, v16, s0
	v_lshlrev_b64_e32 v[17:18], 3, v[18:19]
	v_add_co_u32 v22, s0, s24, v22
	s_wait_alu 0xf1ff
	v_add_co_ci_u32_e64 v23, null, s25, v23, s0
	v_add_co_u32 v11, s0, s24, v11
	s_wait_alu 0xf1ff
	v_add_co_ci_u32_e64 v12, null, s25, v12, s0
	v_add_co_u32 v17, s0, s24, v17
	v_add_co_u32 v5, vcc_lo, v5, s36
	s_wait_alu 0xf1ff
	v_add_co_ci_u32_e64 v18, null, s25, v18, s0
	global_store_b64 v[7:8], v[13:14], off
	global_store_b64 v[9:10], v[20:21], off
	;; [unrolled: 1-line block ×3, first 2 shown]
	v_add_co_u32 v7, s0, v7, s38
	s_wait_alu 0xfffd
	v_add_co_ci_u32_e64 v6, null, s37, v6, vcc_lo
	v_cmp_le_i64_e32 vcc_lo, s[6:7], v[3:4]
	s_wait_alu 0xf1ff
	v_add_co_ci_u32_e64 v8, null, s39, v8, s0
	v_add_co_u32 v9, s0, v9, s40
	s_wait_alu 0xf1ff
	v_add_co_ci_u32_e64 v10, null, s41, v10, s0
	s_or_b32 s29, vcc_lo, s29
	s_clause 0x2
	global_store_b64 v[22:23], v[32:33], off
	global_store_b64 v[11:12], v[26:27], off
	;; [unrolled: 1-line block ×3, first 2 shown]
	s_wait_alu 0xfffe
	s_and_not1_b32 exec_lo, exec_lo, s29
	s_cbranch_execz .LBB2_10
.LBB2_5:                                ; =>This Inner Loop Header: Depth=1
	v_or_b32_e32 v2, s5, v4
                                        ; implicit-def: $vgpr22_vgpr23
	s_mov_b32 s0, exec_lo
	s_delay_alu instid0(VALU_DEP_1)
	v_cmpx_ne_u64_e32 0, v[1:2]
	s_wait_alu 0xfffe
	s_xor_b32 s1, exec_lo, s0
	s_cbranch_execz .LBB2_7
; %bb.6:                                ;   in Loop: Header=BB2_5 Depth=1
	s_mov_b32 s43, s42
	v_ashrrev_i32_e32 v2, 31, v4
	s_wait_alu 0xfffe
	s_add_nc_u64 s[78:79], s[4:5], s[42:43]
	s_wait_alu 0xfffe
	s_xor_b64 s[78:79], s[78:79], s[42:43]
	v_add_co_u32 v11, vcc_lo, v3, v2
	s_wait_alu 0xfffe
	s_cvt_f32_u32 s0, s78
	s_cvt_f32_u32 s2, s79
	s_sub_nc_u64 s[82:83], 0, s[78:79]
	s_wait_alu 0xfffd
	v_add_co_ci_u32_e64 v12, null, v4, v2, vcc_lo
	s_wait_alu 0xfffe
	s_fmamk_f32 s0, s2, 0x4f800000, s0
	v_xor_b32_e32 v17, v11, v2
	s_delay_alu instid0(VALU_DEP_2) | instskip(SKIP_3) | instid1(TRANS32_DEP_1)
	v_xor_b32_e32 v18, v12, v2
	s_wait_alu 0xfffe
	v_s_rcp_f32 s0, s0
	v_xor_b32_e32 v2, s42, v2
	s_mul_f32 s0, s0, 0x5f7ffffc
	s_wait_alu 0xfffe
	s_delay_alu instid0(SALU_CYCLE_2) | instskip(SKIP_1) | instid1(SALU_CYCLE_2)
	s_mul_f32 s2, s0, 0x2f800000
	s_wait_alu 0xfffe
	s_trunc_f32 s2, s2
	s_wait_alu 0xfffe
	s_delay_alu instid0(SALU_CYCLE_2) | instskip(SKIP_2) | instid1(SALU_CYCLE_1)
	s_fmamk_f32 s0, s2, 0xcf800000, s0
	s_cvt_u32_f32 s81, s2
	s_wait_alu 0xfffe
	s_cvt_u32_f32 s80, s0
	s_delay_alu instid0(SALU_CYCLE_3) | instskip(NEXT) | instid1(SALU_CYCLE_1)
	s_mul_u64 s[84:85], s[82:83], s[80:81]
	s_mul_hi_u32 s87, s80, s85
	s_mul_i32 s86, s80, s85
	s_mul_hi_u32 s2, s80, s84
	s_mul_i32 s43, s81, s84
	s_wait_alu 0xfffe
	s_add_nc_u64 s[86:87], s[2:3], s[86:87]
	s_mul_hi_u32 s0, s81, s84
	s_mul_hi_u32 s70, s81, s85
	s_add_co_u32 s2, s86, s43
	s_wait_alu 0xfffe
	s_add_co_ci_u32 s2, s87, s0
	s_mul_i32 s84, s81, s85
	s_add_co_ci_u32 s85, s70, 0
	s_wait_alu 0xfffe
	s_add_nc_u64 s[84:85], s[2:3], s[84:85]
	s_delay_alu instid0(SALU_CYCLE_1) | instskip(SKIP_4) | instid1(SALU_CYCLE_1)
	s_add_co_u32 s80, s80, s84
	s_cselect_b32 s0, -1, 0
	s_wait_alu 0xfffe
	s_cmp_lg_u32 s0, 0
	s_add_co_ci_u32 s81, s81, s85
	s_mul_u64 s[82:83], s[82:83], s[80:81]
	s_delay_alu instid0(SALU_CYCLE_1)
	s_mul_hi_u32 s85, s80, s83
	s_mul_i32 s84, s80, s83
	s_mul_hi_u32 s2, s80, s82
	s_mul_i32 s43, s81, s82
	s_wait_alu 0xfffe
	s_add_nc_u64 s[84:85], s[2:3], s[84:85]
	s_mul_hi_u32 s0, s81, s82
	s_mul_hi_u32 s70, s81, s83
	s_add_co_u32 s2, s84, s43
	s_wait_alu 0xfffe
	s_add_co_ci_u32 s2, s85, s0
	s_mul_i32 s82, s81, s83
	s_add_co_ci_u32 s83, s70, 0
	s_wait_alu 0xfffe
	s_add_nc_u64 s[82:83], s[2:3], s[82:83]
	s_delay_alu instid0(SALU_CYCLE_1)
	s_add_co_u32 s0, s80, s82
	s_cselect_b32 s2, -1, 0
	s_wait_alu 0xfffe
	v_mul_hi_u32 v19, v17, s0
	s_cmp_lg_u32 s2, 0
	v_mad_co_u64_u32 v[13:14], null, v18, s0, 0
	s_add_co_ci_u32 s2, s81, s83
	s_wait_alu 0xfffe
	v_mad_co_u64_u32 v[11:12], null, v17, s2, 0
	v_mad_co_u64_u32 v[15:16], null, v18, s2, 0
	s_delay_alu instid0(VALU_DEP_2) | instskip(SKIP_1) | instid1(VALU_DEP_3)
	v_add_co_u32 v11, vcc_lo, v19, v11
	s_wait_alu 0xfffd
	v_add_co_ci_u32_e64 v12, null, 0, v12, vcc_lo
	s_delay_alu instid0(VALU_DEP_2) | instskip(SKIP_1) | instid1(VALU_DEP_2)
	v_add_co_u32 v11, vcc_lo, v11, v13
	s_wait_alu 0xfffd
	v_add_co_ci_u32_e32 v11, vcc_lo, v12, v14, vcc_lo
	s_wait_alu 0xfffd
	v_add_co_ci_u32_e32 v12, vcc_lo, 0, v16, vcc_lo
	s_delay_alu instid0(VALU_DEP_2) | instskip(SKIP_1) | instid1(VALU_DEP_2)
	v_add_co_u32 v13, vcc_lo, v11, v15
	s_wait_alu 0xfffd
	v_add_co_ci_u32_e64 v14, null, 0, v12, vcc_lo
	s_delay_alu instid0(VALU_DEP_2) | instskip(SKIP_1) | instid1(VALU_DEP_3)
	v_mul_lo_u32 v15, s79, v13
	v_mad_co_u64_u32 v[11:12], null, s78, v13, 0
	v_mul_lo_u32 v16, s78, v14
	s_delay_alu instid0(VALU_DEP_2) | instskip(NEXT) | instid1(VALU_DEP_2)
	v_sub_co_u32 v11, vcc_lo, v17, v11
	v_add3_u32 v12, v12, v16, v15
	v_add_co_u32 v16, s0, v13, 2
	s_wait_alu 0xf1ff
	v_add_co_ci_u32_e64 v17, null, 0, v14, s0
	s_delay_alu instid0(VALU_DEP_3) | instskip(SKIP_3) | instid1(VALU_DEP_3)
	v_sub_nc_u32_e32 v15, v18, v12
	v_sub_co_u32 v19, s0, v11, s78
	s_wait_alu 0xfffd
	v_sub_co_ci_u32_e64 v12, null, v18, v12, vcc_lo
	v_subrev_co_ci_u32_e64 v15, null, s79, v15, vcc_lo
	s_delay_alu instid0(VALU_DEP_3) | instskip(SKIP_1) | instid1(VALU_DEP_2)
	v_cmp_le_u32_e32 vcc_lo, s78, v19
	s_wait_alu 0xf1ff
	v_subrev_co_ci_u32_e64 v15, null, 0, v15, s0
	s_wait_alu 0xfffd
	v_cndmask_b32_e64 v18, 0, -1, vcc_lo
	s_delay_alu instid0(VALU_DEP_2)
	v_cmp_le_u32_e32 vcc_lo, s79, v15
	s_wait_alu 0xfffd
	v_cndmask_b32_e64 v19, 0, -1, vcc_lo
	v_cmp_le_u32_e32 vcc_lo, s78, v11
	s_wait_alu 0xfffd
	v_cndmask_b32_e64 v11, 0, -1, vcc_lo
	;; [unrolled: 3-line block ×3, first 2 shown]
	v_cmp_eq_u32_e32 vcc_lo, s79, v15
	s_wait_alu 0xfffd
	v_cndmask_b32_e32 v15, v19, v18, vcc_lo
	v_add_co_u32 v18, vcc_lo, v13, 1
	s_wait_alu 0xfffd
	v_add_co_ci_u32_e64 v19, null, 0, v14, vcc_lo
	v_cmp_eq_u32_e32 vcc_lo, s79, v12
	s_wait_alu 0xfffd
	v_cndmask_b32_e32 v11, v20, v11, vcc_lo
	v_cmp_ne_u32_e32 vcc_lo, 0, v15
	s_wait_alu 0xfffd
	v_cndmask_b32_e32 v12, v19, v17, vcc_lo
	s_delay_alu instid0(VALU_DEP_3) | instskip(SKIP_2) | instid1(VALU_DEP_2)
	v_cmp_ne_u32_e64 s0, 0, v11
	v_cndmask_b32_e32 v11, v18, v16, vcc_lo
	s_wait_alu 0xf1ff
	v_cndmask_b32_e64 v12, v14, v12, s0
	s_delay_alu instid0(VALU_DEP_2) | instskip(NEXT) | instid1(VALU_DEP_2)
	v_cndmask_b32_e64 v11, v13, v11, s0
	v_xor_b32_e32 v12, v12, v2
	s_delay_alu instid0(VALU_DEP_2) | instskip(NEXT) | instid1(VALU_DEP_1)
	v_xor_b32_e32 v11, v11, v2
	v_sub_co_u32 v22, vcc_lo, v11, v2
	s_wait_alu 0xfffd
	s_delay_alu instid0(VALU_DEP_3)
	v_sub_co_ci_u32_e64 v23, null, v12, v2, vcc_lo
.LBB2_7:                                ;   in Loop: Header=BB2_5 Depth=1
	s_wait_alu 0xfffe
	s_and_not1_saveexec_b32 s0, s1
	s_cbranch_execz .LBB2_2
; %bb.8:                                ;   in Loop: Header=BB2_5 Depth=1
	s_sub_co_i32 s1, 0, s4
	v_mov_b32_e32 v23, v1
	s_wait_alu 0xfffe
	v_mul_lo_u32 v2, s1, v0
	s_delay_alu instid0(VALU_DEP_1) | instskip(NEXT) | instid1(VALU_DEP_1)
	v_mul_hi_u32 v2, v0, v2
	v_add_nc_u32_e32 v2, v0, v2
	s_delay_alu instid0(VALU_DEP_1) | instskip(NEXT) | instid1(VALU_DEP_1)
	v_mul_hi_u32 v2, v3, v2
	v_mul_lo_u32 v11, v2, s4
	v_add_nc_u32_e32 v12, 1, v2
	s_delay_alu instid0(VALU_DEP_2) | instskip(NEXT) | instid1(VALU_DEP_1)
	v_sub_nc_u32_e32 v11, v3, v11
	v_subrev_nc_u32_e32 v13, s4, v11
	v_cmp_le_u32_e32 vcc_lo, s4, v11
	s_wait_alu 0xfffd
	s_delay_alu instid0(VALU_DEP_2) | instskip(NEXT) | instid1(VALU_DEP_1)
	v_dual_cndmask_b32 v11, v11, v13 :: v_dual_cndmask_b32 v2, v2, v12
	v_cmp_le_u32_e32 vcc_lo, s4, v11
	s_delay_alu instid0(VALU_DEP_2) | instskip(SKIP_1) | instid1(VALU_DEP_1)
	v_add_nc_u32_e32 v12, 1, v2
	s_wait_alu 0xfffd
	v_cndmask_b32_e32 v22, v2, v12, vcc_lo
	s_branch .LBB2_2
.LBB2_9:                                ;   in Loop: Header=BB2_5 Depth=1
	v_mov_b32_e32 v38, 0
	v_mov_b32_e32 v22, 0
	;; [unrolled: 1-line block ×3, first 2 shown]
	v_dual_mov_b32 v42, 0 :: v_dual_mov_b32 v39, 0
	v_dual_mov_b32 v46, 0 :: v_dual_mov_b32 v23, 0
	;; [unrolled: 1-line block ×5, first 2 shown]
	v_mov_b32_e32 v41, 0
	v_mov_b32_e32 v49, 0
	;; [unrolled: 1-line block ×3, first 2 shown]
	s_branch .LBB2_4
.LBB2_10:
	s_endpgm
	.section	.rodata,"a",@progbits
	.p2align	6, 0x0
	.amdhsa_kernel _ZN2at6native12_GLOBAL__N_16kernel17lstm_cell_forwardIddlLi1EEEvNS_4cuda6detail10TensorInfoIT_T1_EES9_S9_S9_S9_S9_S9_S9_S8_S8_
		.amdhsa_group_segment_fixed_size 0
		.amdhsa_private_segment_fixed_size 0
		.amdhsa_kernarg_size 3600
		.amdhsa_user_sgpr_count 2
		.amdhsa_user_sgpr_dispatch_ptr 0
		.amdhsa_user_sgpr_queue_ptr 0
		.amdhsa_user_sgpr_kernarg_segment_ptr 1
		.amdhsa_user_sgpr_dispatch_id 0
		.amdhsa_user_sgpr_private_segment_size 0
		.amdhsa_wavefront_size32 1
		.amdhsa_uses_dynamic_stack 0
		.amdhsa_enable_private_segment 0
		.amdhsa_system_sgpr_workgroup_id_x 1
		.amdhsa_system_sgpr_workgroup_id_y 0
		.amdhsa_system_sgpr_workgroup_id_z 0
		.amdhsa_system_sgpr_workgroup_info 0
		.amdhsa_system_vgpr_workitem_id 0
		.amdhsa_next_free_vgpr 70
		.amdhsa_next_free_sgpr 88
		.amdhsa_reserve_vcc 1
		.amdhsa_float_round_mode_32 0
		.amdhsa_float_round_mode_16_64 0
		.amdhsa_float_denorm_mode_32 3
		.amdhsa_float_denorm_mode_16_64 3
		.amdhsa_fp16_overflow 0
		.amdhsa_workgroup_processor_mode 1
		.amdhsa_memory_ordered 1
		.amdhsa_forward_progress 1
		.amdhsa_inst_pref_size 56
		.amdhsa_round_robin_scheduling 0
		.amdhsa_exception_fp_ieee_invalid_op 0
		.amdhsa_exception_fp_denorm_src 0
		.amdhsa_exception_fp_ieee_div_zero 0
		.amdhsa_exception_fp_ieee_overflow 0
		.amdhsa_exception_fp_ieee_underflow 0
		.amdhsa_exception_fp_ieee_inexact 0
		.amdhsa_exception_int_div_zero 0
	.end_amdhsa_kernel
	.section	.text._ZN2at6native12_GLOBAL__N_16kernel17lstm_cell_forwardIddlLi1EEEvNS_4cuda6detail10TensorInfoIT_T1_EES9_S9_S9_S9_S9_S9_S9_S8_S8_,"axG",@progbits,_ZN2at6native12_GLOBAL__N_16kernel17lstm_cell_forwardIddlLi1EEEvNS_4cuda6detail10TensorInfoIT_T1_EES9_S9_S9_S9_S9_S9_S9_S8_S8_,comdat
.Lfunc_end2:
	.size	_ZN2at6native12_GLOBAL__N_16kernel17lstm_cell_forwardIddlLi1EEEvNS_4cuda6detail10TensorInfoIT_T1_EES9_S9_S9_S9_S9_S9_S9_S8_S8_, .Lfunc_end2-_ZN2at6native12_GLOBAL__N_16kernel17lstm_cell_forwardIddlLi1EEEvNS_4cuda6detail10TensorInfoIT_T1_EES9_S9_S9_S9_S9_S9_S9_S8_S8_
                                        ; -- End function
	.set _ZN2at6native12_GLOBAL__N_16kernel17lstm_cell_forwardIddlLi1EEEvNS_4cuda6detail10TensorInfoIT_T1_EES9_S9_S9_S9_S9_S9_S9_S8_S8_.num_vgpr, 70
	.set _ZN2at6native12_GLOBAL__N_16kernel17lstm_cell_forwardIddlLi1EEEvNS_4cuda6detail10TensorInfoIT_T1_EES9_S9_S9_S9_S9_S9_S9_S8_S8_.num_agpr, 0
	.set _ZN2at6native12_GLOBAL__N_16kernel17lstm_cell_forwardIddlLi1EEEvNS_4cuda6detail10TensorInfoIT_T1_EES9_S9_S9_S9_S9_S9_S9_S8_S8_.numbered_sgpr, 88
	.set _ZN2at6native12_GLOBAL__N_16kernel17lstm_cell_forwardIddlLi1EEEvNS_4cuda6detail10TensorInfoIT_T1_EES9_S9_S9_S9_S9_S9_S9_S8_S8_.num_named_barrier, 0
	.set _ZN2at6native12_GLOBAL__N_16kernel17lstm_cell_forwardIddlLi1EEEvNS_4cuda6detail10TensorInfoIT_T1_EES9_S9_S9_S9_S9_S9_S9_S8_S8_.private_seg_size, 0
	.set _ZN2at6native12_GLOBAL__N_16kernel17lstm_cell_forwardIddlLi1EEEvNS_4cuda6detail10TensorInfoIT_T1_EES9_S9_S9_S9_S9_S9_S9_S8_S8_.uses_vcc, 1
	.set _ZN2at6native12_GLOBAL__N_16kernel17lstm_cell_forwardIddlLi1EEEvNS_4cuda6detail10TensorInfoIT_T1_EES9_S9_S9_S9_S9_S9_S9_S8_S8_.uses_flat_scratch, 0
	.set _ZN2at6native12_GLOBAL__N_16kernel17lstm_cell_forwardIddlLi1EEEvNS_4cuda6detail10TensorInfoIT_T1_EES9_S9_S9_S9_S9_S9_S9_S8_S8_.has_dyn_sized_stack, 0
	.set _ZN2at6native12_GLOBAL__N_16kernel17lstm_cell_forwardIddlLi1EEEvNS_4cuda6detail10TensorInfoIT_T1_EES9_S9_S9_S9_S9_S9_S9_S8_S8_.has_recursion, 0
	.set _ZN2at6native12_GLOBAL__N_16kernel17lstm_cell_forwardIddlLi1EEEvNS_4cuda6detail10TensorInfoIT_T1_EES9_S9_S9_S9_S9_S9_S9_S8_S8_.has_indirect_call, 0
	.section	.AMDGPU.csdata,"",@progbits
; Kernel info:
; codeLenInByte = 7136
; TotalNumSgprs: 90
; NumVgprs: 70
; ScratchSize: 0
; MemoryBound: 0
; FloatMode: 240
; IeeeMode: 1
; LDSByteSize: 0 bytes/workgroup (compile time only)
; SGPRBlocks: 0
; VGPRBlocks: 8
; NumSGPRsForWavesPerEU: 90
; NumVGPRsForWavesPerEU: 70
; Occupancy: 16
; WaveLimiterHint : 1
; COMPUTE_PGM_RSRC2:SCRATCH_EN: 0
; COMPUTE_PGM_RSRC2:USER_SGPR: 2
; COMPUTE_PGM_RSRC2:TRAP_HANDLER: 0
; COMPUTE_PGM_RSRC2:TGID_X_EN: 1
; COMPUTE_PGM_RSRC2:TGID_Y_EN: 0
; COMPUTE_PGM_RSRC2:TGID_Z_EN: 0
; COMPUTE_PGM_RSRC2:TIDIG_COMP_CNT: 0
	.section	.text._ZN2at6native12_GLOBAL__N_16kernel17lstm_cell_forwardIddlLi2EEEvNS_4cuda6detail10TensorInfoIT_T1_EES9_S9_S9_S9_S9_S9_S9_S8_S8_,"axG",@progbits,_ZN2at6native12_GLOBAL__N_16kernel17lstm_cell_forwardIddlLi2EEEvNS_4cuda6detail10TensorInfoIT_T1_EES9_S9_S9_S9_S9_S9_S9_S8_S8_,comdat
	.globl	_ZN2at6native12_GLOBAL__N_16kernel17lstm_cell_forwardIddlLi2EEEvNS_4cuda6detail10TensorInfoIT_T1_EES9_S9_S9_S9_S9_S9_S9_S8_S8_ ; -- Begin function _ZN2at6native12_GLOBAL__N_16kernel17lstm_cell_forwardIddlLi2EEEvNS_4cuda6detail10TensorInfoIT_T1_EES9_S9_S9_S9_S9_S9_S9_S8_S8_
	.p2align	8
	.type	_ZN2at6native12_GLOBAL__N_16kernel17lstm_cell_forwardIddlLi2EEEvNS_4cuda6detail10TensorInfoIT_T1_EES9_S9_S9_S9_S9_S9_S9_S8_S8_,@function
_ZN2at6native12_GLOBAL__N_16kernel17lstm_cell_forwardIddlLi2EEEvNS_4cuda6detail10TensorInfoIT_T1_EES9_S9_S9_S9_S9_S9_S9_S8_S8_: ; @_ZN2at6native12_GLOBAL__N_16kernel17lstm_cell_forwardIddlLi2EEEvNS_4cuda6detail10TensorInfoIT_T1_EES9_S9_S9_S9_S9_S9_S9_S8_S8_
; %bb.0:
	s_clause 0x1
	s_load_b32 s2, s[0:1], 0xd1c
	s_load_b128 s[4:7], s[0:1], 0xd00
	v_mov_b32_e32 v1, 0
	s_mov_b32 s3, exec_lo
	s_wait_kmcnt 0x0
	s_and_b32 s2, s2, 0xffff
	s_delay_alu instid0(VALU_DEP_1) | instid1(SALU_CYCLE_1)
	v_mad_co_u64_u32 v[3:4], null, ttmp9, s2, v[0:1]
	v_mov_b32_e32 v4, v1
	s_delay_alu instid0(VALU_DEP_1)
	v_cmpx_gt_i64_e64 s[6:7], v[3:4]
	s_cbranch_execz .LBB3_70
; %bb.1:
	s_add_nc_u64 s[12:13], s[0:1], 0xd10
	s_clause 0x4
	s_load_b64 s[34:35], s[0:1], 0x340
	s_load_b64 s[36:37], s[0:1], 0x0
	;; [unrolled: 1-line block ×3, first 2 shown]
	s_load_b128 s[8:11], s[0:1], 0xd0
	s_load_b64 s[40:41], s[0:1], 0x1a0
	s_load_b32 s3, s[12:13], 0x0
	s_clause 0x2
	s_load_b64 s[42:43], s[0:1], 0x1b0
	s_load_b128 s[12:15], s[0:1], 0x270
	s_load_b64 s[16:17], s[0:1], 0x680
                                        ; implicit-def: $vgpr70 : SGPR spill to VGPR lane
	v_cvt_f32_u32_e32 v0, s4
	s_mov_b32 s100, 0xfefa39ef
	s_mov_b32 s72, 0xfca7ab0c
	;; [unrolled: 1-line block ×4, first 2 shown]
	v_rcp_iflag_f32_e32 v0, v0
	s_mov_b32 s78, 0x7c89e6b0
	s_mov_b32 s80, 0x14761f6e
	;; [unrolled: 1-line block ×5, first 2 shown]
	s_wait_kmcnt 0x0
	s_cmp_lg_u64 s[34:35], 0
	s_mov_b32 s88, 0x55555511
	v_cvt_f32_u32_e32 v2, s38
	s_mov_b32 s90, 11
	v_mul_f32_e32 v0, 0x4f7ffffe, v0
	s_cselect_b32 s33, -1, 0
	s_mul_i32 s104, s3, s2
	v_rcp_iflag_f32_e32 v2, v2
	v_writelane_b32 v70, s16, 0
	v_cvt_u32_f32_e32 v0, v0
	s_mov_b32 s101, 0xbfe62e42
	s_mov_b32 s73, 0x3e928af3
	;; [unrolled: 1-line block ×3, first 2 shown]
	v_writelane_b32 v70, s17, 1
	s_clause 0x5
	s_load_b64 s[46:47], s[0:1], 0x690
	s_load_b64 s[48:49], s[0:1], 0x410
	;; [unrolled: 1-line block ×4, first 2 shown]
	s_load_b128 s[16:19], s[0:1], 0x750
	s_load_b64 s[20:21], s[0:1], 0x820
	s_mov_b32 s77, 0x3ec71dee
	s_mov_b32 s79, 0x3efa0199
	v_mul_f32_e32 v2, 0x4f7ffffe, v2
	s_mov_b32 s81, 0x3f2a01a0
	s_mov_b32 s83, 0x3f56c16c
	;; [unrolled: 1-line block ×4, first 2 shown]
	v_cvt_u32_f32_e32 v63, v2
	s_mov_b32 s89, 0x3fc55555
	s_mov_b32 s91, 0x3fe00000
	s_mov_b32 vcc_hi, 0
	s_mov_b32 s97, 0
	s_mul_u64 s[98:99], s[4:5], 3
	s_mov_b32 s67, 0x3ff71547
	s_wait_kmcnt 0x0
	s_sub_nc_u64 s[102:103], 0, s[46:47]
	s_mov_b32 s68, 0xfefa3000
	v_writelane_b32 v70, s20, 2
	v_writelane_b32 v70, s21, 3
	s_clause 0x2
	s_load_b64 s[56:57], s[0:1], 0x830
	s_load_b128 s[20:23], s[0:1], 0x8f0
	s_load_b64 s[24:25], s[0:1], 0x9c0
	s_wait_kmcnt 0x0
	s_sub_nc_u64 s[92:93], 0, s[56:57]
	v_writelane_b32 v70, s24, 4
	v_writelane_b32 v70, s25, 5
	s_clause 0x4
	s_load_b64 s[60:61], s[0:1], 0x9d0
	s_load_b128 s[24:27], s[0:1], 0xa90
	s_load_b64 s[62:63], s[0:1], 0xb60
	s_load_b64 s[64:65], s[0:1], 0xb70
	s_load_b128 s[28:31], s[0:1], 0xc30
	s_sub_nc_u64 s[0:1], 0, s[4:5]
	s_wait_alu 0xfffe
	v_writelane_b32 v70, s0, 6
	v_writelane_b32 v70, s1, 7
	s_wait_kmcnt 0x0
	s_sub_nc_u64 s[94:95], 0, s[60:61]
	s_branch .LBB3_5
.LBB3_2:                                ;   in Loop: Header=BB3_5 Depth=1
	s_wait_alu 0xfffe
	s_or_b32 exec_lo, exec_lo, s0
	s_delay_alu instid0(SALU_CYCLE_1)
	s_and_not1_b32 vcc_lo, exec_lo, s33
	s_wait_alu 0xfffe
	s_cbranch_vccnz .LBB3_69
; %bb.3:                                ;   in Loop: Header=BB3_5 Depth=1
	v_readlane_b32 s0, v70, 6
	v_readlane_b32 s1, v70, 7
	v_sub_co_u32 v50, vcc_lo, 1, v17
	s_wait_alu 0xfffd
	v_sub_co_ci_u32_e64 v51, null, 0, v18, vcc_lo
	s_wait_alu 0xf1ff
	v_mad_co_u64_u32 v[45:46], null, s0, v17, v[3:4]
	v_mul_lo_u32 v2, s0, v18
	v_mul_lo_u32 v47, s1, v17
	;; [unrolled: 1-line block ×3, first 2 shown]
	s_delay_alu instid0(VALU_DEP_4) | instskip(NEXT) | instid1(VALU_DEP_3)
	v_mul_lo_u32 v48, v45, s49
	v_add3_u32 v2, v47, v46, v2
	v_mad_co_u64_u32 v[46:47], null, v45, s48, 0
	s_delay_alu instid0(VALU_DEP_2) | instskip(SKIP_1) | instid1(VALU_DEP_2)
	v_mul_lo_u32 v49, v2, s48
	v_mul_lo_u32 v2, v2, s52
	v_add3_u32 v47, v47, v48, v49
	v_mad_co_u64_u32 v[48:49], null, s4, v50, v[3:4]
	v_mul_lo_u32 v50, s4, v51
	s_delay_alu instid0(VALU_DEP_3) | instskip(NEXT) | instid1(VALU_DEP_3)
	v_lshlrev_b64_e32 v[46:47], 3, v[46:47]
	v_mul_lo_u32 v51, v48, s49
	s_delay_alu instid0(VALU_DEP_3) | instskip(SKIP_1) | instid1(VALU_DEP_2)
	v_add3_u32 v60, v52, v49, v50
	v_mad_co_u64_u32 v[49:50], null, v48, s48, 0
	v_mul_lo_u32 v52, v60, s48
	s_delay_alu instid0(VALU_DEP_1) | instskip(SKIP_3) | instid1(VALU_DEP_3)
	v_add3_u32 v50, v50, v51, v52
	v_sub_co_u32 v51, vcc_lo, 2, v17
	s_wait_alu 0xfffd
	v_sub_co_ci_u32_e64 v52, null, 0, v18, vcc_lo
	v_lshlrev_b64_e32 v[49:50], 3, v[49:50]
	s_delay_alu instid0(VALU_DEP_3) | instskip(SKIP_1) | instid1(VALU_DEP_4)
	v_mul_lo_u32 v54, s5, v51
	v_add_co_u32 v46, vcc_lo, s34, v46
	v_mul_lo_u32 v53, s4, v52
	v_mad_co_u64_u32 v[51:52], null, s4, v51, v[3:4]
	s_wait_alu 0xfffd
	v_add_co_ci_u32_e64 v47, null, s35, v47, vcc_lo
	v_add_co_u32 v49, vcc_lo, s34, v49
	s_wait_alu 0xfffd
	v_add_co_ci_u32_e64 v50, null, s35, v50, vcc_lo
	s_delay_alu instid0(VALU_DEP_4) | instskip(SKIP_3) | instid1(VALU_DEP_4)
	v_add3_u32 v61, v54, v52, v53
	v_mul_lo_u32 v55, v51, s49
	v_mad_co_u64_u32 v[52:53], null, v51, s48, 0
	v_sub_co_u32 v17, vcc_lo, 3, v17
	v_mul_lo_u32 v54, v61, s48
	s_wait_alu 0xfffd
	v_sub_co_ci_u32_e64 v18, null, 0, v18, vcc_lo
	s_delay_alu instid0(VALU_DEP_2) | instskip(NEXT) | instid1(VALU_DEP_2)
	v_add3_u32 v53, v53, v55, v54
	v_mul_lo_u32 v54, s4, v18
	v_mul_lo_u32 v55, s5, v17
	v_mad_co_u64_u32 v[17:18], null, s4, v17, v[3:4]
	s_delay_alu instid0(VALU_DEP_4) | instskip(NEXT) | instid1(VALU_DEP_2)
	v_lshlrev_b64_e32 v[52:53], 3, v[52:53]
	v_add3_u32 v18, v55, v18, v54
	s_delay_alu instid0(VALU_DEP_3) | instskip(SKIP_1) | instid1(VALU_DEP_3)
	v_mul_lo_u32 v57, v17, s49
	v_mad_co_u64_u32 v[54:55], null, v17, s48, 0
	v_mul_lo_u32 v56, v18, s48
	s_delay_alu instid0(VALU_DEP_1) | instskip(SKIP_3) | instid1(VALU_DEP_3)
	v_add3_u32 v55, v55, v57, v56
	v_add_co_u32 v56, vcc_lo, s34, v52
	s_wait_alu 0xfffd
	v_add_co_ci_u32_e64 v57, null, s35, v53, vcc_lo
	v_lshlrev_b64_e32 v[52:53], 3, v[54:55]
	v_mul_lo_u32 v54, v45, s53
	s_delay_alu instid0(VALU_DEP_2) | instskip(SKIP_1) | instid1(VALU_DEP_3)
	v_add_co_u32 v58, vcc_lo, s34, v52
	s_wait_alu 0xfffd
	v_add_co_ci_u32_e64 v59, null, s35, v53, vcc_lo
	v_mad_co_u64_u32 v[52:53], null, v45, s52, 0
	v_mul_lo_u32 v45, v48, s53
	s_delay_alu instid0(VALU_DEP_2) | instskip(SKIP_2) | instid1(VALU_DEP_1)
	v_add3_u32 v53, v53, v54, v2
	v_mul_lo_u32 v2, v60, s52
	v_mad_co_u64_u32 v[54:55], null, v48, s52, 0
	v_add3_u32 v55, v55, v45, v2
	v_mul_lo_u32 v2, v61, s52
	v_mul_lo_u32 v45, v51, s53
	v_mad_co_u64_u32 v[60:61], null, v51, s52, 0
	v_lshlrev_b64_e32 v[51:52], 3, v[52:53]
	s_delay_alu instid0(VALU_DEP_2)
	v_add3_u32 v61, v61, v45, v2
	v_mul_lo_u32 v2, v18, s52
	v_mul_lo_u32 v45, v17, s53
	v_mad_co_u64_u32 v[17:18], null, v17, s52, 0
	v_add_co_u32 v64, vcc_lo, s50, v51
	s_wait_alu 0xfffd
	v_add_co_ci_u32_e64 v65, null, s51, v52, vcc_lo
	v_lshlrev_b64_e32 v[51:52], 3, v[54:55]
	s_delay_alu instid0(VALU_DEP_4) | instskip(NEXT) | instid1(VALU_DEP_2)
	v_add3_u32 v18, v18, v45, v2
	v_add_co_u32 v66, vcc_lo, s50, v51
	s_wait_alu 0xfffd
	s_delay_alu instid0(VALU_DEP_3) | instskip(SKIP_2) | instid1(VALU_DEP_2)
	v_add_co_ci_u32_e64 v67, null, s51, v52, vcc_lo
	v_lshlrev_b64_e32 v[51:52], 3, v[60:61]
	v_lshlrev_b64_e32 v[17:18], 3, v[17:18]
	v_add_co_u32 v68, vcc_lo, s50, v51
	s_wait_alu 0xfffd
	s_delay_alu instid0(VALU_DEP_3) | instskip(NEXT) | instid1(VALU_DEP_3)
	v_add_co_ci_u32_e64 v69, null, s51, v52, vcc_lo
	v_add_co_u32 v17, vcc_lo, s50, v17
	s_wait_alu 0xfffd
	v_add_co_ci_u32_e64 v18, null, s51, v18, vcc_lo
	s_clause 0x3
	global_load_b64 v[61:62], v[46:47], off
	global_load_b64 v[51:52], v[49:50], off
	;; [unrolled: 1-line block ×4, first 2 shown]
	s_clause 0x3
	global_load_b64 v[59:60], v[64:65], off
	global_load_b64 v[49:50], v[66:67], off
	;; [unrolled: 1-line block ×4, first 2 shown]
.LBB3_4:                                ;   in Loop: Header=BB3_5 Depth=1
	s_wait_loadcnt 0x2
	v_add_f64_e32 v[21:22], v[21:22], v[35:36]
	s_mov_b32 s0, 0x652b82fe
	s_mov_b32 s1, 0xbff71547
	s_wait_alu 0xfffe
	s_mov_b32 s66, s0
	s_mov_b32 s69, s101
	;; [unrolled: 1-line block ×6, first 2 shown]
	v_add_f64_e32 v[13:14], v[13:14], v[23:24]
	s_mov_b32 s2, 0x3b39803f
	s_mov_b32 s3, 0xbc7abc9e
	v_add_f64_e32 v[15:16], v[15:16], v[27:28]
	s_delay_alu instid0(VALU_DEP_3) | instskip(NEXT) | instid1(VALU_DEP_3)
	v_add_f64_e32 v[21:22], v[21:22], v[53:54]
	v_add_f64_e32 v[13:14], v[13:14], v[61:62]
	s_delay_alu instid0(VALU_DEP_3) | instskip(SKIP_1) | instid1(VALU_DEP_3)
	v_add_f64_e32 v[15:16], v[15:16], v[51:52]
	s_wait_loadcnt 0x1
	v_add_f64_e32 v[21:22], v[47:48], v[21:22]
	s_delay_alu instid0(VALU_DEP_3) | instskip(NEXT) | instid1(VALU_DEP_3)
	v_add_f64_e32 v[13:14], v[59:60], v[13:14]
	v_add_f64_e32 v[27:28], v[49:50], v[15:16]
	s_wait_alu 0xfffe
	s_delay_alu instid0(VALU_DEP_3) | instskip(NEXT) | instid1(VALU_DEP_3)
	v_mul_f64_e64 v[35:36], |v[21:22]|, s[66:67]
	v_mul_f64_e32 v[23:24], s[0:1], v[13:14]
	s_delay_alu instid0(VALU_DEP_3) | instskip(NEXT) | instid1(VALU_DEP_3)
	v_mul_f64_e32 v[15:16], s[0:1], v[27:28]
	v_rndne_f64_e32 v[35:36], v[35:36]
	s_delay_alu instid0(VALU_DEP_3) | instskip(NEXT) | instid1(VALU_DEP_3)
	v_rndne_f64_e32 v[23:24], v[23:24]
	v_rndne_f64_e32 v[15:16], v[15:16]
	s_delay_alu instid0(VALU_DEP_3) | instskip(SKIP_1) | instid1(VALU_DEP_4)
	v_fma_f64 v[47:48], v[35:36], s[68:69], |v[21:22]|
	v_mul_f64_e32 v[55:56], s[44:45], v[35:36]
	v_fma_f64 v[59:60], v[23:24], s[100:101], -v[13:14]
	v_cvt_i32_f64_e32 v2, v[23:24]
	v_fma_f64 v[49:50], v[15:16], s[100:101], -v[27:28]
	v_add_f64_e32 v[53:54], 0, v[47:48]
	s_delay_alu instid0(VALU_DEP_4) | instskip(NEXT) | instid1(VALU_DEP_3)
	v_fma_f64 v[59:60], v[23:24], s[2:3], v[59:60]
	v_fma_f64 v[49:50], v[15:16], s[2:3], v[49:50]
	s_delay_alu instid0(VALU_DEP_3) | instskip(SKIP_1) | instid1(VALU_DEP_4)
	v_add_f64_e64 v[57:58], v[53:54], -v[55:56]
	v_add_f64_e64 v[47:48], v[47:48], -v[53:54]
	v_fma_f64 v[61:62], v[59:60], s[74:75], s[72:73]
	s_delay_alu instid0(VALU_DEP_4) | instskip(NEXT) | instid1(VALU_DEP_4)
	v_fma_f64 v[51:52], v[49:50], s[74:75], s[72:73]
	v_add_f64_e64 v[53:54], v[53:54], -v[57:58]
	s_delay_alu instid0(VALU_DEP_4) | instskip(NEXT) | instid1(VALU_DEP_4)
	v_add_f64_e32 v[47:48], 0, v[47:48]
	v_fma_f64 v[61:62], v[59:60], v[61:62], s[76:77]
	s_delay_alu instid0(VALU_DEP_4) | instskip(NEXT) | instid1(VALU_DEP_4)
	v_fma_f64 v[51:52], v[49:50], v[51:52], s[76:77]
	v_add_f64_e64 v[53:54], v[53:54], -v[55:56]
	s_delay_alu instid0(VALU_DEP_3) | instskip(NEXT) | instid1(VALU_DEP_3)
	v_fma_f64 v[61:62], v[59:60], v[61:62], s[78:79]
	v_fma_f64 v[51:52], v[49:50], v[51:52], s[78:79]
	s_delay_alu instid0(VALU_DEP_3) | instskip(NEXT) | instid1(VALU_DEP_3)
	v_add_f64_e32 v[47:48], v[47:48], v[53:54]
	v_fma_f64 v[61:62], v[59:60], v[61:62], s[80:81]
	s_delay_alu instid0(VALU_DEP_3) | instskip(NEXT) | instid1(VALU_DEP_3)
	v_fma_f64 v[51:52], v[49:50], v[51:52], s[80:81]
	v_add_f64_e32 v[53:54], v[57:58], v[47:48]
	s_delay_alu instid0(VALU_DEP_3) | instskip(NEXT) | instid1(VALU_DEP_3)
	v_fma_f64 v[61:62], v[59:60], v[61:62], s[82:83]
	v_fma_f64 v[51:52], v[49:50], v[51:52], s[82:83]
	s_delay_alu instid0(VALU_DEP_3) | instskip(NEXT) | instid1(VALU_DEP_3)
	v_add_f64_e64 v[55:56], v[57:58], -v[53:54]
	v_fma_f64 v[61:62], v[59:60], v[61:62], s[84:85]
	s_delay_alu instid0(VALU_DEP_3) | instskip(NEXT) | instid1(VALU_DEP_3)
	v_fma_f64 v[51:52], v[49:50], v[51:52], s[84:85]
	v_add_f64_e32 v[47:48], v[47:48], v[55:56]
	v_mul_f64_e32 v[55:56], s[54:55], v[35:36]
	s_delay_alu instid0(VALU_DEP_4) | instskip(NEXT) | instid1(VALU_DEP_4)
	v_fma_f64 v[61:62], v[59:60], v[61:62], s[86:87]
	v_fma_f64 v[51:52], v[49:50], v[51:52], s[86:87]
	s_delay_alu instid0(VALU_DEP_3) | instskip(NEXT) | instid1(VALU_DEP_3)
	v_add_f64_e64 v[57:58], v[53:54], -v[55:56]
	v_fma_f64 v[61:62], v[59:60], v[61:62], s[88:89]
	s_delay_alu instid0(VALU_DEP_3) | instskip(NEXT) | instid1(VALU_DEP_3)
	v_fma_f64 v[51:52], v[49:50], v[51:52], s[88:89]
	v_add_f64_e64 v[53:54], v[53:54], -v[57:58]
	s_delay_alu instid0(VALU_DEP_3) | instskip(NEXT) | instid1(VALU_DEP_3)
	v_fma_f64 v[61:62], v[59:60], v[61:62], s[90:91]
	v_fma_f64 v[51:52], v[49:50], v[51:52], s[90:91]
	s_delay_alu instid0(VALU_DEP_3) | instskip(NEXT) | instid1(VALU_DEP_3)
	v_add_f64_e64 v[53:54], v[53:54], -v[55:56]
	v_fma_f64 v[61:62], v[59:60], v[61:62], 1.0
	s_delay_alu instid0(VALU_DEP_3) | instskip(NEXT) | instid1(VALU_DEP_3)
	v_fma_f64 v[51:52], v[49:50], v[51:52], 1.0
	v_add_f64_e32 v[53:54], v[47:48], v[53:54]
	s_delay_alu instid0(VALU_DEP_3) | instskip(NEXT) | instid1(VALU_DEP_3)
	v_fma_f64 v[59:60], v[59:60], v[61:62], 1.0
	v_fma_f64 v[49:50], v[49:50], v[51:52], 1.0
	s_delay_alu instid0(VALU_DEP_3) | instskip(NEXT) | instid1(VALU_DEP_3)
	v_add_f64_e32 v[47:48], v[57:58], v[53:54]
	v_ldexp_f64 v[23:24], v[59:60], v2
	v_cvt_i32_f64_e32 v2, v[15:16]
	s_delay_alu instid0(VALU_DEP_3) | instskip(NEXT) | instid1(VALU_DEP_3)
	v_add_f64_e64 v[55:56], v[57:58], -v[47:48]
	v_add_f64_e32 v[23:24], 1.0, v[23:24]
	s_delay_alu instid0(VALU_DEP_3) | instskip(NEXT) | instid1(VALU_DEP_3)
	v_ldexp_f64 v[15:16], v[49:50], v2
	v_add_f64_e32 v[53:54], v[53:54], v[55:56]
	v_mul_f64_e32 v[55:56], v[47:48], v[47:48]
	s_delay_alu instid0(VALU_DEP_4) | instskip(NEXT) | instid1(VALU_DEP_4)
	v_div_scale_f64 v[59:60], null, v[23:24], v[23:24], 1.0
	v_add_f64_e32 v[49:50], 1.0, v[15:16]
	s_delay_alu instid0(VALU_DEP_4) | instskip(NEXT) | instid1(VALU_DEP_4)
	v_add_f64_e32 v[64:65], v[53:54], v[53:54]
	v_fma_f64 v[57:58], v[47:48], v[47:48], -v[55:56]
	s_delay_alu instid0(VALU_DEP_4) | instskip(NEXT) | instid1(VALU_DEP_3)
	v_rcp_f64_e32 v[61:62], v[59:60]
	v_div_scale_f64 v[15:16], null, v[49:50], v[49:50], 1.0
	s_delay_alu instid0(VALU_DEP_2) | instskip(NEXT) | instid1(VALU_DEP_2)
	v_fma_f64 v[57:58], v[47:48], v[64:65], v[57:58]
	v_rcp_f64_e32 v[51:52], v[15:16]
	s_delay_alu instid0(VALU_DEP_1) | instskip(NEXT) | instid1(VALU_DEP_1)
	v_add_f64_e32 v[64:65], v[55:56], v[57:58]
	v_add_f64_e64 v[55:56], v[64:65], -v[55:56]
	s_delay_alu instid0(VALU_DEP_1) | instskip(SKIP_1) | instid1(VALU_DEP_1)
	v_add_f64_e64 v[57:58], v[57:58], -v[55:56]
	v_fma_f64 v[55:56], v[47:48], s[74:75], s[72:73]
	v_fma_f64 v[55:56], v[47:48], v[55:56], s[76:77]
	s_delay_alu instid0(VALU_DEP_1) | instskip(NEXT) | instid1(VALU_DEP_1)
	v_fma_f64 v[55:56], v[47:48], v[55:56], s[78:79]
	v_fma_f64 v[55:56], v[47:48], v[55:56], s[80:81]
	s_delay_alu instid0(VALU_DEP_1) | instskip(NEXT) | instid1(VALU_DEP_1)
	;; [unrolled: 3-line block ×4, first 2 shown]
	v_fma_f64 v[66:67], v[47:48], v[55:56], s[90:91]
	v_mul_f64_e32 v[55:56], v[64:65], v[66:67]
	s_delay_alu instid0(VALU_DEP_1) | instskip(NEXT) | instid1(VALU_DEP_1)
	v_fma_f64 v[64:65], v[64:65], v[66:67], -v[55:56]
	v_fma_f64 v[57:58], v[57:58], v[66:67], v[64:65]
	s_delay_alu instid0(TRANS32_DEP_2) | instskip(NEXT) | instid1(VALU_DEP_1)
	v_fma_f64 v[64:65], -v[59:60], v[61:62], 1.0
	v_fma_f64 v[61:62], v[61:62], v[64:65], v[61:62]
	s_delay_alu instid0(VALU_DEP_1) | instskip(NEXT) | instid1(VALU_DEP_1)
	v_fma_f64 v[64:65], -v[59:60], v[61:62], 1.0
	v_fma_f64 v[61:62], v[61:62], v[64:65], v[61:62]
	v_div_scale_f64 v[64:65], vcc_lo, 1.0, v[23:24], 1.0
	s_delay_alu instid0(VALU_DEP_1) | instskip(NEXT) | instid1(VALU_DEP_1)
	v_mul_f64_e32 v[66:67], v[64:65], v[61:62]
	v_fma_f64 v[59:60], -v[59:60], v[66:67], v[64:65]
	s_wait_alu 0xfffd
	s_delay_alu instid0(VALU_DEP_1) | instskip(NEXT) | instid1(TRANS32_DEP_1)
	v_div_fmas_f64 v[59:60], v[59:60], v[61:62], v[66:67]
	v_fma_f64 v[61:62], -v[15:16], v[51:52], 1.0
	s_delay_alu instid0(VALU_DEP_1) | instskip(NEXT) | instid1(VALU_DEP_1)
	v_fma_f64 v[51:52], v[51:52], v[61:62], v[51:52]
	v_fma_f64 v[61:62], -v[15:16], v[51:52], 1.0
	s_delay_alu instid0(VALU_DEP_1) | instskip(SKIP_1) | instid1(VALU_DEP_1)
	v_fma_f64 v[51:52], v[51:52], v[61:62], v[51:52]
	v_div_scale_f64 v[61:62], vcc_lo, 1.0, v[49:50], 1.0
	v_mul_f64_e32 v[64:65], v[61:62], v[51:52]
	s_delay_alu instid0(VALU_DEP_1) | instskip(SKIP_1) | instid1(VALU_DEP_1)
	v_fma_f64 v[15:16], -v[15:16], v[64:65], v[61:62]
	s_wait_alu 0xfffd
	v_div_fmas_f64 v[51:52], v[15:16], v[51:52], v[64:65]
	v_add_f64_e32 v[15:16], v[19:20], v[31:32]
	s_delay_alu instid0(VALU_DEP_1) | instskip(SKIP_1) | instid1(VALU_DEP_1)
	v_add_f64_e32 v[15:16], v[15:16], v[45:46]
	s_wait_loadcnt 0x0
	v_add_f64_e32 v[15:16], v[17:18], v[15:16]
	s_delay_alu instid0(VALU_DEP_1) | instskip(SKIP_2) | instid1(VALU_DEP_3)
	v_mul_f64_e32 v[17:18], s[0:1], v[15:16]
	v_cmp_nlt_f64_e64 s0, 0x4090cc00, v[13:14]
	v_cmp_ngt_f64_e64 s1, 0xc0900000, v[27:28]
	v_rndne_f64_e32 v[17:18], v[17:18]
	s_delay_alu instid0(VALU_DEP_1) | instskip(SKIP_1) | instid1(VALU_DEP_2)
	v_fma_f64 v[19:20], v[17:18], s[100:101], -v[15:16]
	v_cvt_i32_f64_e32 v2, v[17:18]
	v_fma_f64 v[19:20], v[17:18], s[2:3], v[19:20]
	v_cmp_nlt_f64_e64 s2, 0x4090cc00, v[27:28]
	s_delay_alu instid0(VALU_DEP_2) | instskip(NEXT) | instid1(VALU_DEP_1)
	v_fma_f64 v[31:32], v[19:20], s[74:75], s[72:73]
	v_fma_f64 v[31:32], v[19:20], v[31:32], s[76:77]
	s_delay_alu instid0(VALU_DEP_1) | instskip(NEXT) | instid1(VALU_DEP_1)
	v_fma_f64 v[31:32], v[19:20], v[31:32], s[78:79]
	v_fma_f64 v[31:32], v[19:20], v[31:32], s[80:81]
	s_delay_alu instid0(VALU_DEP_1) | instskip(NEXT) | instid1(VALU_DEP_1)
	;; [unrolled: 3-line block ×4, first 2 shown]
	v_fma_f64 v[31:32], v[19:20], v[31:32], s[90:91]
	v_fma_f64 v[31:32], v[19:20], v[31:32], 1.0
	s_delay_alu instid0(VALU_DEP_1) | instskip(NEXT) | instid1(VALU_DEP_1)
	v_fma_f64 v[19:20], v[19:20], v[31:32], 1.0
	v_ldexp_f64 v[17:18], v[19:20], v2
	v_cvt_i32_f64_e32 v2, v[35:36]
	s_delay_alu instid0(VALU_DEP_2) | instskip(NEXT) | instid1(VALU_DEP_1)
	v_add_f64_e32 v[17:18], 1.0, v[17:18]
	v_div_scale_f64 v[19:20], null, v[17:18], v[17:18], 1.0
	s_delay_alu instid0(VALU_DEP_1) | instskip(NEXT) | instid1(TRANS32_DEP_1)
	v_rcp_f64_e32 v[31:32], v[19:20]
	v_fma_f64 v[45:46], -v[19:20], v[31:32], 1.0
	s_delay_alu instid0(VALU_DEP_1) | instskip(NEXT) | instid1(VALU_DEP_1)
	v_fma_f64 v[31:32], v[31:32], v[45:46], v[31:32]
	v_fma_f64 v[45:46], -v[19:20], v[31:32], 1.0
	s_delay_alu instid0(VALU_DEP_1) | instskip(SKIP_1) | instid1(VALU_DEP_1)
	v_fma_f64 v[31:32], v[31:32], v[45:46], v[31:32]
	v_div_scale_f64 v[45:46], vcc_lo, 1.0, v[17:18], 1.0
	v_mul_f64_e32 v[61:62], v[45:46], v[31:32]
	s_delay_alu instid0(VALU_DEP_1) | instskip(SKIP_1) | instid1(VALU_DEP_1)
	v_fma_f64 v[19:20], -v[19:20], v[61:62], v[45:46]
	s_wait_alu 0xfffd
	v_div_fmas_f64 v[19:20], v[19:20], v[31:32], v[61:62]
	v_add_f64_e32 v[31:32], v[55:56], v[57:58]
	v_cmp_nlt_f64_e64 vcc_lo, 0x40331000, |v[21:22]|
	s_delay_alu instid0(VALU_DEP_2) | instskip(SKIP_1) | instid1(VALU_DEP_2)
	v_add_f64_e64 v[45:46], v[31:32], -v[55:56]
	v_add_f64_e32 v[55:56], v[47:48], v[31:32]
	v_add_f64_e64 v[45:46], v[57:58], -v[45:46]
	s_delay_alu instid0(VALU_DEP_2) | instskip(NEXT) | instid1(VALU_DEP_2)
	v_add_f64_e64 v[47:48], v[55:56], -v[47:48]
	v_add_f64_e32 v[45:46], v[53:54], v[45:46]
	s_delay_alu instid0(VALU_DEP_2) | instskip(NEXT) | instid1(VALU_DEP_1)
	v_add_f64_e64 v[31:32], v[31:32], -v[47:48]
	v_add_f64_e32 v[31:32], v[45:46], v[31:32]
	s_delay_alu instid0(VALU_DEP_1) | instskip(NEXT) | instid1(VALU_DEP_1)
	v_add_f64_e32 v[45:46], v[55:56], v[31:32]
	v_add_f64_e64 v[47:48], v[45:46], -v[55:56]
	s_delay_alu instid0(VALU_DEP_1) | instskip(SKIP_1) | instid1(VALU_DEP_1)
	v_add_f64_e64 v[31:32], v[31:32], -v[47:48]
	v_add_f64_e32 v[47:48], 1.0, v[45:46]
	v_add_f64_e32 v[53:54], -1.0, v[47:48]
	s_delay_alu instid0(VALU_DEP_1) | instskip(NEXT) | instid1(VALU_DEP_1)
	v_add_f64_e64 v[45:46], v[45:46], -v[53:54]
	v_add_f64_e32 v[31:32], v[31:32], v[45:46]
	s_delay_alu instid0(VALU_DEP_1) | instskip(NEXT) | instid1(VALU_DEP_1)
	v_add_f64_e32 v[35:36], v[47:48], v[31:32]
	v_add_f64_e64 v[45:46], v[35:36], -v[47:48]
	v_ldexp_f64 v[35:36], v[35:36], v2
	s_delay_alu instid0(VALU_DEP_2) | instskip(NEXT) | instid1(VALU_DEP_2)
	v_add_f64_e64 v[31:32], v[31:32], -v[45:46]
	v_rcp_f64_e32 v[47:48], v[35:36]
	s_delay_alu instid0(VALU_DEP_1) | instskip(NEXT) | instid1(TRANS32_DEP_1)
	v_ldexp_f64 v[31:32], v[31:32], v2
	v_fma_f64 v[53:54], -v[35:36], v[47:48], 1.0
	s_delay_alu instid0(VALU_DEP_1) | instskip(NEXT) | instid1(VALU_DEP_1)
	v_fma_f64 v[47:48], v[53:54], v[47:48], v[47:48]
	v_fma_f64 v[45:46], -v[35:36], v[47:48], 1.0
	s_delay_alu instid0(VALU_DEP_1) | instskip(NEXT) | instid1(VALU_DEP_1)
	v_fma_f64 v[45:46], v[45:46], v[47:48], v[47:48]
	v_mul_f64_e32 v[47:48], v[35:36], v[45:46]
	s_delay_alu instid0(VALU_DEP_1) | instskip(NEXT) | instid1(VALU_DEP_1)
	v_fma_f64 v[53:54], v[45:46], v[35:36], -v[47:48]
	v_fma_f64 v[53:54], v[45:46], v[31:32], v[53:54]
	s_delay_alu instid0(VALU_DEP_1) | instskip(NEXT) | instid1(VALU_DEP_1)
	v_add_f64_e32 v[55:56], v[47:48], v[53:54]
	v_add_f64_e64 v[47:48], v[55:56], -v[47:48]
	s_delay_alu instid0(VALU_DEP_1) | instskip(SKIP_1) | instid1(VALU_DEP_1)
	v_add_f64_e64 v[47:48], v[47:48], -v[53:54]
	v_add_f64_e64 v[53:54], -v[55:56], 1.0
	v_add_f64_e64 v[57:58], -v[53:54], 1.0
	s_delay_alu instid0(VALU_DEP_1) | instskip(NEXT) | instid1(VALU_DEP_1)
	v_add_f64_e64 v[55:56], v[57:58], -v[55:56]
	v_add_f64_e32 v[47:48], v[47:48], v[55:56]
	s_delay_alu instid0(VALU_DEP_1) | instskip(NEXT) | instid1(VALU_DEP_1)
	v_add_f64_e32 v[55:56], v[53:54], v[47:48]
	v_add_f64_e64 v[53:54], v[53:54], -v[55:56]
	s_delay_alu instid0(VALU_DEP_1) | instskip(SKIP_1) | instid1(VALU_DEP_1)
	v_add_f64_e32 v[47:48], v[47:48], v[53:54]
	v_mul_f64_e32 v[53:54], v[45:46], v[55:56]
	v_mul_f64_e32 v[57:58], v[35:36], v[53:54]
	s_delay_alu instid0(VALU_DEP_1) | instskip(NEXT) | instid1(VALU_DEP_1)
	v_fma_f64 v[61:62], v[53:54], v[35:36], -v[57:58]
	v_fma_f64 v[61:62], v[53:54], v[31:32], v[61:62]
	s_delay_alu instid0(VALU_DEP_1) | instskip(NEXT) | instid1(VALU_DEP_1)
	v_add_f64_e32 v[64:65], v[57:58], v[61:62]
	v_add_f64_e64 v[66:67], v[55:56], -v[64:65]
	v_add_f64_e64 v[57:58], v[64:65], -v[57:58]
	s_delay_alu instid0(VALU_DEP_2) | instskip(NEXT) | instid1(VALU_DEP_2)
	v_add_f64_e64 v[55:56], v[55:56], -v[66:67]
	v_add_f64_e64 v[57:58], v[57:58], -v[61:62]
	s_delay_alu instid0(VALU_DEP_2) | instskip(NEXT) | instid1(VALU_DEP_1)
	v_add_f64_e64 v[55:56], v[55:56], -v[64:65]
	v_add_f64_e32 v[47:48], v[47:48], v[55:56]
	v_add_f64_e32 v[55:56], v[45:46], v[53:54]
	s_delay_alu instid0(VALU_DEP_2) | instskip(NEXT) | instid1(VALU_DEP_2)
	v_add_f64_e32 v[47:48], v[57:58], v[47:48]
	v_add_f64_e64 v[57:58], v[55:56], -v[45:46]
	s_delay_alu instid0(VALU_DEP_2) | instskip(NEXT) | instid1(VALU_DEP_2)
	v_add_f64_e32 v[47:48], v[66:67], v[47:48]
	v_add_f64_e64 v[53:54], v[53:54], -v[57:58]
	s_delay_alu instid0(VALU_DEP_2) | instskip(NEXT) | instid1(VALU_DEP_1)
	v_mul_f64_e32 v[45:46], v[45:46], v[47:48]
	v_add_f64_e32 v[45:46], v[53:54], v[45:46]
	s_delay_alu instid0(VALU_DEP_1) | instskip(NEXT) | instid1(VALU_DEP_1)
	v_add_f64_e32 v[47:48], v[55:56], v[45:46]
	v_add_f64_e64 v[53:54], v[47:48], -v[55:56]
	v_add_f64_e32 v[55:56], v[35:36], v[47:48]
	s_delay_alu instid0(VALU_DEP_2) | instskip(SKIP_1) | instid1(VALU_DEP_1)
	v_add_f64_e64 v[45:46], v[45:46], -v[53:54]
	v_add_f64_e64 v[53:54], v[35:36], -v[47:48]
	;; [unrolled: 1-line block ×3, first 2 shown]
	s_delay_alu instid0(VALU_DEP_4) | instskip(NEXT) | instid1(VALU_DEP_2)
	v_add_f64_e64 v[35:36], v[55:56], -v[35:36]
	v_add_f64_e64 v[57:58], v[57:58], -v[47:48]
	s_delay_alu instid0(VALU_DEP_2) | instskip(NEXT) | instid1(VALU_DEP_2)
	v_add_f64_e64 v[35:36], v[47:48], -v[35:36]
	v_add_f64_e32 v[47:48], v[31:32], v[57:58]
	v_add_f64_e32 v[31:32], v[31:32], v[45:46]
	s_delay_alu instid0(VALU_DEP_1) | instskip(NEXT) | instid1(VALU_DEP_3)
	v_add_f64_e32 v[31:32], v[31:32], v[35:36]
	v_add_f64_e64 v[35:36], v[47:48], -v[45:46]
	s_delay_alu instid0(VALU_DEP_2) | instskip(NEXT) | instid1(VALU_DEP_1)
	v_add_f64_e32 v[45:46], v[55:56], v[31:32]
	v_rcp_f64_e32 v[47:48], v[45:46]
	v_add_f64_e64 v[55:56], v[45:46], -v[55:56]
	s_delay_alu instid0(VALU_DEP_1) | instskip(NEXT) | instid1(TRANS32_DEP_1)
	v_add_f64_e64 v[31:32], v[31:32], -v[55:56]
	v_fma_f64 v[57:58], -v[45:46], v[47:48], 1.0
	s_delay_alu instid0(VALU_DEP_1) | instskip(NEXT) | instid1(VALU_DEP_1)
	v_fma_f64 v[47:48], v[57:58], v[47:48], v[47:48]
	v_fma_f64 v[55:56], -v[45:46], v[47:48], 1.0
	s_delay_alu instid0(VALU_DEP_1) | instskip(SKIP_1) | instid1(VALU_DEP_1)
	v_fma_f64 v[47:48], v[55:56], v[47:48], v[47:48]
	v_add_f64_e32 v[55:56], v[53:54], v[35:36]
	v_mul_f64_e32 v[57:58], v[55:56], v[47:48]
	v_add_f64_e64 v[53:54], v[55:56], -v[53:54]
	s_delay_alu instid0(VALU_DEP_2) | instskip(NEXT) | instid1(VALU_DEP_2)
	v_mul_f64_e32 v[61:62], v[45:46], v[57:58]
	v_add_f64_e64 v[35:36], v[35:36], -v[53:54]
	s_delay_alu instid0(VALU_DEP_2) | instskip(NEXT) | instid1(VALU_DEP_1)
	v_fma_f64 v[45:46], v[57:58], v[45:46], -v[61:62]
	v_fma_f64 v[31:32], v[57:58], v[31:32], v[45:46]
	s_delay_alu instid0(VALU_DEP_1) | instskip(NEXT) | instid1(VALU_DEP_1)
	v_add_f64_e32 v[45:46], v[61:62], v[31:32]
	v_add_f64_e64 v[61:62], v[45:46], -v[61:62]
	s_delay_alu instid0(VALU_DEP_1) | instskip(SKIP_1) | instid1(VALU_DEP_1)
	v_add_f64_e64 v[31:32], v[31:32], -v[61:62]
	v_add_f64_e64 v[61:62], v[55:56], -v[45:46]
	;; [unrolled: 1-line block ×3, first 2 shown]
	s_delay_alu instid0(VALU_DEP_1) | instskip(NEXT) | instid1(VALU_DEP_1)
	v_add_f64_e64 v[45:46], v[55:56], -v[45:46]
	v_add_f64_e64 v[31:32], v[45:46], -v[31:32]
	s_delay_alu instid0(VALU_DEP_1) | instskip(NEXT) | instid1(VALU_DEP_1)
	v_add_f64_e32 v[31:32], v[35:36], v[31:32]
	v_add_f64_e32 v[31:32], v[61:62], v[31:32]
	s_delay_alu instid0(VALU_DEP_1) | instskip(NEXT) | instid1(VALU_DEP_1)
	v_mul_f64_e32 v[31:32], v[47:48], v[31:32]
	v_add_f64_e32 v[31:32], v[57:58], v[31:32]
	s_wait_alu 0xfffd
	s_delay_alu instid0(VALU_DEP_1) | instskip(NEXT) | instid1(VALU_DEP_2)
	v_cndmask_b32_e32 v2, 0x3ff00000, v32, vcc_lo
	v_dual_cndmask_b32 v31, 0, v31 :: v_dual_and_b32 v32, 0x7fffffff, v22
	v_cmp_gt_f64_e64 vcc_lo, 0x3e400000, |v[21:22]|
	s_wait_alu 0xfffd
	s_delay_alu instid0(VALU_DEP_2) | instskip(SKIP_3) | instid1(VALU_DEP_4)
	v_dual_cndmask_b32 v2, v2, v32 :: v_dual_cndmask_b32 v21, v31, v21
	v_cmp_ngt_f64_e32 vcc_lo, 0xc0900000, v[13:14]
	v_div_fixup_f64 v[13:14], v[59:60], v[23:24], 1.0
	v_div_fixup_f64 v[23:24], v[51:52], v[49:50], 1.0
	v_bfi_b32 v22, 0x7fffffff, v2, v22
	s_and_b32 s3, s0, vcc_lo
	s_delay_alu instid0(VALU_DEP_3) | instskip(SKIP_2) | instid1(VALU_DEP_4)
	v_cndmask_b32_e32 v2, 0, v14, vcc_lo
	s_and_b32 vcc_lo, s2, s1
	s_wait_alu 0xfffe
	v_cndmask_b32_e64 v13, 0, v13, s3
	s_delay_alu instid0(VALU_DEP_4) | instskip(SKIP_4) | instid1(VALU_DEP_4)
	v_cndmask_b32_e32 v23, 0, v23, vcc_lo
	v_cndmask_b32_e64 v14, 0x3ff00000, v2, s0
	v_cndmask_b32_e64 v2, 0, v24, s1
	v_readlane_b32 s0, v70, 2
	v_readlane_b32 s1, v70, 3
	v_mul_f64_e32 v[27:28], v[13:14], v[21:22]
	s_delay_alu instid0(VALU_DEP_4) | instskip(SKIP_1) | instid1(VALU_DEP_2)
	v_cndmask_b32_e64 v24, 0x3ff00000, v2, s2
	v_mul_lo_u32 v2, v44, s20
	v_fma_f64 v[27:28], v[39:40], v[23:24], v[27:28]
	s_delay_alu instid0(VALU_DEP_1) | instskip(NEXT) | instid1(VALU_DEP_1)
	v_mul_f64_e64 v[31:32], |v[27:28]|, s[66:67]
	v_rndne_f64_e32 v[31:32], v[31:32]
	s_delay_alu instid0(VALU_DEP_1) | instskip(SKIP_1) | instid1(VALU_DEP_2)
	v_fma_f64 v[35:36], v[31:32], s[68:69], |v[27:28]|
	v_mul_f64_e32 v[45:46], s[44:45], v[31:32]
	v_add_f64_e32 v[39:40], 0, v[35:36]
	s_delay_alu instid0(VALU_DEP_1) | instskip(SKIP_1) | instid1(VALU_DEP_2)
	v_add_f64_e64 v[47:48], v[39:40], -v[45:46]
	v_add_f64_e64 v[35:36], v[35:36], -v[39:40]
	;; [unrolled: 1-line block ×3, first 2 shown]
	s_delay_alu instid0(VALU_DEP_2) | instskip(NEXT) | instid1(VALU_DEP_2)
	v_add_f64_e32 v[35:36], 0, v[35:36]
	v_add_f64_e64 v[39:40], v[39:40], -v[45:46]
	s_delay_alu instid0(VALU_DEP_1) | instskip(NEXT) | instid1(VALU_DEP_1)
	v_add_f64_e32 v[35:36], v[35:36], v[39:40]
	v_add_f64_e32 v[39:40], v[47:48], v[35:36]
	s_delay_alu instid0(VALU_DEP_1) | instskip(NEXT) | instid1(VALU_DEP_1)
	v_add_f64_e64 v[45:46], v[47:48], -v[39:40]
	v_add_f64_e32 v[35:36], v[35:36], v[45:46]
	v_mul_f64_e32 v[45:46], s[54:55], v[31:32]
	s_delay_alu instid0(VALU_DEP_1) | instskip(NEXT) | instid1(VALU_DEP_1)
	v_add_f64_e64 v[47:48], v[39:40], -v[45:46]
	v_add_f64_e64 v[39:40], v[39:40], -v[47:48]
	s_delay_alu instid0(VALU_DEP_1) | instskip(NEXT) | instid1(VALU_DEP_1)
	v_add_f64_e64 v[39:40], v[39:40], -v[45:46]
	v_add_f64_e32 v[35:36], v[35:36], v[39:40]
	s_delay_alu instid0(VALU_DEP_1) | instskip(NEXT) | instid1(VALU_DEP_1)
	v_add_f64_e32 v[39:40], v[47:48], v[35:36]
	v_add_f64_e64 v[45:46], v[47:48], -v[39:40]
	s_delay_alu instid0(VALU_DEP_1) | instskip(SKIP_1) | instid1(VALU_DEP_2)
	v_add_f64_e32 v[35:36], v[35:36], v[45:46]
	v_mul_f64_e32 v[45:46], v[39:40], v[39:40]
	v_add_f64_e32 v[49:50], v[35:36], v[35:36]
	s_delay_alu instid0(VALU_DEP_2) | instskip(NEXT) | instid1(VALU_DEP_1)
	v_fma_f64 v[47:48], v[39:40], v[39:40], -v[45:46]
	v_fma_f64 v[47:48], v[39:40], v[49:50], v[47:48]
	s_delay_alu instid0(VALU_DEP_1) | instskip(NEXT) | instid1(VALU_DEP_1)
	v_add_f64_e32 v[49:50], v[45:46], v[47:48]
	v_add_f64_e64 v[45:46], v[49:50], -v[45:46]
	s_delay_alu instid0(VALU_DEP_1) | instskip(SKIP_1) | instid1(VALU_DEP_1)
	v_add_f64_e64 v[45:46], v[47:48], -v[45:46]
	v_fma_f64 v[47:48], v[39:40], s[74:75], s[72:73]
	v_fma_f64 v[47:48], v[39:40], v[47:48], s[76:77]
	s_delay_alu instid0(VALU_DEP_1) | instskip(NEXT) | instid1(VALU_DEP_1)
	v_fma_f64 v[47:48], v[39:40], v[47:48], s[78:79]
	v_fma_f64 v[47:48], v[39:40], v[47:48], s[80:81]
	s_delay_alu instid0(VALU_DEP_1) | instskip(NEXT) | instid1(VALU_DEP_1)
	;; [unrolled: 3-line block ×4, first 2 shown]
	v_fma_f64 v[47:48], v[39:40], v[47:48], s[90:91]
	v_mul_f64_e32 v[51:52], v[49:50], v[47:48]
	s_delay_alu instid0(VALU_DEP_1) | instskip(NEXT) | instid1(VALU_DEP_1)
	v_fma_f64 v[49:50], v[49:50], v[47:48], -v[51:52]
	v_fma_f64 v[45:46], v[45:46], v[47:48], v[49:50]
	v_mul_lo_u32 v49, v43, s21
	v_mad_co_u64_u32 v[47:48], null, v43, s20, 0
	s_delay_alu instid0(VALU_DEP_1) | instskip(SKIP_3) | instid1(VALU_DEP_4)
	v_add3_u32 v48, v48, v49, v2
	v_mul_lo_u32 v2, s92, v44
	v_mul_lo_u32 v49, s93, v43
	v_mad_co_u64_u32 v[43:44], null, s92, v43, v[3:4]
	v_lshlrev_b64_e32 v[47:48], 3, v[47:48]
	s_delay_alu instid0(VALU_DEP_2) | instskip(NEXT) | instid1(VALU_DEP_3)
	v_add3_u32 v2, v49, v44, v2
	v_mul_lo_u32 v49, v43, s23
	v_mad_co_u64_u32 v[43:44], null, v43, s22, 0
	s_delay_alu instid0(VALU_DEP_3) | instskip(NEXT) | instid1(VALU_DEP_1)
	v_mul_lo_u32 v2, v2, s22
	v_add3_u32 v44, v44, v49, v2
	s_wait_alu 0xf1ff
	v_add_co_u32 v2, vcc_lo, s0, v47
	s_wait_alu 0xfffd
	v_add_co_ci_u32_e64 v47, null, s1, v48, vcc_lo
	v_lshlrev_b64_e32 v[43:44], 3, v[43:44]
	v_cmp_nlt_f64_e64 s0, 0x4090cc00, v[15:16]
	v_cmp_nlt_f64_e64 s1, 0x40331000, |v[27:28]|
	s_delay_alu instid0(VALU_DEP_3) | instskip(SKIP_1) | instid1(VALU_DEP_4)
	v_add_co_u32 v43, vcc_lo, v2, v43
	s_wait_alu 0xfffd
	v_add_co_ci_u32_e64 v44, null, v47, v44, vcc_lo
	v_add_f64_e32 v[47:48], v[51:52], v[45:46]
	v_cvt_i32_f64_e32 v2, v[31:32]
	v_cmp_ngt_f64_e32 vcc_lo, 0xc0900000, v[15:16]
	v_div_fixup_f64 v[15:16], v[19:20], v[17:18], 1.0
	v_mul_lo_u32 v19, v41, s25
	v_add_f64_e64 v[49:50], v[47:48], -v[51:52]
	s_and_b32 s2, s0, vcc_lo
	s_delay_alu instid0(VALU_DEP_3) | instskip(SKIP_1) | instid1(VALU_DEP_4)
	v_cndmask_b32_e32 v16, 0, v16, vcc_lo
	s_wait_alu 0xfffe
	v_cndmask_b32_e64 v15, 0, v15, s2
	s_delay_alu instid0(VALU_DEP_2) | instskip(NEXT) | instid1(VALU_DEP_4)
	v_cndmask_b32_e64 v16, 0x3ff00000, v16, s0
	v_add_f64_e64 v[45:46], v[45:46], -v[49:50]
	v_add_f64_e32 v[49:50], v[39:40], v[47:48]
	s_delay_alu instid0(VALU_DEP_2) | instskip(NEXT) | instid1(VALU_DEP_2)
	v_add_f64_e32 v[35:36], v[35:36], v[45:46]
	v_add_f64_e64 v[39:40], v[49:50], -v[39:40]
	s_delay_alu instid0(VALU_DEP_1) | instskip(NEXT) | instid1(VALU_DEP_1)
	v_add_f64_e64 v[39:40], v[47:48], -v[39:40]
	v_add_f64_e32 v[35:36], v[35:36], v[39:40]
	s_delay_alu instid0(VALU_DEP_1) | instskip(NEXT) | instid1(VALU_DEP_1)
	v_add_f64_e32 v[39:40], v[49:50], v[35:36]
	v_add_f64_e64 v[45:46], v[39:40], -v[49:50]
	s_delay_alu instid0(VALU_DEP_1) | instskip(SKIP_1) | instid1(VALU_DEP_1)
	v_add_f64_e64 v[35:36], v[35:36], -v[45:46]
	v_add_f64_e32 v[45:46], 1.0, v[39:40]
	v_add_f64_e32 v[47:48], -1.0, v[45:46]
	s_delay_alu instid0(VALU_DEP_1) | instskip(NEXT) | instid1(VALU_DEP_1)
	v_add_f64_e64 v[39:40], v[39:40], -v[47:48]
	v_add_f64_e32 v[35:36], v[35:36], v[39:40]
	s_delay_alu instid0(VALU_DEP_1) | instskip(NEXT) | instid1(VALU_DEP_1)
	v_add_f64_e32 v[31:32], v[45:46], v[35:36]
	v_add_f64_e64 v[39:40], v[31:32], -v[45:46]
	v_ldexp_f64 v[31:32], v[31:32], v2
	s_delay_alu instid0(VALU_DEP_2) | instskip(NEXT) | instid1(VALU_DEP_2)
	v_add_f64_e64 v[35:36], v[35:36], -v[39:40]
	v_rcp_f64_e32 v[45:46], v[31:32]
	s_delay_alu instid0(VALU_DEP_1) | instskip(NEXT) | instid1(TRANS32_DEP_1)
	v_ldexp_f64 v[35:36], v[35:36], v2
	v_fma_f64 v[47:48], -v[31:32], v[45:46], 1.0
	s_delay_alu instid0(VALU_DEP_1) | instskip(NEXT) | instid1(VALU_DEP_1)
	v_fma_f64 v[45:46], v[47:48], v[45:46], v[45:46]
	v_fma_f64 v[39:40], -v[31:32], v[45:46], 1.0
	s_delay_alu instid0(VALU_DEP_1) | instskip(NEXT) | instid1(VALU_DEP_1)
	v_fma_f64 v[39:40], v[39:40], v[45:46], v[45:46]
	v_mul_f64_e32 v[45:46], v[31:32], v[39:40]
	s_delay_alu instid0(VALU_DEP_1) | instskip(NEXT) | instid1(VALU_DEP_1)
	v_fma_f64 v[47:48], v[39:40], v[31:32], -v[45:46]
	v_fma_f64 v[47:48], v[39:40], v[35:36], v[47:48]
	s_delay_alu instid0(VALU_DEP_1) | instskip(NEXT) | instid1(VALU_DEP_1)
	v_add_f64_e32 v[49:50], v[45:46], v[47:48]
	v_add_f64_e64 v[45:46], v[49:50], -v[45:46]
	s_delay_alu instid0(VALU_DEP_1) | instskip(SKIP_1) | instid1(VALU_DEP_1)
	v_add_f64_e64 v[45:46], v[45:46], -v[47:48]
	v_add_f64_e64 v[47:48], -v[49:50], 1.0
	v_add_f64_e64 v[51:52], -v[47:48], 1.0
	s_delay_alu instid0(VALU_DEP_1) | instskip(NEXT) | instid1(VALU_DEP_1)
	v_add_f64_e64 v[49:50], v[51:52], -v[49:50]
	v_add_f64_e32 v[45:46], v[45:46], v[49:50]
	s_delay_alu instid0(VALU_DEP_1) | instskip(NEXT) | instid1(VALU_DEP_1)
	v_add_f64_e32 v[49:50], v[47:48], v[45:46]
	v_add_f64_e64 v[47:48], v[47:48], -v[49:50]
	s_delay_alu instid0(VALU_DEP_1) | instskip(SKIP_1) | instid1(VALU_DEP_1)
	v_add_f64_e32 v[45:46], v[45:46], v[47:48]
	v_mul_f64_e32 v[47:48], v[39:40], v[49:50]
	v_mul_f64_e32 v[51:52], v[31:32], v[47:48]
	s_delay_alu instid0(VALU_DEP_1) | instskip(NEXT) | instid1(VALU_DEP_1)
	v_fma_f64 v[53:54], v[47:48], v[31:32], -v[51:52]
	v_fma_f64 v[53:54], v[47:48], v[35:36], v[53:54]
	s_delay_alu instid0(VALU_DEP_1) | instskip(NEXT) | instid1(VALU_DEP_1)
	v_add_f64_e32 v[55:56], v[51:52], v[53:54]
	v_add_f64_e64 v[57:58], v[49:50], -v[55:56]
	v_add_f64_e64 v[51:52], v[55:56], -v[51:52]
	s_delay_alu instid0(VALU_DEP_2) | instskip(NEXT) | instid1(VALU_DEP_2)
	v_add_f64_e64 v[49:50], v[49:50], -v[57:58]
	v_add_f64_e64 v[51:52], v[51:52], -v[53:54]
	s_delay_alu instid0(VALU_DEP_2) | instskip(NEXT) | instid1(VALU_DEP_1)
	v_add_f64_e64 v[49:50], v[49:50], -v[55:56]
	v_add_f64_e32 v[45:46], v[45:46], v[49:50]
	v_add_f64_e32 v[49:50], v[39:40], v[47:48]
	s_delay_alu instid0(VALU_DEP_2) | instskip(NEXT) | instid1(VALU_DEP_2)
	v_add_f64_e32 v[45:46], v[51:52], v[45:46]
	v_add_f64_e64 v[51:52], v[49:50], -v[39:40]
	s_delay_alu instid0(VALU_DEP_2) | instskip(NEXT) | instid1(VALU_DEP_2)
	v_add_f64_e32 v[45:46], v[57:58], v[45:46]
	v_add_f64_e64 v[47:48], v[47:48], -v[51:52]
	s_delay_alu instid0(VALU_DEP_2) | instskip(NEXT) | instid1(VALU_DEP_1)
	v_mul_f64_e32 v[39:40], v[39:40], v[45:46]
	v_add_f64_e32 v[39:40], v[47:48], v[39:40]
	s_delay_alu instid0(VALU_DEP_1) | instskip(NEXT) | instid1(VALU_DEP_1)
	v_add_f64_e32 v[45:46], v[49:50], v[39:40]
	v_add_f64_e64 v[47:48], v[45:46], -v[49:50]
	v_add_f64_e32 v[49:50], v[31:32], v[45:46]
	s_delay_alu instid0(VALU_DEP_2) | instskip(SKIP_1) | instid1(VALU_DEP_1)
	v_add_f64_e64 v[39:40], v[39:40], -v[47:48]
	v_add_f64_e64 v[47:48], v[31:32], -v[45:46]
	;; [unrolled: 1-line block ×3, first 2 shown]
	s_delay_alu instid0(VALU_DEP_4) | instskip(NEXT) | instid1(VALU_DEP_2)
	v_add_f64_e64 v[31:32], v[49:50], -v[31:32]
	v_add_f64_e64 v[51:52], v[51:52], -v[45:46]
	s_delay_alu instid0(VALU_DEP_2) | instskip(NEXT) | instid1(VALU_DEP_2)
	v_add_f64_e64 v[31:32], v[45:46], -v[31:32]
	v_add_f64_e32 v[45:46], v[35:36], v[51:52]
	v_add_f64_e32 v[35:36], v[35:36], v[39:40]
	s_delay_alu instid0(VALU_DEP_1) | instskip(NEXT) | instid1(VALU_DEP_3)
	v_add_f64_e32 v[31:32], v[35:36], v[31:32]
	v_add_f64_e64 v[35:36], v[45:46], -v[39:40]
	s_delay_alu instid0(VALU_DEP_2) | instskip(NEXT) | instid1(VALU_DEP_1)
	v_add_f64_e32 v[39:40], v[49:50], v[31:32]
	v_rcp_f64_e32 v[45:46], v[39:40]
	v_add_f64_e64 v[49:50], v[39:40], -v[49:50]
	s_delay_alu instid0(VALU_DEP_1) | instskip(NEXT) | instid1(TRANS32_DEP_1)
	v_add_f64_e64 v[31:32], v[31:32], -v[49:50]
	v_fma_f64 v[51:52], -v[39:40], v[45:46], 1.0
	s_delay_alu instid0(VALU_DEP_1) | instskip(NEXT) | instid1(VALU_DEP_1)
	v_fma_f64 v[45:46], v[51:52], v[45:46], v[45:46]
	v_fma_f64 v[49:50], -v[39:40], v[45:46], 1.0
	s_delay_alu instid0(VALU_DEP_1) | instskip(SKIP_1) | instid1(VALU_DEP_1)
	v_fma_f64 v[45:46], v[49:50], v[45:46], v[45:46]
	v_add_f64_e32 v[49:50], v[47:48], v[35:36]
	v_mul_f64_e32 v[51:52], v[49:50], v[45:46]
	v_add_f64_e64 v[47:48], v[49:50], -v[47:48]
	s_delay_alu instid0(VALU_DEP_2) | instskip(NEXT) | instid1(VALU_DEP_2)
	v_mul_f64_e32 v[53:54], v[39:40], v[51:52]
	v_add_f64_e64 v[35:36], v[35:36], -v[47:48]
	s_delay_alu instid0(VALU_DEP_2) | instskip(NEXT) | instid1(VALU_DEP_1)
	v_fma_f64 v[39:40], v[51:52], v[39:40], -v[53:54]
	v_fma_f64 v[31:32], v[51:52], v[31:32], v[39:40]
	s_delay_alu instid0(VALU_DEP_1) | instskip(NEXT) | instid1(VALU_DEP_1)
	v_add_f64_e32 v[39:40], v[53:54], v[31:32]
	v_add_f64_e64 v[53:54], v[39:40], -v[53:54]
	s_delay_alu instid0(VALU_DEP_1) | instskip(SKIP_1) | instid1(VALU_DEP_1)
	v_add_f64_e64 v[31:32], v[31:32], -v[53:54]
	v_add_f64_e64 v[53:54], v[49:50], -v[39:40]
	;; [unrolled: 1-line block ×3, first 2 shown]
	s_delay_alu instid0(VALU_DEP_1) | instskip(NEXT) | instid1(VALU_DEP_1)
	v_add_f64_e64 v[39:40], v[49:50], -v[39:40]
	v_add_f64_e64 v[31:32], v[39:40], -v[31:32]
	s_delay_alu instid0(VALU_DEP_1) | instskip(NEXT) | instid1(VALU_DEP_1)
	v_add_f64_e32 v[31:32], v[35:36], v[31:32]
	v_add_f64_e32 v[31:32], v[53:54], v[31:32]
	s_delay_alu instid0(VALU_DEP_1) | instskip(NEXT) | instid1(VALU_DEP_1)
	v_mul_f64_e32 v[31:32], v[45:46], v[31:32]
	v_add_f64_e32 v[17:18], v[51:52], v[31:32]
	v_mul_lo_u32 v31, s95, v41
	s_delay_alu instid0(VALU_DEP_2) | instskip(NEXT) | instid1(VALU_DEP_3)
	v_cndmask_b32_e64 v2, 0x3ff00000, v18, s1
	v_cndmask_b32_e64 v17, 0, v17, s1
	v_cmp_gt_f64_e64 s1, 0x3e400000, |v[27:28]|
	v_and_b32_e32 v18, 0x7fffffff, v28
	s_wait_alu 0xf1ff
	s_delay_alu instid0(VALU_DEP_1) | instskip(SKIP_3) | instid1(VALU_DEP_4)
	v_cndmask_b32_e64 v2, v2, v18, s1
	v_cndmask_b32_e64 v17, v17, v27, s1
	v_readlane_b32 s0, v70, 4
	v_readlane_b32 s1, v70, 5
	v_bfi_b32 v18, 0x7fffffff, v2, v28
	v_mul_lo_u32 v2, v42, s24
	s_delay_alu instid0(VALU_DEP_2) | instskip(SKIP_2) | instid1(VALU_DEP_1)
	v_mul_f64_e32 v[17:18], v[15:16], v[17:18]
	global_store_b64 v[43:44], v[17:18], off
	v_mad_co_u64_u32 v[17:18], null, v41, s24, 0
	v_add3_u32 v18, v18, v19, v2
	v_mul_lo_u32 v2, s94, v42
	v_mad_co_u64_u32 v[19:20], null, s94, v41, v[3:4]
	s_delay_alu instid0(VALU_DEP_3) | instskip(NEXT) | instid1(VALU_DEP_2)
	v_lshlrev_b64_e32 v[17:18], 3, v[17:18]
	v_add3_u32 v2, v31, v20, v2
	s_delay_alu instid0(VALU_DEP_3) | instskip(SKIP_1) | instid1(VALU_DEP_3)
	v_mul_lo_u32 v31, v19, s27
	v_mad_co_u64_u32 v[19:20], null, v19, s26, 0
	v_mul_lo_u32 v2, v2, s26
	s_delay_alu instid0(VALU_DEP_1)
	v_add3_u32 v20, v20, v31, v2
	s_wait_alu 0xf1ff
	v_add_co_u32 v2, vcc_lo, s0, v17
	s_wait_alu 0xfffd
	v_add_co_ci_u32_e64 v31, null, s1, v18, vcc_lo
	v_lshlrev_b64_e32 v[17:18], 3, v[19:20]
	v_mul_lo_u32 v19, v25, s65
	s_delay_alu instid0(VALU_DEP_2) | instskip(SKIP_1) | instid1(VALU_DEP_3)
	v_add_co_u32 v17, vcc_lo, v2, v17
	s_wait_alu 0xfffd
	v_add_co_ci_u32_e64 v18, null, v31, v18, vcc_lo
	v_mul_lo_u32 v2, v26, s64
	global_store_b64 v[17:18], v[27:28], off
	v_mad_co_u64_u32 v[17:18], null, v25, s64, 0
	s_delay_alu instid0(VALU_DEP_1) | instskip(NEXT) | instid1(VALU_DEP_2)
	v_add3_u32 v2, v18, v19, v2
	v_sub_co_u32 v17, vcc_lo, v5, v17
	v_mul_lo_u32 v18, v26, s28
	v_mul_lo_u32 v19, v25, s29
	s_wait_alu 0xfffd
	v_sub_co_ci_u32_e64 v2, null, v6, v2, vcc_lo
	v_mad_co_u64_u32 v[5:6], null, v25, s28, 0
	v_add_co_u32 v17, vcc_lo, v3, v17
	s_wait_alu 0xfffd
	s_delay_alu instid0(VALU_DEP_3) | instskip(NEXT) | instid1(VALU_DEP_3)
	v_add_co_ci_u32_e64 v2, null, v4, v2, vcc_lo
	v_add3_u32 v6, v6, v19, v18
	s_delay_alu instid0(VALU_DEP_2) | instskip(SKIP_2) | instid1(VALU_DEP_4)
	v_mul_lo_u32 v2, v2, s30
	v_mul_lo_u32 v19, v17, s31
	v_mad_co_u64_u32 v[17:18], null, v17, s30, 0
	v_lshlrev_b64_e32 v[5:6], 3, v[5:6]
	s_delay_alu instid0(VALU_DEP_2) | instskip(NEXT) | instid1(VALU_DEP_2)
	v_add3_u32 v18, v18, v19, v2
	v_add_co_u32 v2, vcc_lo, s62, v5
	s_wait_alu 0xfffd
	s_delay_alu instid0(VALU_DEP_3) | instskip(NEXT) | instid1(VALU_DEP_3)
	v_add_co_ci_u32_e64 v19, null, s63, v6, vcc_lo
	v_lshlrev_b64_e32 v[5:6], 3, v[17:18]
	s_delay_alu instid0(VALU_DEP_1) | instskip(SKIP_1) | instid1(VALU_DEP_2)
	v_add_co_u32 v5, vcc_lo, v2, v5
	s_wait_alu 0xfffd
	v_add_co_ci_u32_e64 v6, null, v19, v6, vcc_lo
	v_mul_lo_u32 v2, v30, s64
	global_store_b64 v[5:6], v[13:14], off
	v_mul_lo_u32 v13, v29, s65
	v_mad_co_u64_u32 v[5:6], null, v29, s64, 0
	s_delay_alu instid0(VALU_DEP_1) | instskip(NEXT) | instid1(VALU_DEP_2)
	v_add3_u32 v2, v6, v13, v2
	v_sub_co_u32 v7, vcc_lo, v7, v5
	v_mul_lo_u32 v13, v29, s29
	v_mad_co_u64_u32 v[5:6], null, v29, s28, 0
	s_wait_alu 0xfffd
	v_sub_co_ci_u32_e64 v2, null, v8, v2, vcc_lo
	v_mul_lo_u32 v8, v30, s28
	v_add_co_u32 v7, vcc_lo, v3, v7
	s_wait_alu 0xfffd
	s_delay_alu instid0(VALU_DEP_3) | instskip(NEXT) | instid1(VALU_DEP_3)
	v_add_co_ci_u32_e64 v2, null, v4, v2, vcc_lo
	v_add3_u32 v6, v6, v13, v8
	s_delay_alu instid0(VALU_DEP_2) | instskip(SKIP_2) | instid1(VALU_DEP_4)
	v_mul_lo_u32 v2, v2, s30
	v_mul_lo_u32 v13, v7, s31
	v_mad_co_u64_u32 v[7:8], null, v7, s30, 0
	v_lshlrev_b64_e32 v[5:6], 3, v[5:6]
	s_delay_alu instid0(VALU_DEP_2) | instskip(NEXT) | instid1(VALU_DEP_2)
	v_add3_u32 v8, v8, v13, v2
	v_add_co_u32 v2, vcc_lo, s62, v5
	s_wait_alu 0xfffd
	s_delay_alu instid0(VALU_DEP_3) | instskip(NEXT) | instid1(VALU_DEP_3)
	v_add_co_ci_u32_e64 v13, null, s63, v6, vcc_lo
	v_lshlrev_b64_e32 v[5:6], 3, v[7:8]
	v_mul_lo_u32 v7, v33, s65
	v_mul_lo_u32 v8, v34, s28
	s_delay_alu instid0(VALU_DEP_3) | instskip(SKIP_1) | instid1(VALU_DEP_4)
	v_add_co_u32 v5, vcc_lo, v2, v5
	s_wait_alu 0xfffd
	v_add_co_ci_u32_e64 v6, null, v13, v6, vcc_lo
	v_mul_lo_u32 v2, v34, s64
	global_store_b64 v[5:6], v[23:24], off
	v_mad_co_u64_u32 v[5:6], null, v33, s64, 0
	s_delay_alu instid0(VALU_DEP_1) | instskip(NEXT) | instid1(VALU_DEP_2)
	v_add3_u32 v2, v6, v7, v2
	v_sub_co_u32 v7, vcc_lo, v9, v5
	v_mul_lo_u32 v9, v33, s29
	v_mad_co_u64_u32 v[5:6], null, v33, s28, 0
	s_wait_alu 0xfffd
	v_sub_co_ci_u32_e64 v2, null, v10, v2, vcc_lo
	v_add_co_u32 v7, vcc_lo, v3, v7
	v_mul_lo_u32 v10, v38, s28
	s_wait_alu 0xfffd
	s_delay_alu instid0(VALU_DEP_3) | instskip(SKIP_3) | instid1(VALU_DEP_4)
	v_add_co_ci_u32_e64 v2, null, v4, v2, vcc_lo
	v_add3_u32 v6, v6, v9, v8
	v_mul_lo_u32 v9, v7, s31
	v_mad_co_u64_u32 v[7:8], null, v7, s30, 0
	v_mul_lo_u32 v2, v2, s30
	s_delay_alu instid0(VALU_DEP_4) | instskip(NEXT) | instid1(VALU_DEP_2)
	v_lshlrev_b64_e32 v[5:6], 3, v[5:6]
	v_add3_u32 v8, v8, v9, v2
	s_delay_alu instid0(VALU_DEP_2) | instskip(SKIP_1) | instid1(VALU_DEP_3)
	v_add_co_u32 v2, vcc_lo, s62, v5
	s_wait_alu 0xfffd
	v_add_co_ci_u32_e64 v9, null, s63, v6, vcc_lo
	s_delay_alu instid0(VALU_DEP_3) | instskip(SKIP_1) | instid1(VALU_DEP_2)
	v_lshlrev_b64_e32 v[5:6], 3, v[7:8]
	v_mad_co_u64_u32 v[7:8], null, v37, s64, 0
	v_add_co_u32 v5, vcc_lo, v2, v5
	s_wait_alu 0xfffd
	s_delay_alu instid0(VALU_DEP_3) | instskip(SKIP_2) | instid1(VALU_DEP_1)
	v_add_co_ci_u32_e64 v6, null, v9, v6, vcc_lo
	v_mul_lo_u32 v2, v38, s64
	v_mul_lo_u32 v9, v37, s65
	v_add3_u32 v2, v8, v9, v2
	v_sub_co_u32 v9, vcc_lo, v11, v7
	v_mul_lo_u32 v11, v37, s29
	v_mad_co_u64_u32 v[7:8], null, v37, s28, 0
	s_wait_alu 0xfffd
	v_sub_co_ci_u32_e64 v2, null, v12, v2, vcc_lo
	v_add_co_u32 v9, vcc_lo, v3, v9
	s_wait_alu 0xfffd
	s_delay_alu instid0(VALU_DEP_2) | instskip(NEXT) | instid1(VALU_DEP_4)
	v_add_co_ci_u32_e64 v2, null, v4, v2, vcc_lo
	v_add3_u32 v8, v8, v11, v10
	s_delay_alu instid0(VALU_DEP_3) | instskip(SKIP_1) | instid1(VALU_DEP_4)
	v_mul_lo_u32 v11, v9, s31
	v_mad_co_u64_u32 v[9:10], null, v9, s30, 0
	v_mul_lo_u32 v2, v2, s30
	s_delay_alu instid0(VALU_DEP_4) | instskip(SKIP_3) | instid1(VALU_DEP_4)
	v_lshlrev_b64_e32 v[7:8], 3, v[7:8]
	v_add_co_u32 v3, vcc_lo, v3, s104
	s_wait_alu 0xfffd
	v_add_co_ci_u32_e64 v4, null, 0, v4, vcc_lo
	v_add3_u32 v10, v10, v11, v2
	s_delay_alu instid0(VALU_DEP_4) | instskip(SKIP_2) | instid1(VALU_DEP_3)
	v_add_co_u32 v2, vcc_lo, s62, v7
	s_wait_alu 0xfffd
	v_add_co_ci_u32_e64 v8, null, s63, v8, vcc_lo
	v_lshlrev_b64_e32 v[9:10], 3, v[9:10]
	v_cmp_le_i64_e32 vcc_lo, s[6:7], v[3:4]
	s_delay_alu instid0(VALU_DEP_2) | instskip(SKIP_1) | instid1(VALU_DEP_3)
	v_add_co_u32 v7, s0, v2, v9
	s_wait_alu 0xf1ff
	v_add_co_ci_u32_e64 v8, null, v8, v10, s0
	s_or_b32 vcc_hi, vcc_lo, vcc_hi
	s_clause 0x1
	global_store_b64 v[5:6], v[21:22], off
	global_store_b64 v[7:8], v[15:16], off
	s_wait_alu 0xfffe
	s_and_not1_b32 exec_lo, exec_lo, vcc_hi
	s_cbranch_execz .LBB3_70
.LBB3_5:                                ; =>This Inner Loop Header: Depth=1
	v_or_b32_e32 v2, s5, v4
	v_ashrrev_i32_e32 v45, 31, v4
                                        ; implicit-def: $vgpr17_vgpr18
	s_mov_b32 s0, exec_lo
	s_delay_alu instid0(VALU_DEP_2)
	v_cmpx_ne_u64_e32 0, v[1:2]
	s_wait_alu 0xfffe
	s_xor_b32 s66, exec_lo, s0
	s_cbranch_execz .LBB3_7
; %bb.6:                                ;   in Loop: Header=BB3_5 Depth=1
	s_ashr_i32 s44, s5, 31
	s_wait_alu 0xfffe
	s_mov_b32 s45, s44
	s_wait_alu 0xfffe
	s_add_nc_u64 s[0:1], s[4:5], s[44:45]
	s_wait_alu 0xfffe
	s_xor_b64 s[2:3], s[0:1], s[44:45]
	s_wait_alu 0xfffe
	s_cvt_f32_u32 s0, s2
	s_cvt_f32_u32 s1, s3
	s_sub_nc_u64 s[54:55], 0, s[2:3]
	s_wait_alu 0xfffe
	s_delay_alu instid0(SALU_CYCLE_1) | instskip(SKIP_1) | instid1(SALU_CYCLE_2)
	s_fmamk_f32 s0, s1, 0x4f800000, s0
	s_wait_alu 0xfffe
	v_s_rcp_f32 s0, s0
	s_delay_alu instid0(TRANS32_DEP_1) | instskip(SKIP_1) | instid1(SALU_CYCLE_2)
	s_mul_f32 s0, s0, 0x5f7ffffc
	s_wait_alu 0xfffe
	s_mul_f32 s1, s0, 0x2f800000
	s_wait_alu 0xfffe
	s_delay_alu instid0(SALU_CYCLE_2) | instskip(SKIP_1) | instid1(SALU_CYCLE_2)
	s_trunc_f32 s1, s1
	s_wait_alu 0xfffe
	s_fmamk_f32 s0, s1, 0xcf800000, s0
	s_cvt_u32_f32 s1, s1
	s_wait_alu 0xfffe
	s_delay_alu instid0(SALU_CYCLE_1) | instskip(SKIP_1) | instid1(SALU_CYCLE_2)
	s_cvt_u32_f32 s0, s0
	s_wait_alu 0xfffe
	s_mul_u64 s[58:59], s[54:55], s[0:1]
	s_delay_alu instid0(SALU_CYCLE_1)
	s_mul_hi_u32 s71, s0, s59
	s_mul_i32 s70, s0, s59
	s_mul_hi_u32 s96, s0, s58
	s_mul_i32 s69, s1, s58
	s_add_nc_u64 s[70:71], s[96:97], s[70:71]
	s_mul_hi_u32 s45, s1, s58
	s_mul_hi_u32 vcc_lo, s1, s59
	s_mul_i32 s58, s1, s59
	s_wait_alu 0xfffe
	s_add_co_u32 s59, s70, s69
	s_add_co_ci_u32 s96, s71, s45
	s_add_co_ci_u32 s59, vcc_lo, 0
	v_add_co_u32 v2, vcc_lo, v3, v45
	s_add_nc_u64 s[58:59], s[96:97], s[58:59]
	s_wait_alu 0xfffd
	v_add_co_ci_u32_e64 v5, null, v4, v45, vcc_lo
	s_add_co_u32 s0, s0, s58
	s_cselect_b32 s45, -1, 0
	v_xor_b32_e32 v2, v2, v45
	s_wait_alu 0xfffe
	s_cmp_lg_u32 s45, 0
	v_xor_b32_e32 v11, v5, v45
	s_add_co_ci_u32 s1, s1, s59
	s_wait_alu 0xfffe
	s_mul_u64 s[54:55], s[54:55], s[0:1]
	s_wait_alu 0xfffe
	s_mul_hi_u32 s59, s0, s55
	s_mul_i32 s58, s0, s55
	s_mul_hi_u32 s96, s0, s54
	s_mul_i32 s69, s1, s54
	s_add_nc_u64 s[58:59], s[96:97], s[58:59]
	s_mul_hi_u32 s45, s1, s54
	s_mul_hi_u32 s70, s1, s55
	s_mul_i32 s54, s1, s55
	s_wait_alu 0xfffe
	s_add_co_u32 s55, s58, s69
	s_add_co_ci_u32 s96, s59, s45
	s_add_co_ci_u32 s55, s70, 0
	s_wait_alu 0xfffe
	s_add_nc_u64 s[54:55], s[96:97], s[54:55]
	s_wait_alu 0xfffe
	s_add_co_u32 s0, s0, s54
	s_cselect_b32 s45, -1, 0
	s_wait_alu 0xfffe
	v_mul_hi_u32 v12, v2, s0
	s_cmp_lg_u32 s45, 0
	v_mad_co_u64_u32 v[7:8], null, v11, s0, 0
	s_add_co_ci_u32 s1, s1, s55
	s_wait_alu 0xfffe
	v_mad_co_u64_u32 v[5:6], null, v2, s1, 0
	v_mad_co_u64_u32 v[9:10], null, v11, s1, 0
	s_delay_alu instid0(VALU_DEP_2) | instskip(SKIP_1) | instid1(VALU_DEP_3)
	v_add_co_u32 v5, vcc_lo, v12, v5
	s_wait_alu 0xfffd
	v_add_co_ci_u32_e64 v6, null, 0, v6, vcc_lo
	s_delay_alu instid0(VALU_DEP_2) | instskip(SKIP_1) | instid1(VALU_DEP_2)
	v_add_co_u32 v5, vcc_lo, v5, v7
	s_wait_alu 0xfffd
	v_add_co_ci_u32_e32 v5, vcc_lo, v6, v8, vcc_lo
	s_wait_alu 0xfffd
	v_add_co_ci_u32_e32 v6, vcc_lo, 0, v10, vcc_lo
	s_delay_alu instid0(VALU_DEP_2) | instskip(SKIP_1) | instid1(VALU_DEP_2)
	v_add_co_u32 v7, vcc_lo, v5, v9
	s_wait_alu 0xfffd
	v_add_co_ci_u32_e64 v8, null, 0, v6, vcc_lo
	s_delay_alu instid0(VALU_DEP_2) | instskip(SKIP_1) | instid1(VALU_DEP_3)
	v_mul_lo_u32 v9, s3, v7
	v_mad_co_u64_u32 v[5:6], null, s2, v7, 0
	v_mul_lo_u32 v10, s2, v8
	s_delay_alu instid0(VALU_DEP_2) | instskip(NEXT) | instid1(VALU_DEP_2)
	v_sub_co_u32 v2, vcc_lo, v2, v5
	v_add3_u32 v6, v6, v10, v9
	s_delay_alu instid0(VALU_DEP_2) | instskip(NEXT) | instid1(VALU_DEP_2)
	v_cmp_le_u32_e64 s1, s2, v2
	v_sub_nc_u32_e32 v9, v11, v6
	s_wait_alu 0xfffd
	v_sub_co_ci_u32_e64 v6, null, v11, v6, vcc_lo
	s_wait_alu 0xf1ff
	v_cndmask_b32_e64 v10, 0, -1, s1
	v_subrev_co_ci_u32_e64 v5, null, s3, v9, vcc_lo
	v_sub_co_u32 v9, s0, v2, s2
	v_cmp_eq_u32_e64 s1, s3, v6
	s_wait_alu 0xf1ff
	s_delay_alu instid0(VALU_DEP_3) | instskip(NEXT) | instid1(VALU_DEP_3)
	v_subrev_co_ci_u32_e64 v5, null, 0, v5, s0
	v_cmp_le_u32_e32 vcc_lo, s2, v9
	v_cmp_le_u32_e64 s2, s3, v6
	s_delay_alu instid0(VALU_DEP_3)
	v_cmp_le_u32_e64 s0, s3, v5
	s_wait_alu 0xfffd
	v_cndmask_b32_e64 v2, 0, -1, vcc_lo
	v_cmp_eq_u32_e32 vcc_lo, s3, v5
	s_wait_alu 0xf1ff
	v_cndmask_b32_e64 v6, 0, -1, s2
	v_cndmask_b32_e64 v5, 0, -1, s0
	v_add_co_u32 v9, s0, v7, 2
	s_delay_alu instid0(VALU_DEP_3) | instskip(SKIP_1) | instid1(VALU_DEP_3)
	v_cndmask_b32_e64 v6, v6, v10, s1
	s_wait_alu 0xfffd
	v_cndmask_b32_e32 v2, v5, v2, vcc_lo
	s_wait_alu 0xf1ff
	v_add_co_ci_u32_e64 v5, null, 0, v8, s0
	v_add_co_u32 v11, vcc_lo, v7, 1
	s_delay_alu instid0(VALU_DEP_3)
	v_cmp_ne_u32_e64 s0, 0, v2
	s_wait_alu 0xfffd
	v_add_co_ci_u32_e64 v2, null, 0, v8, vcc_lo
	v_cmp_ne_u32_e32 vcc_lo, 0, v6
	s_wait_alu 0xf1ff
	v_cndmask_b32_e64 v6, v11, v9, s0
	s_delay_alu instid0(VALU_DEP_3) | instskip(SKIP_2) | instid1(VALU_DEP_3)
	v_cndmask_b32_e64 v2, v2, v5, s0
	v_xor_b32_e32 v5, s44, v45
	s_wait_alu 0xfffd
	v_cndmask_b32_e32 v6, v7, v6, vcc_lo
	s_delay_alu instid0(VALU_DEP_3) | instskip(NEXT) | instid1(VALU_DEP_2)
	v_cndmask_b32_e32 v2, v8, v2, vcc_lo
	v_xor_b32_e32 v6, v6, v5
	s_delay_alu instid0(VALU_DEP_2) | instskip(NEXT) | instid1(VALU_DEP_2)
	v_xor_b32_e32 v2, v2, v5
	v_sub_co_u32 v17, vcc_lo, v6, v5
	s_wait_alu 0xfffd
	s_delay_alu instid0(VALU_DEP_2)
	v_sub_co_ci_u32_e64 v18, null, v2, v5, vcc_lo
.LBB3_7:                                ;   in Loop: Header=BB3_5 Depth=1
	s_wait_alu 0xfffe
	s_and_not1_saveexec_b32 s0, s66
	s_cbranch_execz .LBB3_9
; %bb.8:                                ;   in Loop: Header=BB3_5 Depth=1
	s_sub_co_i32 s1, 0, s4
	v_mov_b32_e32 v18, v1
	s_wait_alu 0xfffe
	v_mul_lo_u32 v2, s1, v0
	s_delay_alu instid0(VALU_DEP_1) | instskip(NEXT) | instid1(VALU_DEP_1)
	v_mul_hi_u32 v2, v0, v2
	v_add_nc_u32_e32 v2, v0, v2
	s_delay_alu instid0(VALU_DEP_1) | instskip(NEXT) | instid1(VALU_DEP_1)
	v_mul_hi_u32 v2, v3, v2
	v_mul_lo_u32 v5, v2, s4
	v_add_nc_u32_e32 v6, 1, v2
	s_delay_alu instid0(VALU_DEP_2) | instskip(NEXT) | instid1(VALU_DEP_1)
	v_sub_nc_u32_e32 v5, v3, v5
	v_cmp_le_u32_e32 vcc_lo, s4, v5
	v_subrev_nc_u32_e32 v7, s4, v5
	s_wait_alu 0xfffd
	s_delay_alu instid0(VALU_DEP_1) | instskip(NEXT) | instid1(VALU_DEP_1)
	v_dual_cndmask_b32 v2, v2, v6 :: v_dual_cndmask_b32 v5, v5, v7
	v_add_nc_u32_e32 v6, 1, v2
	s_delay_alu instid0(VALU_DEP_2) | instskip(SKIP_1) | instid1(VALU_DEP_2)
	v_cmp_le_u32_e32 vcc_lo, s4, v5
	s_wait_alu 0xfffd
	v_cndmask_b32_e32 v17, v2, v6, vcc_lo
.LBB3_9:                                ;   in Loop: Header=BB3_5 Depth=1
	s_wait_alu 0xfffe
	s_or_b32 exec_lo, exec_lo, s0
	s_delay_alu instid0(VALU_DEP_1)
	v_mul_lo_u32 v2, s99, v17
	v_mul_lo_u32 v7, s98, v18
	v_mad_co_u64_u32 v[5:6], null, s98, v17, 0
	s_mov_b32 s0, exec_lo
	v_add3_u32 v6, v6, v7, v2
	v_add_co_u32 v30, vcc_lo, v3, v5
                                        ; implicit-def: $vgpr7_vgpr8
	s_wait_alu 0xfffd
	s_delay_alu instid0(VALU_DEP_2) | instskip(NEXT) | instid1(VALU_DEP_1)
	v_add_co_ci_u32_e64 v34, null, v4, v6, vcc_lo
	v_or_b32_e32 v2, s39, v34
	v_ashrrev_i32_e32 v29, 31, v34
	s_delay_alu instid0(VALU_DEP_2)
	v_cmpx_ne_u64_e32 0, v[1:2]
	s_wait_alu 0xfffe
	s_xor_b32 s66, exec_lo, s0
	s_cbranch_execz .LBB3_11
; %bb.10:                               ;   in Loop: Header=BB3_5 Depth=1
	s_ashr_i32 s44, s39, 31
	s_wait_alu 0xfffe
	s_mov_b32 s45, s44
	s_wait_alu 0xfffe
	s_add_nc_u64 s[0:1], s[38:39], s[44:45]
	s_wait_alu 0xfffe
	s_xor_b64 s[2:3], s[0:1], s[44:45]
	s_wait_alu 0xfffe
	s_cvt_f32_u32 s0, s2
	s_cvt_f32_u32 s1, s3
	s_sub_nc_u64 s[54:55], 0, s[2:3]
	s_wait_alu 0xfffe
	s_delay_alu instid0(SALU_CYCLE_1) | instskip(SKIP_1) | instid1(SALU_CYCLE_2)
	s_fmamk_f32 s0, s1, 0x4f800000, s0
	s_wait_alu 0xfffe
	v_s_rcp_f32 s0, s0
	s_delay_alu instid0(TRANS32_DEP_1) | instskip(SKIP_1) | instid1(SALU_CYCLE_2)
	s_mul_f32 s0, s0, 0x5f7ffffc
	s_wait_alu 0xfffe
	s_mul_f32 s1, s0, 0x2f800000
	s_wait_alu 0xfffe
	s_delay_alu instid0(SALU_CYCLE_2) | instskip(SKIP_1) | instid1(SALU_CYCLE_2)
	s_trunc_f32 s1, s1
	s_wait_alu 0xfffe
	s_fmamk_f32 s0, s1, 0xcf800000, s0
	s_cvt_u32_f32 s1, s1
	s_wait_alu 0xfffe
	s_delay_alu instid0(SALU_CYCLE_1) | instskip(SKIP_1) | instid1(SALU_CYCLE_2)
	s_cvt_u32_f32 s0, s0
	s_wait_alu 0xfffe
	s_mul_u64 s[58:59], s[54:55], s[0:1]
	s_delay_alu instid0(SALU_CYCLE_1)
	s_mul_hi_u32 s71, s0, s59
	s_mul_i32 s70, s0, s59
	s_mul_hi_u32 s96, s0, s58
	s_mul_i32 s69, s1, s58
	s_add_nc_u64 s[70:71], s[96:97], s[70:71]
	s_mul_hi_u32 s45, s1, s58
	s_mul_hi_u32 vcc_lo, s1, s59
	s_mul_i32 s58, s1, s59
	s_wait_alu 0xfffe
	s_add_co_u32 s59, s70, s69
	s_add_co_ci_u32 s96, s71, s45
	s_add_co_ci_u32 s59, vcc_lo, 0
	v_add_co_u32 v2, vcc_lo, v30, v29
	s_add_nc_u64 s[58:59], s[96:97], s[58:59]
	s_wait_alu 0xfffd
	v_add_co_ci_u32_e64 v7, null, v34, v29, vcc_lo
	s_add_co_u32 s0, s0, s58
	s_cselect_b32 s45, -1, 0
	v_xor_b32_e32 v2, v2, v29
	s_wait_alu 0xfffe
	s_cmp_lg_u32 s45, 0
	v_xor_b32_e32 v13, v7, v29
	s_add_co_ci_u32 s1, s1, s59
	s_wait_alu 0xfffe
	s_mul_u64 s[54:55], s[54:55], s[0:1]
	s_wait_alu 0xfffe
	s_mul_hi_u32 s59, s0, s55
	s_mul_i32 s58, s0, s55
	s_mul_hi_u32 s96, s0, s54
	s_mul_i32 s69, s1, s54
	s_add_nc_u64 s[58:59], s[96:97], s[58:59]
	s_mul_hi_u32 s45, s1, s54
	s_mul_hi_u32 s70, s1, s55
	s_mul_i32 s54, s1, s55
	s_wait_alu 0xfffe
	s_add_co_u32 s55, s58, s69
	s_add_co_ci_u32 s96, s59, s45
	s_add_co_ci_u32 s55, s70, 0
	s_wait_alu 0xfffe
	s_add_nc_u64 s[54:55], s[96:97], s[54:55]
	s_wait_alu 0xfffe
	s_add_co_u32 s0, s0, s54
	s_cselect_b32 s45, -1, 0
	s_wait_alu 0xfffe
	v_mul_hi_u32 v14, v2, s0
	s_cmp_lg_u32 s45, 0
	v_mad_co_u64_u32 v[9:10], null, v13, s0, 0
	s_add_co_ci_u32 s1, s1, s55
	s_wait_alu 0xfffe
	v_mad_co_u64_u32 v[7:8], null, v2, s1, 0
	v_mad_co_u64_u32 v[11:12], null, v13, s1, 0
	s_delay_alu instid0(VALU_DEP_2) | instskip(SKIP_1) | instid1(VALU_DEP_3)
	v_add_co_u32 v7, vcc_lo, v14, v7
	s_wait_alu 0xfffd
	v_add_co_ci_u32_e64 v8, null, 0, v8, vcc_lo
	s_delay_alu instid0(VALU_DEP_2) | instskip(SKIP_1) | instid1(VALU_DEP_2)
	v_add_co_u32 v7, vcc_lo, v7, v9
	s_wait_alu 0xfffd
	v_add_co_ci_u32_e32 v7, vcc_lo, v8, v10, vcc_lo
	s_wait_alu 0xfffd
	v_add_co_ci_u32_e32 v8, vcc_lo, 0, v12, vcc_lo
	s_delay_alu instid0(VALU_DEP_2) | instskip(SKIP_1) | instid1(VALU_DEP_2)
	v_add_co_u32 v9, vcc_lo, v7, v11
	s_wait_alu 0xfffd
	v_add_co_ci_u32_e64 v10, null, 0, v8, vcc_lo
	s_delay_alu instid0(VALU_DEP_2) | instskip(SKIP_1) | instid1(VALU_DEP_3)
	v_mul_lo_u32 v11, s3, v9
	v_mad_co_u64_u32 v[7:8], null, s2, v9, 0
	v_mul_lo_u32 v12, s2, v10
	s_delay_alu instid0(VALU_DEP_2) | instskip(NEXT) | instid1(VALU_DEP_2)
	v_sub_co_u32 v2, vcc_lo, v2, v7
	v_add3_u32 v8, v8, v12, v11
	s_delay_alu instid0(VALU_DEP_2) | instskip(NEXT) | instid1(VALU_DEP_2)
	v_cmp_le_u32_e64 s1, s2, v2
	v_sub_nc_u32_e32 v11, v13, v8
	s_wait_alu 0xfffd
	v_sub_co_ci_u32_e64 v8, null, v13, v8, vcc_lo
	s_wait_alu 0xf1ff
	v_cndmask_b32_e64 v12, 0, -1, s1
	v_subrev_co_ci_u32_e64 v7, null, s3, v11, vcc_lo
	v_sub_co_u32 v11, s0, v2, s2
	v_cmp_eq_u32_e64 s1, s3, v8
	s_wait_alu 0xf1ff
	s_delay_alu instid0(VALU_DEP_3) | instskip(NEXT) | instid1(VALU_DEP_3)
	v_subrev_co_ci_u32_e64 v7, null, 0, v7, s0
	v_cmp_le_u32_e32 vcc_lo, s2, v11
	v_cmp_le_u32_e64 s2, s3, v8
	s_delay_alu instid0(VALU_DEP_3)
	v_cmp_le_u32_e64 s0, s3, v7
	s_wait_alu 0xfffd
	v_cndmask_b32_e64 v2, 0, -1, vcc_lo
	v_cmp_eq_u32_e32 vcc_lo, s3, v7
	s_wait_alu 0xf1ff
	v_cndmask_b32_e64 v8, 0, -1, s2
	v_cndmask_b32_e64 v7, 0, -1, s0
	v_add_co_u32 v11, s0, v9, 2
	s_delay_alu instid0(VALU_DEP_3) | instskip(SKIP_1) | instid1(VALU_DEP_3)
	v_cndmask_b32_e64 v8, v8, v12, s1
	s_wait_alu 0xfffd
	v_cndmask_b32_e32 v2, v7, v2, vcc_lo
	s_wait_alu 0xf1ff
	v_add_co_ci_u32_e64 v7, null, 0, v10, s0
	v_add_co_u32 v13, vcc_lo, v9, 1
	s_delay_alu instid0(VALU_DEP_3)
	v_cmp_ne_u32_e64 s0, 0, v2
	s_wait_alu 0xfffd
	v_add_co_ci_u32_e64 v2, null, 0, v10, vcc_lo
	v_cmp_ne_u32_e32 vcc_lo, 0, v8
	s_wait_alu 0xf1ff
	v_cndmask_b32_e64 v8, v13, v11, s0
	s_delay_alu instid0(VALU_DEP_3) | instskip(SKIP_2) | instid1(VALU_DEP_2)
	v_cndmask_b32_e64 v2, v2, v7, s0
	v_xor_b32_e32 v11, s44, v29
	s_wait_alu 0xfffd
	v_dual_cndmask_b32 v7, v9, v8 :: v_dual_cndmask_b32 v2, v10, v2
	s_delay_alu instid0(VALU_DEP_1) | instskip(NEXT) | instid1(VALU_DEP_2)
	v_xor_b32_e32 v7, v7, v11
	v_xor_b32_e32 v2, v2, v11
	s_delay_alu instid0(VALU_DEP_2) | instskip(SKIP_1) | instid1(VALU_DEP_2)
	v_sub_co_u32 v7, vcc_lo, v7, v11
	s_wait_alu 0xfffd
	v_sub_co_ci_u32_e64 v8, null, v2, v11, vcc_lo
.LBB3_11:                               ;   in Loop: Header=BB3_5 Depth=1
	s_wait_alu 0xfffe
	s_and_not1_saveexec_b32 s0, s66
	s_cbranch_execz .LBB3_13
; %bb.12:                               ;   in Loop: Header=BB3_5 Depth=1
	s_sub_co_i32 s1, 0, s38
	s_wait_alu 0xfffe
	v_mul_lo_u32 v2, s1, v63
	s_delay_alu instid0(VALU_DEP_1) | instskip(NEXT) | instid1(VALU_DEP_1)
	v_mul_hi_u32 v2, v63, v2
	v_add_nc_u32_e32 v2, v63, v2
	s_delay_alu instid0(VALU_DEP_1) | instskip(NEXT) | instid1(VALU_DEP_1)
	v_mul_hi_u32 v2, v30, v2
	v_mul_lo_u32 v7, v2, s38
	s_delay_alu instid0(VALU_DEP_1) | instskip(NEXT) | instid1(VALU_DEP_1)
	v_sub_nc_u32_e32 v7, v30, v7
	v_cmp_le_u32_e32 vcc_lo, s38, v7
	v_subrev_nc_u32_e32 v9, s38, v7
	s_wait_alu 0xfffd
	s_delay_alu instid0(VALU_DEP_1) | instskip(NEXT) | instid1(VALU_DEP_1)
	v_dual_cndmask_b32 v7, v7, v9 :: v_dual_add_nc_u32 v8, 1, v2
	v_cndmask_b32_e32 v2, v2, v8, vcc_lo
	s_delay_alu instid0(VALU_DEP_2) | instskip(NEXT) | instid1(VALU_DEP_2)
	v_cmp_le_u32_e32 vcc_lo, s38, v7
	v_add_nc_u32_e32 v8, 1, v2
	s_wait_alu 0xfffd
	s_delay_alu instid0(VALU_DEP_1)
	v_dual_cndmask_b32 v7, v2, v8 :: v_dual_mov_b32 v8, v1
.LBB3_13:                               ;   in Loop: Header=BB3_5 Depth=1
	s_wait_alu 0xfffe
	s_or_b32 exec_lo, exec_lo, s0
	s_delay_alu instid0(VALU_DEP_1) | instskip(NEXT) | instid1(VALU_DEP_2)
	v_mul_lo_u32 v2, v8, s8
	v_mul_lo_u32 v11, v7, s9
	v_mad_co_u64_u32 v[9:10], null, v7, s8, 0
	s_mov_b32 s0, exec_lo
	v_add3_u32 v10, v10, v11, v2
	v_mul_lo_u32 v2, v8, s38
	v_mul_lo_u32 v11, v7, s39
	v_mad_co_u64_u32 v[7:8], null, v7, s38, 0
	s_delay_alu instid0(VALU_DEP_4) | instskip(NEXT) | instid1(VALU_DEP_2)
	v_lshlrev_b64_e32 v[9:10], 3, v[9:10]
	v_add3_u32 v2, v8, v11, v2
	s_delay_alu instid0(VALU_DEP_3) | instskip(SKIP_1) | instid1(VALU_DEP_2)
	v_sub_co_u32 v7, vcc_lo, v5, v7
	s_wait_alu 0xfffd
	v_sub_co_ci_u32_e64 v2, null, v6, v2, vcc_lo
	s_delay_alu instid0(VALU_DEP_2) | instskip(SKIP_1) | instid1(VALU_DEP_2)
	v_add_co_u32 v7, vcc_lo, v3, v7
	s_wait_alu 0xfffd
	v_add_co_ci_u32_e64 v2, null, v4, v2, vcc_lo
	s_delay_alu instid0(VALU_DEP_2) | instskip(SKIP_1) | instid1(VALU_DEP_3)
	v_mul_lo_u32 v11, v7, s11
	v_mad_co_u64_u32 v[7:8], null, v7, s10, 0
	v_mul_lo_u32 v2, v2, s10
	s_delay_alu instid0(VALU_DEP_1) | instskip(SKIP_2) | instid1(VALU_DEP_3)
	v_add3_u32 v8, v8, v11, v2
	v_mad_co_u64_u32 v[11:12], null, v17, 3, 0
	v_add_co_u32 v2, vcc_lo, s36, v9
	v_lshlrev_b64_e32 v[7:8], 3, v[7:8]
	s_wait_alu 0xfffd
	v_add_co_ci_u32_e64 v10, null, s37, v10, vcc_lo
	s_delay_alu instid0(VALU_DEP_2) | instskip(SKIP_2) | instid1(VALU_DEP_3)
	v_add_co_u32 v9, vcc_lo, v2, v7
	v_mov_b32_e32 v2, v12
	s_wait_alu 0xfffd
	v_add_co_ci_u32_e64 v10, null, v10, v8, vcc_lo
	v_mad_co_u64_u32 v[7:8], null, s4, v11, s[4:5]
	s_delay_alu instid0(VALU_DEP_3) | instskip(SKIP_1) | instid1(VALU_DEP_3)
	v_mad_co_u64_u32 v[12:13], null, v18, 3, v[2:3]
	v_mul_lo_u32 v2, s5, v11
	v_add_co_u32 v38, vcc_lo, v3, v7
	s_delay_alu instid0(VALU_DEP_3) | instskip(NEXT) | instid1(VALU_DEP_1)
	v_mul_lo_u32 v13, s4, v12
	v_add3_u32 v8, v2, v8, v13
	global_load_b64 v[13:14], v[9:10], off
                                        ; implicit-def: $vgpr9_vgpr10
	s_wait_alu 0xfffd
	v_add_co_ci_u32_e64 v39, null, v4, v8, vcc_lo
	s_delay_alu instid0(VALU_DEP_1) | instskip(SKIP_1) | instid1(VALU_DEP_2)
	v_or_b32_e32 v2, s39, v39
	v_ashrrev_i32_e32 v33, 31, v39
	v_cmpx_ne_u64_e32 0, v[1:2]
	s_wait_alu 0xfffe
	s_xor_b32 s66, exec_lo, s0
	s_cbranch_execz .LBB3_15
; %bb.14:                               ;   in Loop: Header=BB3_5 Depth=1
	s_ashr_i32 s44, s39, 31
	s_wait_alu 0xfffe
	s_mov_b32 s45, s44
	s_wait_alu 0xfffe
	s_add_nc_u64 s[0:1], s[38:39], s[44:45]
	s_wait_alu 0xfffe
	s_xor_b64 s[2:3], s[0:1], s[44:45]
	s_wait_alu 0xfffe
	s_cvt_f32_u32 s0, s2
	s_cvt_f32_u32 s1, s3
	s_sub_nc_u64 s[54:55], 0, s[2:3]
	s_wait_alu 0xfffe
	s_delay_alu instid0(SALU_CYCLE_1) | instskip(SKIP_1) | instid1(SALU_CYCLE_2)
	s_fmamk_f32 s0, s1, 0x4f800000, s0
	s_wait_alu 0xfffe
	v_s_rcp_f32 s0, s0
	s_delay_alu instid0(TRANS32_DEP_1) | instskip(SKIP_1) | instid1(SALU_CYCLE_2)
	s_mul_f32 s0, s0, 0x5f7ffffc
	s_wait_alu 0xfffe
	s_mul_f32 s1, s0, 0x2f800000
	s_wait_alu 0xfffe
	s_delay_alu instid0(SALU_CYCLE_2) | instskip(SKIP_1) | instid1(SALU_CYCLE_2)
	s_trunc_f32 s1, s1
	s_wait_alu 0xfffe
	s_fmamk_f32 s0, s1, 0xcf800000, s0
	s_cvt_u32_f32 s1, s1
	s_wait_alu 0xfffe
	s_delay_alu instid0(SALU_CYCLE_1) | instskip(SKIP_1) | instid1(SALU_CYCLE_2)
	s_cvt_u32_f32 s0, s0
	s_wait_alu 0xfffe
	s_mul_u64 s[58:59], s[54:55], s[0:1]
	s_delay_alu instid0(SALU_CYCLE_1)
	s_mul_hi_u32 s71, s0, s59
	s_mul_i32 s70, s0, s59
	s_mul_hi_u32 s96, s0, s58
	s_mul_i32 s69, s1, s58
	s_add_nc_u64 s[70:71], s[96:97], s[70:71]
	s_mul_hi_u32 s45, s1, s58
	s_mul_hi_u32 vcc_lo, s1, s59
	s_mul_i32 s58, s1, s59
	s_wait_alu 0xfffe
	s_add_co_u32 s59, s70, s69
	s_add_co_ci_u32 s96, s71, s45
	s_add_co_ci_u32 s59, vcc_lo, 0
	v_add_co_u32 v2, vcc_lo, v38, v33
	s_add_nc_u64 s[58:59], s[96:97], s[58:59]
	s_wait_alu 0xfffd
	v_add_co_ci_u32_e64 v9, null, v39, v33, vcc_lo
	s_add_co_u32 s0, s0, s58
	s_cselect_b32 s45, -1, 0
	v_xor_b32_e32 v2, v2, v33
	s_wait_alu 0xfffe
	s_cmp_lg_u32 s45, 0
	v_xor_b32_e32 v21, v9, v33
	s_add_co_ci_u32 s1, s1, s59
	s_wait_alu 0xfffe
	s_mul_u64 s[54:55], s[54:55], s[0:1]
	s_wait_alu 0xfffe
	s_mul_hi_u32 s59, s0, s55
	s_mul_i32 s58, s0, s55
	s_mul_hi_u32 s96, s0, s54
	s_mul_i32 s69, s1, s54
	s_add_nc_u64 s[58:59], s[96:97], s[58:59]
	s_mul_hi_u32 s45, s1, s54
	s_mul_hi_u32 s70, s1, s55
	s_mul_i32 s54, s1, s55
	s_wait_alu 0xfffe
	s_add_co_u32 s55, s58, s69
	s_add_co_ci_u32 s96, s59, s45
	s_add_co_ci_u32 s55, s70, 0
	s_wait_alu 0xfffe
	s_add_nc_u64 s[54:55], s[96:97], s[54:55]
	s_wait_alu 0xfffe
	s_add_co_u32 s0, s0, s54
	s_cselect_b32 s45, -1, 0
	s_wait_alu 0xfffe
	v_mul_hi_u32 v22, v2, s0
	s_cmp_lg_u32 s45, 0
	v_mad_co_u64_u32 v[15:16], null, v21, s0, 0
	s_add_co_ci_u32 s1, s1, s55
	s_wait_alu 0xfffe
	v_mad_co_u64_u32 v[9:10], null, v2, s1, 0
	v_mad_co_u64_u32 v[19:20], null, v21, s1, 0
	s_delay_alu instid0(VALU_DEP_2) | instskip(SKIP_1) | instid1(VALU_DEP_3)
	v_add_co_u32 v9, vcc_lo, v22, v9
	s_wait_alu 0xfffd
	v_add_co_ci_u32_e64 v10, null, 0, v10, vcc_lo
	s_delay_alu instid0(VALU_DEP_2) | instskip(SKIP_1) | instid1(VALU_DEP_2)
	v_add_co_u32 v9, vcc_lo, v9, v15
	s_wait_alu 0xfffd
	v_add_co_ci_u32_e32 v9, vcc_lo, v10, v16, vcc_lo
	s_wait_alu 0xfffd
	v_add_co_ci_u32_e32 v10, vcc_lo, 0, v20, vcc_lo
	s_delay_alu instid0(VALU_DEP_2) | instskip(SKIP_1) | instid1(VALU_DEP_2)
	v_add_co_u32 v15, vcc_lo, v9, v19
	s_wait_alu 0xfffd
	v_add_co_ci_u32_e64 v16, null, 0, v10, vcc_lo
	s_delay_alu instid0(VALU_DEP_2) | instskip(SKIP_1) | instid1(VALU_DEP_3)
	v_mul_lo_u32 v19, s3, v15
	v_mad_co_u64_u32 v[9:10], null, s2, v15, 0
	v_mul_lo_u32 v20, s2, v16
	s_delay_alu instid0(VALU_DEP_2) | instskip(NEXT) | instid1(VALU_DEP_2)
	v_sub_co_u32 v2, vcc_lo, v2, v9
	v_add3_u32 v10, v10, v20, v19
	s_delay_alu instid0(VALU_DEP_2) | instskip(NEXT) | instid1(VALU_DEP_2)
	v_cmp_le_u32_e64 s1, s2, v2
	v_sub_nc_u32_e32 v19, v21, v10
	s_wait_alu 0xfffd
	v_sub_co_ci_u32_e64 v10, null, v21, v10, vcc_lo
	s_wait_alu 0xf1ff
	v_cndmask_b32_e64 v20, 0, -1, s1
	v_subrev_co_ci_u32_e64 v9, null, s3, v19, vcc_lo
	v_sub_co_u32 v19, s0, v2, s2
	v_cmp_eq_u32_e64 s1, s3, v10
	s_wait_alu 0xf1ff
	s_delay_alu instid0(VALU_DEP_3) | instskip(NEXT) | instid1(VALU_DEP_3)
	v_subrev_co_ci_u32_e64 v9, null, 0, v9, s0
	v_cmp_le_u32_e32 vcc_lo, s2, v19
	v_cmp_le_u32_e64 s2, s3, v10
	s_delay_alu instid0(VALU_DEP_3)
	v_cmp_le_u32_e64 s0, s3, v9
	s_wait_alu 0xfffd
	v_cndmask_b32_e64 v2, 0, -1, vcc_lo
	v_cmp_eq_u32_e32 vcc_lo, s3, v9
	s_wait_alu 0xf1ff
	v_cndmask_b32_e64 v10, 0, -1, s2
	v_cndmask_b32_e64 v9, 0, -1, s0
	v_add_co_u32 v19, s0, v15, 2
	s_delay_alu instid0(VALU_DEP_3) | instskip(SKIP_1) | instid1(VALU_DEP_3)
	v_cndmask_b32_e64 v10, v10, v20, s1
	s_wait_alu 0xfffd
	v_cndmask_b32_e32 v2, v9, v2, vcc_lo
	s_wait_alu 0xf1ff
	v_add_co_ci_u32_e64 v9, null, 0, v16, s0
	v_add_co_u32 v21, vcc_lo, v15, 1
	s_delay_alu instid0(VALU_DEP_3)
	v_cmp_ne_u32_e64 s0, 0, v2
	s_wait_alu 0xfffd
	v_add_co_ci_u32_e64 v2, null, 0, v16, vcc_lo
	v_cmp_ne_u32_e32 vcc_lo, 0, v10
	s_wait_alu 0xf1ff
	v_cndmask_b32_e64 v10, v21, v19, s0
	s_delay_alu instid0(VALU_DEP_3) | instskip(SKIP_2) | instid1(VALU_DEP_3)
	v_cndmask_b32_e64 v2, v2, v9, s0
	v_xor_b32_e32 v19, s44, v33
	s_wait_alu 0xfffd
	v_cndmask_b32_e32 v9, v15, v10, vcc_lo
	s_delay_alu instid0(VALU_DEP_3) | instskip(NEXT) | instid1(VALU_DEP_2)
	v_cndmask_b32_e32 v2, v16, v2, vcc_lo
	v_xor_b32_e32 v9, v9, v19
	s_delay_alu instid0(VALU_DEP_2) | instskip(NEXT) | instid1(VALU_DEP_2)
	v_xor_b32_e32 v2, v2, v19
	v_sub_co_u32 v9, vcc_lo, v9, v19
	s_wait_alu 0xfffd
	s_delay_alu instid0(VALU_DEP_2)
	v_sub_co_ci_u32_e64 v10, null, v2, v19, vcc_lo
.LBB3_15:                               ;   in Loop: Header=BB3_5 Depth=1
	s_wait_alu 0xfffe
	s_and_not1_saveexec_b32 s0, s66
	s_cbranch_execz .LBB3_17
; %bb.16:                               ;   in Loop: Header=BB3_5 Depth=1
	s_sub_co_i32 s1, 0, s38
	s_wait_alu 0xfffe
	v_mul_lo_u32 v2, s1, v63
	s_delay_alu instid0(VALU_DEP_1) | instskip(NEXT) | instid1(VALU_DEP_1)
	v_mul_hi_u32 v2, v63, v2
	v_add_nc_u32_e32 v2, v63, v2
	s_delay_alu instid0(VALU_DEP_1) | instskip(NEXT) | instid1(VALU_DEP_1)
	v_mul_hi_u32 v2, v38, v2
	v_mul_lo_u32 v9, v2, s38
	v_add_nc_u32_e32 v10, 1, v2
	s_delay_alu instid0(VALU_DEP_2) | instskip(NEXT) | instid1(VALU_DEP_1)
	v_sub_nc_u32_e32 v9, v38, v9
	v_cmp_le_u32_e32 vcc_lo, s38, v9
	v_subrev_nc_u32_e32 v15, s38, v9
	s_wait_alu 0xfffd
	s_delay_alu instid0(VALU_DEP_1) | instskip(NEXT) | instid1(VALU_DEP_1)
	v_dual_cndmask_b32 v2, v2, v10 :: v_dual_cndmask_b32 v9, v9, v15
	v_add_nc_u32_e32 v10, 1, v2
	s_delay_alu instid0(VALU_DEP_2) | instskip(SKIP_1) | instid1(VALU_DEP_2)
	v_cmp_le_u32_e32 vcc_lo, s38, v9
	s_wait_alu 0xfffd
	v_dual_cndmask_b32 v9, v2, v10 :: v_dual_mov_b32 v10, v1
.LBB3_17:                               ;   in Loop: Header=BB3_5 Depth=1
	s_wait_alu 0xfffe
	s_or_b32 exec_lo, exec_lo, s0
	s_delay_alu instid0(VALU_DEP_1) | instskip(NEXT) | instid1(VALU_DEP_2)
	v_mul_lo_u32 v2, v10, s8
	v_mul_lo_u32 v19, v9, s9
	v_mad_co_u64_u32 v[15:16], null, v9, s8, 0
	s_mov_b32 s0, exec_lo
	v_add3_u32 v16, v16, v19, v2
	v_mul_lo_u32 v2, v10, s38
	v_mul_lo_u32 v19, v9, s39
	v_mad_co_u64_u32 v[9:10], null, v9, s38, 0
	s_delay_alu instid0(VALU_DEP_4) | instskip(NEXT) | instid1(VALU_DEP_2)
	v_lshlrev_b64_e32 v[15:16], 3, v[15:16]
	v_add3_u32 v2, v10, v19, v2
	s_delay_alu instid0(VALU_DEP_3) | instskip(SKIP_1) | instid1(VALU_DEP_2)
	v_sub_co_u32 v9, vcc_lo, v7, v9
	s_wait_alu 0xfffd
	v_sub_co_ci_u32_e64 v2, null, v8, v2, vcc_lo
	s_delay_alu instid0(VALU_DEP_2) | instskip(SKIP_1) | instid1(VALU_DEP_2)
	v_add_co_u32 v9, vcc_lo, v3, v9
	s_wait_alu 0xfffd
	v_add_co_ci_u32_e64 v2, null, v4, v2, vcc_lo
	s_delay_alu instid0(VALU_DEP_2) | instskip(SKIP_1) | instid1(VALU_DEP_3)
	v_mul_lo_u32 v19, v9, s11
	v_mad_co_u64_u32 v[9:10], null, v9, s10, 0
	v_mul_lo_u32 v2, v2, s10
	s_delay_alu instid0(VALU_DEP_1) | instskip(SKIP_3) | instid1(VALU_DEP_3)
	v_add3_u32 v10, v10, v19, v2
	v_add_co_u32 v2, vcc_lo, s36, v15
	s_wait_alu 0xfffd
	v_add_co_ci_u32_e64 v16, null, s37, v16, vcc_lo
	v_lshlrev_b64_e32 v[9:10], 3, v[9:10]
	s_delay_alu instid0(VALU_DEP_1) | instskip(SKIP_1) | instid1(VALU_DEP_2)
	v_add_co_u32 v15, vcc_lo, v2, v9
	s_wait_alu 0xfffd
	v_add_co_ci_u32_e64 v16, null, v16, v10, vcc_lo
	v_add_co_u32 v2, vcc_lo, v11, 2
	s_wait_alu 0xfffd
	v_add_co_ci_u32_e64 v9, null, 0, v12, vcc_lo
	global_load_b64 v[15:16], v[15:16], off
	v_mul_lo_u32 v20, s5, v2
	v_mul_lo_u32 v19, s4, v9
	v_mad_co_u64_u32 v[9:10], null, s4, v2, 0
	s_delay_alu instid0(VALU_DEP_1) | instskip(NEXT) | instid1(VALU_DEP_2)
	v_add3_u32 v10, v10, v19, v20
	v_add_co_u32 v41, vcc_lo, v3, v9
                                        ; implicit-def: $vgpr19_vgpr20
	s_wait_alu 0xfffd
	s_delay_alu instid0(VALU_DEP_2) | instskip(NEXT) | instid1(VALU_DEP_1)
	v_add_co_ci_u32_e64 v42, null, v4, v10, vcc_lo
	v_or_b32_e32 v2, s39, v42
	v_ashrrev_i32_e32 v37, 31, v42
	s_delay_alu instid0(VALU_DEP_2)
	v_cmpx_ne_u64_e32 0, v[1:2]
	s_wait_alu 0xfffe
	s_xor_b32 s66, exec_lo, s0
	s_cbranch_execz .LBB3_19
; %bb.18:                               ;   in Loop: Header=BB3_5 Depth=1
	s_ashr_i32 s44, s39, 31
	s_wait_alu 0xfffe
	s_mov_b32 s45, s44
	s_wait_alu 0xfffe
	s_add_nc_u64 s[0:1], s[38:39], s[44:45]
	s_wait_alu 0xfffe
	s_xor_b64 s[2:3], s[0:1], s[44:45]
	s_wait_alu 0xfffe
	s_cvt_f32_u32 s0, s2
	s_cvt_f32_u32 s1, s3
	s_sub_nc_u64 s[54:55], 0, s[2:3]
	s_wait_alu 0xfffe
	s_delay_alu instid0(SALU_CYCLE_1) | instskip(SKIP_1) | instid1(SALU_CYCLE_2)
	s_fmamk_f32 s0, s1, 0x4f800000, s0
	s_wait_alu 0xfffe
	v_s_rcp_f32 s0, s0
	s_delay_alu instid0(TRANS32_DEP_1) | instskip(SKIP_1) | instid1(SALU_CYCLE_2)
	s_mul_f32 s0, s0, 0x5f7ffffc
	s_wait_alu 0xfffe
	s_mul_f32 s1, s0, 0x2f800000
	s_wait_alu 0xfffe
	s_delay_alu instid0(SALU_CYCLE_2) | instskip(SKIP_1) | instid1(SALU_CYCLE_2)
	s_trunc_f32 s1, s1
	s_wait_alu 0xfffe
	s_fmamk_f32 s0, s1, 0xcf800000, s0
	s_cvt_u32_f32 s1, s1
	s_wait_alu 0xfffe
	s_delay_alu instid0(SALU_CYCLE_1) | instskip(SKIP_1) | instid1(SALU_CYCLE_2)
	s_cvt_u32_f32 s0, s0
	s_wait_alu 0xfffe
	s_mul_u64 s[58:59], s[54:55], s[0:1]
	s_delay_alu instid0(SALU_CYCLE_1)
	s_mul_hi_u32 s71, s0, s59
	s_mul_i32 s70, s0, s59
	s_mul_hi_u32 s96, s0, s58
	s_mul_i32 s69, s1, s58
	s_add_nc_u64 s[70:71], s[96:97], s[70:71]
	s_mul_hi_u32 s45, s1, s58
	s_mul_hi_u32 vcc_lo, s1, s59
	s_mul_i32 s58, s1, s59
	s_wait_alu 0xfffe
	s_add_co_u32 s59, s70, s69
	s_add_co_ci_u32 s96, s71, s45
	s_add_co_ci_u32 s59, vcc_lo, 0
	v_add_co_u32 v2, vcc_lo, v41, v37
	s_add_nc_u64 s[58:59], s[96:97], s[58:59]
	s_wait_alu 0xfffd
	v_add_co_ci_u32_e64 v19, null, v42, v37, vcc_lo
	s_add_co_u32 s0, s0, s58
	s_cselect_b32 s45, -1, 0
	v_xor_b32_e32 v2, v2, v37
	s_wait_alu 0xfffe
	s_cmp_lg_u32 s45, 0
	v_xor_b32_e32 v25, v19, v37
	s_add_co_ci_u32 s1, s1, s59
	s_wait_alu 0xfffe
	s_mul_u64 s[54:55], s[54:55], s[0:1]
	s_wait_alu 0xfffe
	s_mul_hi_u32 s59, s0, s55
	s_mul_i32 s58, s0, s55
	s_mul_hi_u32 s96, s0, s54
	s_mul_i32 s69, s1, s54
	s_add_nc_u64 s[58:59], s[96:97], s[58:59]
	s_mul_hi_u32 s45, s1, s54
	s_mul_hi_u32 s70, s1, s55
	s_mul_i32 s54, s1, s55
	s_wait_alu 0xfffe
	s_add_co_u32 s55, s58, s69
	s_add_co_ci_u32 s96, s59, s45
	s_add_co_ci_u32 s55, s70, 0
	s_wait_alu 0xfffe
	s_add_nc_u64 s[54:55], s[96:97], s[54:55]
	s_wait_alu 0xfffe
	s_add_co_u32 s0, s0, s54
	s_cselect_b32 s45, -1, 0
	s_wait_alu 0xfffe
	v_mul_hi_u32 v26, v2, s0
	s_cmp_lg_u32 s45, 0
	v_mad_co_u64_u32 v[21:22], null, v25, s0, 0
	s_add_co_ci_u32 s1, s1, s55
	s_wait_alu 0xfffe
	v_mad_co_u64_u32 v[19:20], null, v2, s1, 0
	v_mad_co_u64_u32 v[23:24], null, v25, s1, 0
	s_delay_alu instid0(VALU_DEP_2) | instskip(SKIP_1) | instid1(VALU_DEP_3)
	v_add_co_u32 v19, vcc_lo, v26, v19
	s_wait_alu 0xfffd
	v_add_co_ci_u32_e64 v20, null, 0, v20, vcc_lo
	s_delay_alu instid0(VALU_DEP_2) | instskip(SKIP_1) | instid1(VALU_DEP_2)
	v_add_co_u32 v19, vcc_lo, v19, v21
	s_wait_alu 0xfffd
	v_add_co_ci_u32_e32 v19, vcc_lo, v20, v22, vcc_lo
	s_wait_alu 0xfffd
	v_add_co_ci_u32_e32 v20, vcc_lo, 0, v24, vcc_lo
	s_delay_alu instid0(VALU_DEP_2) | instskip(SKIP_1) | instid1(VALU_DEP_2)
	v_add_co_u32 v21, vcc_lo, v19, v23
	s_wait_alu 0xfffd
	v_add_co_ci_u32_e64 v22, null, 0, v20, vcc_lo
	s_delay_alu instid0(VALU_DEP_2) | instskip(SKIP_1) | instid1(VALU_DEP_3)
	v_mul_lo_u32 v23, s3, v21
	v_mad_co_u64_u32 v[19:20], null, s2, v21, 0
	v_mul_lo_u32 v24, s2, v22
	s_delay_alu instid0(VALU_DEP_2) | instskip(NEXT) | instid1(VALU_DEP_2)
	v_sub_co_u32 v2, vcc_lo, v2, v19
	v_add3_u32 v20, v20, v24, v23
	s_delay_alu instid0(VALU_DEP_2) | instskip(NEXT) | instid1(VALU_DEP_2)
	v_cmp_le_u32_e64 s1, s2, v2
	v_sub_nc_u32_e32 v23, v25, v20
	s_wait_alu 0xfffd
	v_sub_co_ci_u32_e64 v20, null, v25, v20, vcc_lo
	s_wait_alu 0xf1ff
	v_cndmask_b32_e64 v24, 0, -1, s1
	v_subrev_co_ci_u32_e64 v19, null, s3, v23, vcc_lo
	v_sub_co_u32 v23, s0, v2, s2
	v_cmp_eq_u32_e64 s1, s3, v20
	s_wait_alu 0xf1ff
	s_delay_alu instid0(VALU_DEP_3) | instskip(NEXT) | instid1(VALU_DEP_3)
	v_subrev_co_ci_u32_e64 v19, null, 0, v19, s0
	v_cmp_le_u32_e32 vcc_lo, s2, v23
	v_cmp_le_u32_e64 s2, s3, v20
	s_delay_alu instid0(VALU_DEP_3)
	v_cmp_le_u32_e64 s0, s3, v19
	s_wait_alu 0xfffd
	v_cndmask_b32_e64 v2, 0, -1, vcc_lo
	v_cmp_eq_u32_e32 vcc_lo, s3, v19
	s_wait_alu 0xf1ff
	v_cndmask_b32_e64 v20, 0, -1, s2
	v_cndmask_b32_e64 v19, 0, -1, s0
	v_add_co_u32 v23, s0, v21, 2
	s_delay_alu instid0(VALU_DEP_3) | instskip(SKIP_1) | instid1(VALU_DEP_3)
	v_cndmask_b32_e64 v20, v20, v24, s1
	s_wait_alu 0xfffd
	v_cndmask_b32_e32 v2, v19, v2, vcc_lo
	s_wait_alu 0xf1ff
	v_add_co_ci_u32_e64 v19, null, 0, v22, s0
	v_add_co_u32 v25, vcc_lo, v21, 1
	s_delay_alu instid0(VALU_DEP_3)
	v_cmp_ne_u32_e64 s0, 0, v2
	s_wait_alu 0xfffd
	v_add_co_ci_u32_e64 v2, null, 0, v22, vcc_lo
	v_cmp_ne_u32_e32 vcc_lo, 0, v20
	s_wait_alu 0xf1ff
	v_cndmask_b32_e64 v20, v25, v23, s0
	s_delay_alu instid0(VALU_DEP_3) | instskip(SKIP_2) | instid1(VALU_DEP_2)
	v_cndmask_b32_e64 v2, v2, v19, s0
	v_xor_b32_e32 v23, s44, v37
	s_wait_alu 0xfffd
	v_dual_cndmask_b32 v19, v21, v20 :: v_dual_cndmask_b32 v2, v22, v2
	s_delay_alu instid0(VALU_DEP_1) | instskip(NEXT) | instid1(VALU_DEP_2)
	v_xor_b32_e32 v19, v19, v23
	v_xor_b32_e32 v2, v2, v23
	s_delay_alu instid0(VALU_DEP_2) | instskip(SKIP_1) | instid1(VALU_DEP_2)
	v_sub_co_u32 v19, vcc_lo, v19, v23
	s_wait_alu 0xfffd
	v_sub_co_ci_u32_e64 v20, null, v2, v23, vcc_lo
.LBB3_19:                               ;   in Loop: Header=BB3_5 Depth=1
	s_wait_alu 0xfffe
	s_and_not1_saveexec_b32 s0, s66
	s_cbranch_execz .LBB3_21
; %bb.20:                               ;   in Loop: Header=BB3_5 Depth=1
	s_sub_co_i32 s1, 0, s38
	s_wait_alu 0xfffe
	v_mul_lo_u32 v2, s1, v63
	s_delay_alu instid0(VALU_DEP_1) | instskip(NEXT) | instid1(VALU_DEP_1)
	v_mul_hi_u32 v2, v63, v2
	v_add_nc_u32_e32 v2, v63, v2
	s_delay_alu instid0(VALU_DEP_1) | instskip(NEXT) | instid1(VALU_DEP_1)
	v_mul_hi_u32 v2, v41, v2
	v_mul_lo_u32 v19, v2, s38
	s_delay_alu instid0(VALU_DEP_1) | instskip(NEXT) | instid1(VALU_DEP_1)
	v_sub_nc_u32_e32 v19, v41, v19
	v_cmp_le_u32_e32 vcc_lo, s38, v19
	v_subrev_nc_u32_e32 v21, s38, v19
	s_wait_alu 0xfffd
	s_delay_alu instid0(VALU_DEP_1) | instskip(NEXT) | instid1(VALU_DEP_1)
	v_dual_cndmask_b32 v19, v19, v21 :: v_dual_add_nc_u32 v20, 1, v2
	v_cndmask_b32_e32 v2, v2, v20, vcc_lo
	s_delay_alu instid0(VALU_DEP_2) | instskip(NEXT) | instid1(VALU_DEP_2)
	v_cmp_le_u32_e32 vcc_lo, s38, v19
	v_add_nc_u32_e32 v20, 1, v2
	s_wait_alu 0xfffd
	s_delay_alu instid0(VALU_DEP_1)
	v_dual_cndmask_b32 v19, v2, v20 :: v_dual_mov_b32 v20, v1
.LBB3_21:                               ;   in Loop: Header=BB3_5 Depth=1
	s_wait_alu 0xfffe
	s_or_b32 exec_lo, exec_lo, s0
	s_delay_alu instid0(VALU_DEP_1) | instskip(NEXT) | instid1(VALU_DEP_2)
	v_mul_lo_u32 v2, v20, s8
	v_mul_lo_u32 v23, v19, s9
	v_mad_co_u64_u32 v[21:22], null, v19, s8, 0
	s_mov_b32 s0, exec_lo
	v_add3_u32 v22, v22, v23, v2
	v_mul_lo_u32 v2, v20, s38
	v_mul_lo_u32 v23, v19, s39
	v_mad_co_u64_u32 v[19:20], null, v19, s38, 0
	s_delay_alu instid0(VALU_DEP_4) | instskip(NEXT) | instid1(VALU_DEP_2)
	v_lshlrev_b64_e32 v[21:22], 3, v[21:22]
	v_add3_u32 v2, v20, v23, v2
	s_delay_alu instid0(VALU_DEP_3) | instskip(SKIP_1) | instid1(VALU_DEP_2)
	v_sub_co_u32 v19, vcc_lo, v9, v19
	s_wait_alu 0xfffd
	v_sub_co_ci_u32_e64 v2, null, v10, v2, vcc_lo
	s_delay_alu instid0(VALU_DEP_2) | instskip(SKIP_1) | instid1(VALU_DEP_2)
	v_add_co_u32 v19, vcc_lo, v3, v19
	s_wait_alu 0xfffd
	v_add_co_ci_u32_e64 v2, null, v4, v2, vcc_lo
	s_delay_alu instid0(VALU_DEP_2) | instskip(SKIP_1) | instid1(VALU_DEP_3)
	v_mul_lo_u32 v23, v19, s11
	v_mad_co_u64_u32 v[19:20], null, v19, s10, 0
	v_mul_lo_u32 v2, v2, s10
	s_delay_alu instid0(VALU_DEP_1) | instskip(SKIP_3) | instid1(VALU_DEP_3)
	v_add3_u32 v20, v20, v23, v2
	v_add_co_u32 v2, vcc_lo, s36, v21
	s_wait_alu 0xfffd
	v_add_co_ci_u32_e64 v21, null, s37, v22, vcc_lo
	v_lshlrev_b64_e32 v[19:20], 3, v[19:20]
	s_delay_alu instid0(VALU_DEP_1) | instskip(SKIP_1) | instid1(VALU_DEP_2)
	v_add_co_u32 v19, vcc_lo, v2, v19
	s_wait_alu 0xfffd
	v_add_co_ci_u32_e64 v20, null, v21, v20, vcc_lo
	v_add_co_u32 v2, vcc_lo, v11, 3
	s_wait_alu 0xfffd
	v_add_co_ci_u32_e64 v11, null, 0, v12, vcc_lo
	global_load_b64 v[21:22], v[19:20], off
	v_mul_lo_u32 v19, s5, v2
	v_mul_lo_u32 v20, s4, v11
	v_mad_co_u64_u32 v[11:12], null, s4, v2, 0
	s_delay_alu instid0(VALU_DEP_1) | instskip(NEXT) | instid1(VALU_DEP_2)
	v_add3_u32 v12, v12, v20, v19
	v_add_co_u32 v43, vcc_lo, v3, v11
                                        ; implicit-def: $vgpr19_vgpr20
	s_wait_alu 0xfffd
	s_delay_alu instid0(VALU_DEP_2) | instskip(NEXT) | instid1(VALU_DEP_1)
	v_add_co_ci_u32_e64 v44, null, v4, v12, vcc_lo
	v_or_b32_e32 v2, s39, v44
	v_ashrrev_i32_e32 v40, 31, v44
	s_delay_alu instid0(VALU_DEP_2)
	v_cmpx_ne_u64_e32 0, v[1:2]
	s_wait_alu 0xfffe
	s_xor_b32 s66, exec_lo, s0
	s_cbranch_execz .LBB3_23
; %bb.22:                               ;   in Loop: Header=BB3_5 Depth=1
	s_ashr_i32 s44, s39, 31
	s_wait_alu 0xfffe
	s_mov_b32 s45, s44
	s_wait_alu 0xfffe
	s_add_nc_u64 s[0:1], s[38:39], s[44:45]
	s_wait_alu 0xfffe
	s_xor_b64 s[2:3], s[0:1], s[44:45]
	s_wait_alu 0xfffe
	s_cvt_f32_u32 s0, s2
	s_cvt_f32_u32 s1, s3
	s_sub_nc_u64 s[54:55], 0, s[2:3]
	s_wait_alu 0xfffe
	s_delay_alu instid0(SALU_CYCLE_1) | instskip(SKIP_1) | instid1(SALU_CYCLE_2)
	s_fmamk_f32 s0, s1, 0x4f800000, s0
	s_wait_alu 0xfffe
	v_s_rcp_f32 s0, s0
	s_delay_alu instid0(TRANS32_DEP_1) | instskip(SKIP_1) | instid1(SALU_CYCLE_2)
	s_mul_f32 s0, s0, 0x5f7ffffc
	s_wait_alu 0xfffe
	s_mul_f32 s1, s0, 0x2f800000
	s_wait_alu 0xfffe
	s_delay_alu instid0(SALU_CYCLE_2) | instskip(SKIP_1) | instid1(SALU_CYCLE_2)
	s_trunc_f32 s1, s1
	s_wait_alu 0xfffe
	s_fmamk_f32 s0, s1, 0xcf800000, s0
	s_cvt_u32_f32 s1, s1
	s_wait_alu 0xfffe
	s_delay_alu instid0(SALU_CYCLE_1) | instskip(SKIP_1) | instid1(SALU_CYCLE_2)
	s_cvt_u32_f32 s0, s0
	s_wait_alu 0xfffe
	s_mul_u64 s[58:59], s[54:55], s[0:1]
	s_delay_alu instid0(SALU_CYCLE_1)
	s_mul_hi_u32 s71, s0, s59
	s_mul_i32 s70, s0, s59
	s_mul_hi_u32 s96, s0, s58
	s_mul_i32 s69, s1, s58
	s_add_nc_u64 s[70:71], s[96:97], s[70:71]
	s_mul_hi_u32 s45, s1, s58
	s_mul_hi_u32 vcc_lo, s1, s59
	s_mul_i32 s58, s1, s59
	s_wait_alu 0xfffe
	s_add_co_u32 s59, s70, s69
	s_add_co_ci_u32 s96, s71, s45
	s_add_co_ci_u32 s59, vcc_lo, 0
	v_add_co_u32 v2, vcc_lo, v43, v40
	s_add_nc_u64 s[58:59], s[96:97], s[58:59]
	s_wait_alu 0xfffd
	v_add_co_ci_u32_e64 v19, null, v44, v40, vcc_lo
	s_add_co_u32 s0, s0, s58
	s_cselect_b32 s45, -1, 0
	v_xor_b32_e32 v2, v2, v40
	s_wait_alu 0xfffe
	s_cmp_lg_u32 s45, 0
	v_xor_b32_e32 v27, v19, v40
	s_add_co_ci_u32 s1, s1, s59
	s_wait_alu 0xfffe
	s_mul_u64 s[54:55], s[54:55], s[0:1]
	s_wait_alu 0xfffe
	s_mul_hi_u32 s59, s0, s55
	s_mul_i32 s58, s0, s55
	s_mul_hi_u32 s96, s0, s54
	s_mul_i32 s69, s1, s54
	s_add_nc_u64 s[58:59], s[96:97], s[58:59]
	s_mul_hi_u32 s45, s1, s54
	s_mul_hi_u32 s70, s1, s55
	s_mul_i32 s54, s1, s55
	s_wait_alu 0xfffe
	s_add_co_u32 s55, s58, s69
	s_add_co_ci_u32 s96, s59, s45
	s_add_co_ci_u32 s55, s70, 0
	s_wait_alu 0xfffe
	s_add_nc_u64 s[54:55], s[96:97], s[54:55]
	s_wait_alu 0xfffe
	s_add_co_u32 s0, s0, s54
	s_cselect_b32 s45, -1, 0
	s_wait_alu 0xfffe
	v_mul_hi_u32 v28, v2, s0
	s_cmp_lg_u32 s45, 0
	v_mad_co_u64_u32 v[23:24], null, v27, s0, 0
	s_add_co_ci_u32 s1, s1, s55
	s_wait_alu 0xfffe
	v_mad_co_u64_u32 v[19:20], null, v2, s1, 0
	v_mad_co_u64_u32 v[25:26], null, v27, s1, 0
	s_delay_alu instid0(VALU_DEP_2) | instskip(SKIP_1) | instid1(VALU_DEP_3)
	v_add_co_u32 v19, vcc_lo, v28, v19
	s_wait_alu 0xfffd
	v_add_co_ci_u32_e64 v20, null, 0, v20, vcc_lo
	s_delay_alu instid0(VALU_DEP_2) | instskip(SKIP_1) | instid1(VALU_DEP_2)
	v_add_co_u32 v19, vcc_lo, v19, v23
	s_wait_alu 0xfffd
	v_add_co_ci_u32_e32 v19, vcc_lo, v20, v24, vcc_lo
	s_wait_alu 0xfffd
	v_add_co_ci_u32_e32 v20, vcc_lo, 0, v26, vcc_lo
	s_delay_alu instid0(VALU_DEP_2) | instskip(SKIP_1) | instid1(VALU_DEP_2)
	v_add_co_u32 v23, vcc_lo, v19, v25
	s_wait_alu 0xfffd
	v_add_co_ci_u32_e64 v24, null, 0, v20, vcc_lo
	s_delay_alu instid0(VALU_DEP_2) | instskip(SKIP_1) | instid1(VALU_DEP_3)
	v_mul_lo_u32 v25, s3, v23
	v_mad_co_u64_u32 v[19:20], null, s2, v23, 0
	v_mul_lo_u32 v26, s2, v24
	s_delay_alu instid0(VALU_DEP_2) | instskip(NEXT) | instid1(VALU_DEP_2)
	v_sub_co_u32 v2, vcc_lo, v2, v19
	v_add3_u32 v20, v20, v26, v25
	s_delay_alu instid0(VALU_DEP_2) | instskip(NEXT) | instid1(VALU_DEP_2)
	v_cmp_le_u32_e64 s1, s2, v2
	v_sub_nc_u32_e32 v25, v27, v20
	s_wait_alu 0xfffd
	v_sub_co_ci_u32_e64 v20, null, v27, v20, vcc_lo
	s_wait_alu 0xf1ff
	v_cndmask_b32_e64 v26, 0, -1, s1
	v_subrev_co_ci_u32_e64 v19, null, s3, v25, vcc_lo
	v_sub_co_u32 v25, s0, v2, s2
	v_cmp_eq_u32_e64 s1, s3, v20
	s_wait_alu 0xf1ff
	s_delay_alu instid0(VALU_DEP_3) | instskip(NEXT) | instid1(VALU_DEP_3)
	v_subrev_co_ci_u32_e64 v19, null, 0, v19, s0
	v_cmp_le_u32_e32 vcc_lo, s2, v25
	v_cmp_le_u32_e64 s2, s3, v20
	s_delay_alu instid0(VALU_DEP_3)
	v_cmp_le_u32_e64 s0, s3, v19
	s_wait_alu 0xfffd
	v_cndmask_b32_e64 v2, 0, -1, vcc_lo
	v_cmp_eq_u32_e32 vcc_lo, s3, v19
	s_wait_alu 0xf1ff
	v_cndmask_b32_e64 v20, 0, -1, s2
	v_cndmask_b32_e64 v19, 0, -1, s0
	v_add_co_u32 v25, s0, v23, 2
	s_delay_alu instid0(VALU_DEP_3) | instskip(SKIP_1) | instid1(VALU_DEP_3)
	v_cndmask_b32_e64 v20, v20, v26, s1
	s_wait_alu 0xfffd
	v_cndmask_b32_e32 v2, v19, v2, vcc_lo
	s_wait_alu 0xf1ff
	v_add_co_ci_u32_e64 v19, null, 0, v24, s0
	v_add_co_u32 v27, vcc_lo, v23, 1
	s_delay_alu instid0(VALU_DEP_3)
	v_cmp_ne_u32_e64 s0, 0, v2
	s_wait_alu 0xfffd
	v_add_co_ci_u32_e64 v2, null, 0, v24, vcc_lo
	v_cmp_ne_u32_e32 vcc_lo, 0, v20
	s_wait_alu 0xf1ff
	v_cndmask_b32_e64 v20, v27, v25, s0
	s_delay_alu instid0(VALU_DEP_3) | instskip(SKIP_2) | instid1(VALU_DEP_2)
	v_cndmask_b32_e64 v2, v2, v19, s0
	v_xor_b32_e32 v25, s44, v40
	s_wait_alu 0xfffd
	v_dual_cndmask_b32 v19, v23, v20 :: v_dual_cndmask_b32 v2, v24, v2
	s_delay_alu instid0(VALU_DEP_1) | instskip(NEXT) | instid1(VALU_DEP_2)
	v_xor_b32_e32 v19, v19, v25
	v_xor_b32_e32 v2, v2, v25
	s_delay_alu instid0(VALU_DEP_2) | instskip(SKIP_1) | instid1(VALU_DEP_2)
	v_sub_co_u32 v19, vcc_lo, v19, v25
	s_wait_alu 0xfffd
	v_sub_co_ci_u32_e64 v20, null, v2, v25, vcc_lo
.LBB3_23:                               ;   in Loop: Header=BB3_5 Depth=1
	s_wait_alu 0xfffe
	s_and_not1_saveexec_b32 s0, s66
	s_cbranch_execz .LBB3_25
; %bb.24:                               ;   in Loop: Header=BB3_5 Depth=1
	s_sub_co_i32 s1, 0, s38
	s_wait_alu 0xfffe
	v_mul_lo_u32 v2, s1, v63
	s_delay_alu instid0(VALU_DEP_1) | instskip(NEXT) | instid1(VALU_DEP_1)
	v_mul_hi_u32 v2, v63, v2
	v_add_nc_u32_e32 v2, v63, v2
	s_delay_alu instid0(VALU_DEP_1) | instskip(NEXT) | instid1(VALU_DEP_1)
	v_mul_hi_u32 v2, v43, v2
	v_mul_lo_u32 v19, v2, s38
	s_delay_alu instid0(VALU_DEP_1) | instskip(NEXT) | instid1(VALU_DEP_1)
	v_sub_nc_u32_e32 v19, v43, v19
	v_cmp_le_u32_e32 vcc_lo, s38, v19
	v_subrev_nc_u32_e32 v23, s38, v19
	s_wait_alu 0xfffd
	s_delay_alu instid0(VALU_DEP_1) | instskip(NEXT) | instid1(VALU_DEP_1)
	v_dual_cndmask_b32 v19, v19, v23 :: v_dual_add_nc_u32 v20, 1, v2
	v_cndmask_b32_e32 v2, v2, v20, vcc_lo
	s_delay_alu instid0(VALU_DEP_2) | instskip(NEXT) | instid1(VALU_DEP_2)
	v_cmp_le_u32_e32 vcc_lo, s38, v19
	v_add_nc_u32_e32 v20, 1, v2
	s_wait_alu 0xfffd
	s_delay_alu instid0(VALU_DEP_1)
	v_dual_cndmask_b32 v19, v2, v20 :: v_dual_mov_b32 v20, v1
.LBB3_25:                               ;   in Loop: Header=BB3_5 Depth=1
	s_wait_alu 0xfffe
	s_or_b32 exec_lo, exec_lo, s0
	s_delay_alu instid0(VALU_DEP_1) | instskip(NEXT) | instid1(VALU_DEP_2)
	v_mul_lo_u32 v2, v20, s38
	v_mul_lo_u32 v25, v19, s39
	v_mad_co_u64_u32 v[23:24], null, v19, s38, 0
	s_mov_b32 s0, exec_lo
	v_add3_u32 v2, v24, v25, v2
	v_sub_co_u32 v23, vcc_lo, v11, v23
	v_mul_lo_u32 v24, v20, s8
	v_mul_lo_u32 v25, v19, s9
	s_wait_alu 0xfffd
	v_sub_co_ci_u32_e64 v2, null, v12, v2, vcc_lo
	v_mad_co_u64_u32 v[19:20], null, v19, s8, 0
	v_add_co_u32 v23, vcc_lo, v3, v23
	s_wait_alu 0xfffd
	s_delay_alu instid0(VALU_DEP_3) | instskip(NEXT) | instid1(VALU_DEP_3)
	v_add_co_ci_u32_e64 v2, null, v4, v2, vcc_lo
	v_add3_u32 v20, v20, v25, v24
	s_delay_alu instid0(VALU_DEP_3) | instskip(SKIP_1) | instid1(VALU_DEP_4)
	v_mul_lo_u32 v25, v23, s11
	v_mad_co_u64_u32 v[23:24], null, v23, s10, 0
	v_mul_lo_u32 v2, v2, s10
	s_delay_alu instid0(VALU_DEP_4) | instskip(NEXT) | instid1(VALU_DEP_2)
	v_lshlrev_b64_e32 v[19:20], 3, v[19:20]
	v_add3_u32 v24, v24, v25, v2
	s_delay_alu instid0(VALU_DEP_2) | instskip(SKIP_1) | instid1(VALU_DEP_3)
	v_add_co_u32 v2, vcc_lo, s36, v19
	s_wait_alu 0xfffd
	v_add_co_ci_u32_e64 v20, null, s37, v20, vcc_lo
	s_delay_alu instid0(VALU_DEP_3) | instskip(NEXT) | instid1(VALU_DEP_1)
	v_lshlrev_b64_e32 v[23:24], 3, v[23:24]
	v_add_co_u32 v19, vcc_lo, v2, v23
	s_wait_alu 0xfffd
	s_delay_alu instid0(VALU_DEP_2)
	v_add_co_ci_u32_e64 v20, null, v20, v24, vcc_lo
	v_or_b32_e32 v2, s43, v34
                                        ; implicit-def: $vgpr23_vgpr24
	global_load_b64 v[19:20], v[19:20], off
	v_cmpx_ne_u64_e32 0, v[1:2]
	s_wait_alu 0xfffe
	s_xor_b32 s66, exec_lo, s0
	s_cbranch_execz .LBB3_27
; %bb.26:                               ;   in Loop: Header=BB3_5 Depth=1
	s_ashr_i32 s44, s43, 31
	s_wait_alu 0xfffe
	s_mov_b32 s45, s44
	s_wait_alu 0xfffe
	s_add_nc_u64 s[0:1], s[42:43], s[44:45]
	s_wait_alu 0xfffe
	s_xor_b64 s[2:3], s[0:1], s[44:45]
	s_wait_alu 0xfffe
	s_cvt_f32_u32 s0, s2
	s_cvt_f32_u32 s1, s3
	s_sub_nc_u64 s[54:55], 0, s[2:3]
	s_wait_alu 0xfffe
	s_delay_alu instid0(SALU_CYCLE_1) | instskip(SKIP_1) | instid1(SALU_CYCLE_2)
	s_fmamk_f32 s0, s1, 0x4f800000, s0
	s_wait_alu 0xfffe
	v_s_rcp_f32 s0, s0
	s_delay_alu instid0(TRANS32_DEP_1) | instskip(SKIP_1) | instid1(SALU_CYCLE_2)
	s_mul_f32 s0, s0, 0x5f7ffffc
	s_wait_alu 0xfffe
	s_mul_f32 s1, s0, 0x2f800000
	s_wait_alu 0xfffe
	s_delay_alu instid0(SALU_CYCLE_2) | instskip(SKIP_1) | instid1(SALU_CYCLE_2)
	s_trunc_f32 s1, s1
	s_wait_alu 0xfffe
	s_fmamk_f32 s0, s1, 0xcf800000, s0
	s_cvt_u32_f32 s1, s1
	s_wait_alu 0xfffe
	s_delay_alu instid0(SALU_CYCLE_1) | instskip(SKIP_1) | instid1(SALU_CYCLE_2)
	s_cvt_u32_f32 s0, s0
	s_wait_alu 0xfffe
	s_mul_u64 s[58:59], s[54:55], s[0:1]
	s_delay_alu instid0(SALU_CYCLE_1)
	s_mul_hi_u32 s71, s0, s59
	s_mul_i32 s70, s0, s59
	s_mul_hi_u32 s96, s0, s58
	s_mul_i32 s69, s1, s58
	s_add_nc_u64 s[70:71], s[96:97], s[70:71]
	s_mul_hi_u32 s45, s1, s58
	s_mul_hi_u32 vcc_lo, s1, s59
	s_mul_i32 s58, s1, s59
	s_wait_alu 0xfffe
	s_add_co_u32 s59, s70, s69
	s_add_co_ci_u32 s96, s71, s45
	s_add_co_ci_u32 s59, vcc_lo, 0
	v_add_co_u32 v2, vcc_lo, v30, v29
	s_add_nc_u64 s[58:59], s[96:97], s[58:59]
	s_wait_alu 0xfffd
	v_add_co_ci_u32_e64 v23, null, v34, v29, vcc_lo
	s_add_co_u32 s0, s0, s58
	s_cselect_b32 s45, -1, 0
	v_xor_b32_e32 v2, v2, v29
	s_wait_alu 0xfffe
	s_cmp_lg_u32 s45, 0
	v_xor_b32_e32 v31, v23, v29
	s_add_co_ci_u32 s1, s1, s59
	s_wait_alu 0xfffe
	s_mul_u64 s[54:55], s[54:55], s[0:1]
	s_wait_alu 0xfffe
	s_mul_hi_u32 s59, s0, s55
	s_mul_i32 s58, s0, s55
	s_mul_hi_u32 s96, s0, s54
	s_mul_i32 s69, s1, s54
	s_add_nc_u64 s[58:59], s[96:97], s[58:59]
	s_mul_hi_u32 s45, s1, s54
	s_mul_hi_u32 s70, s1, s55
	s_mul_i32 s54, s1, s55
	s_wait_alu 0xfffe
	s_add_co_u32 s55, s58, s69
	s_add_co_ci_u32 s96, s59, s45
	s_add_co_ci_u32 s55, s70, 0
	s_wait_alu 0xfffe
	s_add_nc_u64 s[54:55], s[96:97], s[54:55]
	s_wait_alu 0xfffe
	s_add_co_u32 s0, s0, s54
	s_cselect_b32 s45, -1, 0
	s_wait_alu 0xfffe
	v_mul_hi_u32 v32, v2, s0
	s_cmp_lg_u32 s45, 0
	v_mad_co_u64_u32 v[25:26], null, v31, s0, 0
	s_add_co_ci_u32 s1, s1, s55
	s_wait_alu 0xfffe
	v_mad_co_u64_u32 v[23:24], null, v2, s1, 0
	v_mad_co_u64_u32 v[27:28], null, v31, s1, 0
	s_delay_alu instid0(VALU_DEP_2) | instskip(SKIP_1) | instid1(VALU_DEP_3)
	v_add_co_u32 v23, vcc_lo, v32, v23
	s_wait_alu 0xfffd
	v_add_co_ci_u32_e64 v24, null, 0, v24, vcc_lo
	s_delay_alu instid0(VALU_DEP_2) | instskip(SKIP_1) | instid1(VALU_DEP_2)
	v_add_co_u32 v23, vcc_lo, v23, v25
	s_wait_alu 0xfffd
	v_add_co_ci_u32_e32 v23, vcc_lo, v24, v26, vcc_lo
	s_wait_alu 0xfffd
	v_add_co_ci_u32_e32 v24, vcc_lo, 0, v28, vcc_lo
	s_delay_alu instid0(VALU_DEP_2) | instskip(SKIP_1) | instid1(VALU_DEP_2)
	v_add_co_u32 v25, vcc_lo, v23, v27
	s_wait_alu 0xfffd
	v_add_co_ci_u32_e64 v26, null, 0, v24, vcc_lo
	s_delay_alu instid0(VALU_DEP_2) | instskip(SKIP_1) | instid1(VALU_DEP_3)
	v_mul_lo_u32 v27, s3, v25
	v_mad_co_u64_u32 v[23:24], null, s2, v25, 0
	v_mul_lo_u32 v28, s2, v26
	s_delay_alu instid0(VALU_DEP_2) | instskip(NEXT) | instid1(VALU_DEP_2)
	v_sub_co_u32 v2, vcc_lo, v2, v23
	v_add3_u32 v24, v24, v28, v27
	s_delay_alu instid0(VALU_DEP_2) | instskip(NEXT) | instid1(VALU_DEP_2)
	v_cmp_le_u32_e64 s1, s2, v2
	v_sub_nc_u32_e32 v27, v31, v24
	s_wait_alu 0xfffd
	v_sub_co_ci_u32_e64 v24, null, v31, v24, vcc_lo
	s_wait_alu 0xf1ff
	v_cndmask_b32_e64 v28, 0, -1, s1
	v_subrev_co_ci_u32_e64 v23, null, s3, v27, vcc_lo
	v_sub_co_u32 v27, s0, v2, s2
	v_cmp_eq_u32_e64 s1, s3, v24
	s_wait_alu 0xf1ff
	s_delay_alu instid0(VALU_DEP_3) | instskip(NEXT) | instid1(VALU_DEP_3)
	v_subrev_co_ci_u32_e64 v23, null, 0, v23, s0
	v_cmp_le_u32_e32 vcc_lo, s2, v27
	v_cmp_le_u32_e64 s2, s3, v24
	s_delay_alu instid0(VALU_DEP_3)
	v_cmp_le_u32_e64 s0, s3, v23
	s_wait_alu 0xfffd
	v_cndmask_b32_e64 v2, 0, -1, vcc_lo
	v_cmp_eq_u32_e32 vcc_lo, s3, v23
	s_wait_alu 0xf1ff
	v_cndmask_b32_e64 v24, 0, -1, s2
	v_cndmask_b32_e64 v23, 0, -1, s0
	v_add_co_u32 v27, s0, v25, 2
	s_delay_alu instid0(VALU_DEP_3) | instskip(SKIP_1) | instid1(VALU_DEP_3)
	v_cndmask_b32_e64 v24, v24, v28, s1
	s_wait_alu 0xfffd
	v_cndmask_b32_e32 v2, v23, v2, vcc_lo
	s_wait_alu 0xf1ff
	v_add_co_ci_u32_e64 v23, null, 0, v26, s0
	v_add_co_u32 v31, vcc_lo, v25, 1
	s_delay_alu instid0(VALU_DEP_3)
	v_cmp_ne_u32_e64 s0, 0, v2
	s_wait_alu 0xfffd
	v_add_co_ci_u32_e64 v2, null, 0, v26, vcc_lo
	v_cmp_ne_u32_e32 vcc_lo, 0, v24
	s_wait_alu 0xf1ff
	v_cndmask_b32_e64 v24, v31, v27, s0
	s_delay_alu instid0(VALU_DEP_3) | instskip(SKIP_2) | instid1(VALU_DEP_2)
	v_cndmask_b32_e64 v2, v2, v23, s0
	v_xor_b32_e32 v27, s44, v29
	s_wait_alu 0xfffd
	v_dual_cndmask_b32 v23, v25, v24 :: v_dual_cndmask_b32 v2, v26, v2
	s_delay_alu instid0(VALU_DEP_1) | instskip(NEXT) | instid1(VALU_DEP_2)
	v_xor_b32_e32 v23, v23, v27
	v_xor_b32_e32 v2, v2, v27
	s_delay_alu instid0(VALU_DEP_2) | instskip(SKIP_1) | instid1(VALU_DEP_2)
	v_sub_co_u32 v23, vcc_lo, v23, v27
	s_wait_alu 0xfffd
	v_sub_co_ci_u32_e64 v24, null, v2, v27, vcc_lo
.LBB3_27:                               ;   in Loop: Header=BB3_5 Depth=1
	s_wait_alu 0xfffe
	s_or_saveexec_b32 s0, s66
	v_cvt_f32_u32_e32 v31, s42
	s_wait_alu 0xfffe
	s_xor_b32 exec_lo, exec_lo, s0
	s_cbranch_execz .LBB3_29
; %bb.28:                               ;   in Loop: Header=BB3_5 Depth=1
	s_delay_alu instid0(VALU_DEP_1) | instskip(SKIP_1) | instid1(TRANS32_DEP_1)
	v_rcp_iflag_f32_e32 v2, v31
	s_sub_co_i32 s1, 0, s42
	v_mul_f32_e32 v2, 0x4f7ffffe, v2
	s_delay_alu instid0(VALU_DEP_1) | instskip(SKIP_1) | instid1(VALU_DEP_1)
	v_cvt_u32_f32_e32 v2, v2
	s_wait_alu 0xfffe
	v_mul_lo_u32 v23, s1, v2
	s_delay_alu instid0(VALU_DEP_1) | instskip(NEXT) | instid1(VALU_DEP_1)
	v_mul_hi_u32 v23, v2, v23
	v_add_nc_u32_e32 v2, v2, v23
	s_delay_alu instid0(VALU_DEP_1) | instskip(NEXT) | instid1(VALU_DEP_1)
	v_mul_hi_u32 v2, v30, v2
	v_mul_lo_u32 v23, v2, s42
	v_add_nc_u32_e32 v24, 1, v2
	s_delay_alu instid0(VALU_DEP_2) | instskip(NEXT) | instid1(VALU_DEP_1)
	v_sub_nc_u32_e32 v23, v30, v23
	v_cmp_le_u32_e32 vcc_lo, s42, v23
	v_subrev_nc_u32_e32 v25, s42, v23
	s_wait_alu 0xfffd
	s_delay_alu instid0(VALU_DEP_1) | instskip(NEXT) | instid1(VALU_DEP_1)
	v_dual_cndmask_b32 v2, v2, v24 :: v_dual_cndmask_b32 v23, v23, v25
	v_add_nc_u32_e32 v24, 1, v2
	s_delay_alu instid0(VALU_DEP_2) | instskip(SKIP_1) | instid1(VALU_DEP_2)
	v_cmp_le_u32_e32 vcc_lo, s42, v23
	s_wait_alu 0xfffd
	v_dual_cndmask_b32 v23, v2, v24 :: v_dual_mov_b32 v24, v1
.LBB3_29:                               ;   in Loop: Header=BB3_5 Depth=1
	s_or_b32 exec_lo, exec_lo, s0
	s_delay_alu instid0(VALU_DEP_1) | instskip(NEXT) | instid1(VALU_DEP_2)
	v_mul_lo_u32 v2, v24, s42
	v_mul_lo_u32 v27, v23, s43
	v_mad_co_u64_u32 v[25:26], null, v23, s42, 0
	s_mov_b32 s0, exec_lo
	v_add3_u32 v2, v26, v27, v2
	v_sub_co_u32 v25, vcc_lo, v5, v25
	v_mul_lo_u32 v26, v24, s12
	v_mul_lo_u32 v27, v23, s13
	s_wait_alu 0xfffd
	v_sub_co_ci_u32_e64 v2, null, v6, v2, vcc_lo
	v_mad_co_u64_u32 v[23:24], null, v23, s12, 0
	v_add_co_u32 v25, vcc_lo, v3, v25
	s_wait_alu 0xfffd
	s_delay_alu instid0(VALU_DEP_3) | instskip(NEXT) | instid1(VALU_DEP_3)
	v_add_co_ci_u32_e64 v2, null, v4, v2, vcc_lo
	v_add3_u32 v24, v24, v27, v26
	s_delay_alu instid0(VALU_DEP_3) | instskip(SKIP_1) | instid1(VALU_DEP_4)
	v_mul_lo_u32 v27, v25, s15
	v_mad_co_u64_u32 v[25:26], null, v25, s14, 0
	v_mul_lo_u32 v2, v2, s14
	s_delay_alu instid0(VALU_DEP_4) | instskip(NEXT) | instid1(VALU_DEP_2)
	v_lshlrev_b64_e32 v[23:24], 3, v[23:24]
	v_add3_u32 v26, v26, v27, v2
	s_delay_alu instid0(VALU_DEP_2) | instskip(SKIP_1) | instid1(VALU_DEP_3)
	v_add_co_u32 v2, vcc_lo, s40, v23
	s_wait_alu 0xfffd
	v_add_co_ci_u32_e64 v24, null, s41, v24, vcc_lo
	s_delay_alu instid0(VALU_DEP_3) | instskip(NEXT) | instid1(VALU_DEP_1)
	v_lshlrev_b64_e32 v[25:26], 3, v[25:26]
	v_add_co_u32 v23, vcc_lo, v2, v25
	s_wait_alu 0xfffd
	s_delay_alu instid0(VALU_DEP_2)
	v_add_co_ci_u32_e64 v24, null, v24, v26, vcc_lo
	v_or_b32_e32 v2, s43, v39
                                        ; implicit-def: $vgpr25_vgpr26
	global_load_b64 v[23:24], v[23:24], off
	v_cmpx_ne_u64_e32 0, v[1:2]
	s_wait_alu 0xfffe
	s_xor_b32 s66, exec_lo, s0
	s_cbranch_execz .LBB3_31
; %bb.30:                               ;   in Loop: Header=BB3_5 Depth=1
	s_ashr_i32 s44, s43, 31
	s_wait_alu 0xfffe
	s_mov_b32 s45, s44
	s_wait_alu 0xfffe
	s_add_nc_u64 s[0:1], s[42:43], s[44:45]
	s_wait_alu 0xfffe
	s_xor_b64 s[2:3], s[0:1], s[44:45]
	s_wait_alu 0xfffe
	s_cvt_f32_u32 s0, s2
	s_cvt_f32_u32 s1, s3
	s_sub_nc_u64 s[54:55], 0, s[2:3]
	s_wait_alu 0xfffe
	s_delay_alu instid0(SALU_CYCLE_1) | instskip(SKIP_1) | instid1(SALU_CYCLE_2)
	s_fmamk_f32 s0, s1, 0x4f800000, s0
	s_wait_alu 0xfffe
	v_s_rcp_f32 s0, s0
	s_delay_alu instid0(TRANS32_DEP_1) | instskip(SKIP_1) | instid1(SALU_CYCLE_2)
	s_mul_f32 s0, s0, 0x5f7ffffc
	s_wait_alu 0xfffe
	s_mul_f32 s1, s0, 0x2f800000
	s_wait_alu 0xfffe
	s_delay_alu instid0(SALU_CYCLE_2) | instskip(SKIP_1) | instid1(SALU_CYCLE_2)
	s_trunc_f32 s1, s1
	s_wait_alu 0xfffe
	s_fmamk_f32 s0, s1, 0xcf800000, s0
	s_cvt_u32_f32 s1, s1
	s_wait_alu 0xfffe
	s_delay_alu instid0(SALU_CYCLE_1) | instskip(SKIP_1) | instid1(SALU_CYCLE_2)
	s_cvt_u32_f32 s0, s0
	s_wait_alu 0xfffe
	s_mul_u64 s[58:59], s[54:55], s[0:1]
	s_delay_alu instid0(SALU_CYCLE_1)
	s_mul_hi_u32 s71, s0, s59
	s_mul_i32 s70, s0, s59
	s_mul_hi_u32 s96, s0, s58
	s_mul_i32 s69, s1, s58
	s_add_nc_u64 s[70:71], s[96:97], s[70:71]
	s_mul_hi_u32 s45, s1, s58
	s_mul_hi_u32 vcc_lo, s1, s59
	s_mul_i32 s58, s1, s59
	s_wait_alu 0xfffe
	s_add_co_u32 s59, s70, s69
	s_add_co_ci_u32 s96, s71, s45
	s_add_co_ci_u32 s59, vcc_lo, 0
	v_add_co_u32 v2, vcc_lo, v38, v33
	s_add_nc_u64 s[58:59], s[96:97], s[58:59]
	s_wait_alu 0xfffd
	v_add_co_ci_u32_e64 v25, null, v39, v33, vcc_lo
	s_add_co_u32 s0, s0, s58
	s_cselect_b32 s45, -1, 0
	v_xor_b32_e32 v2, v2, v33
	s_wait_alu 0xfffe
	s_cmp_lg_u32 s45, 0
	v_xor_b32_e32 v32, v25, v33
	s_add_co_ci_u32 s1, s1, s59
	s_wait_alu 0xfffe
	s_mul_u64 s[54:55], s[54:55], s[0:1]
	s_wait_alu 0xfffe
	s_mul_hi_u32 s59, s0, s55
	s_mul_i32 s58, s0, s55
	s_mul_hi_u32 s96, s0, s54
	s_mul_i32 s69, s1, s54
	s_add_nc_u64 s[58:59], s[96:97], s[58:59]
	s_mul_hi_u32 s45, s1, s54
	s_mul_hi_u32 s70, s1, s55
	s_mul_i32 s54, s1, s55
	s_wait_alu 0xfffe
	s_add_co_u32 s55, s58, s69
	s_add_co_ci_u32 s96, s59, s45
	s_add_co_ci_u32 s55, s70, 0
	s_wait_alu 0xfffe
	s_add_nc_u64 s[54:55], s[96:97], s[54:55]
	s_wait_alu 0xfffe
	s_add_co_u32 s0, s0, s54
	s_cselect_b32 s45, -1, 0
	s_wait_alu 0xfffe
	v_mul_hi_u32 v46, v2, s0
	s_cmp_lg_u32 s45, 0
	v_mad_co_u64_u32 v[27:28], null, v32, s0, 0
	s_add_co_ci_u32 s1, s1, s55
	s_wait_alu 0xfffe
	v_mad_co_u64_u32 v[25:26], null, v2, s1, 0
	v_mad_co_u64_u32 v[35:36], null, v32, s1, 0
	s_delay_alu instid0(VALU_DEP_2) | instskip(SKIP_1) | instid1(VALU_DEP_3)
	v_add_co_u32 v25, vcc_lo, v46, v25
	s_wait_alu 0xfffd
	v_add_co_ci_u32_e64 v26, null, 0, v26, vcc_lo
	s_delay_alu instid0(VALU_DEP_2) | instskip(SKIP_1) | instid1(VALU_DEP_2)
	v_add_co_u32 v25, vcc_lo, v25, v27
	s_wait_alu 0xfffd
	v_add_co_ci_u32_e32 v25, vcc_lo, v26, v28, vcc_lo
	s_wait_alu 0xfffd
	v_add_co_ci_u32_e32 v26, vcc_lo, 0, v36, vcc_lo
	s_delay_alu instid0(VALU_DEP_2) | instskip(SKIP_1) | instid1(VALU_DEP_2)
	v_add_co_u32 v27, vcc_lo, v25, v35
	s_wait_alu 0xfffd
	v_add_co_ci_u32_e64 v28, null, 0, v26, vcc_lo
	s_delay_alu instid0(VALU_DEP_2) | instskip(SKIP_1) | instid1(VALU_DEP_3)
	v_mul_lo_u32 v35, s3, v27
	v_mad_co_u64_u32 v[25:26], null, s2, v27, 0
	v_mul_lo_u32 v36, s2, v28
	s_delay_alu instid0(VALU_DEP_2) | instskip(NEXT) | instid1(VALU_DEP_2)
	v_sub_co_u32 v2, vcc_lo, v2, v25
	v_add3_u32 v26, v26, v36, v35
	s_delay_alu instid0(VALU_DEP_2) | instskip(NEXT) | instid1(VALU_DEP_2)
	v_cmp_le_u32_e64 s1, s2, v2
	v_sub_nc_u32_e32 v35, v32, v26
	s_wait_alu 0xfffd
	v_sub_co_ci_u32_e64 v26, null, v32, v26, vcc_lo
	s_delay_alu instid0(VALU_DEP_2) | instskip(SKIP_2) | instid1(VALU_DEP_2)
	v_subrev_co_ci_u32_e64 v25, null, s3, v35, vcc_lo
	v_sub_co_u32 v35, s0, v2, s2
	s_wait_alu 0xf1ff
	v_subrev_co_ci_u32_e64 v25, null, 0, v25, s0
	s_delay_alu instid0(VALU_DEP_2) | instskip(SKIP_2) | instid1(VALU_DEP_4)
	v_cmp_le_u32_e32 vcc_lo, s2, v35
	v_cmp_le_u32_e64 s2, s3, v26
	v_cndmask_b32_e64 v35, 0, -1, s1
	v_cmp_le_u32_e64 s0, s3, v25
	v_cmp_eq_u32_e64 s1, s3, v26
	s_wait_alu 0xfffd
	v_cndmask_b32_e64 v2, 0, -1, vcc_lo
	v_cmp_eq_u32_e32 vcc_lo, s3, v25
	s_wait_alu 0xf1ff
	v_cndmask_b32_e64 v26, 0, -1, s2
	v_cndmask_b32_e64 v25, 0, -1, s0
	v_add_co_u32 v32, s0, v27, 2
	s_delay_alu instid0(VALU_DEP_3) | instskip(SKIP_1) | instid1(VALU_DEP_3)
	v_cndmask_b32_e64 v26, v26, v35, s1
	s_wait_alu 0xfffd
	v_cndmask_b32_e32 v2, v25, v2, vcc_lo
	s_wait_alu 0xf1ff
	v_add_co_ci_u32_e64 v25, null, 0, v28, s0
	v_add_co_u32 v36, vcc_lo, v27, 1
	s_delay_alu instid0(VALU_DEP_3)
	v_cmp_ne_u32_e64 s0, 0, v2
	s_wait_alu 0xfffd
	v_add_co_ci_u32_e64 v2, null, 0, v28, vcc_lo
	v_cmp_ne_u32_e32 vcc_lo, 0, v26
	s_wait_alu 0xf1ff
	v_cndmask_b32_e64 v26, v36, v32, s0
	s_delay_alu instid0(VALU_DEP_3) | instskip(SKIP_2) | instid1(VALU_DEP_3)
	v_cndmask_b32_e64 v2, v2, v25, s0
	v_xor_b32_e32 v32, s44, v33
	s_wait_alu 0xfffd
	v_cndmask_b32_e32 v25, v27, v26, vcc_lo
	s_delay_alu instid0(VALU_DEP_3) | instskip(NEXT) | instid1(VALU_DEP_2)
	v_cndmask_b32_e32 v2, v28, v2, vcc_lo
	v_xor_b32_e32 v25, v25, v32
	s_delay_alu instid0(VALU_DEP_2) | instskip(NEXT) | instid1(VALU_DEP_2)
	v_xor_b32_e32 v2, v2, v32
	v_sub_co_u32 v25, vcc_lo, v25, v32
	s_wait_alu 0xfffd
	s_delay_alu instid0(VALU_DEP_2)
	v_sub_co_ci_u32_e64 v26, null, v2, v32, vcc_lo
.LBB3_31:                               ;   in Loop: Header=BB3_5 Depth=1
	s_wait_alu 0xfffe
	s_and_not1_saveexec_b32 s0, s66
	s_cbranch_execz .LBB3_33
; %bb.32:                               ;   in Loop: Header=BB3_5 Depth=1
	v_rcp_iflag_f32_e32 v2, v31
	s_sub_co_i32 s1, 0, s42
	s_delay_alu instid0(TRANS32_DEP_1) | instskip(NEXT) | instid1(VALU_DEP_1)
	v_mul_f32_e32 v2, 0x4f7ffffe, v2
	v_cvt_u32_f32_e32 v2, v2
	s_wait_alu 0xfffe
	s_delay_alu instid0(VALU_DEP_1) | instskip(NEXT) | instid1(VALU_DEP_1)
	v_mul_lo_u32 v25, s1, v2
	v_mul_hi_u32 v25, v2, v25
	s_delay_alu instid0(VALU_DEP_1) | instskip(NEXT) | instid1(VALU_DEP_1)
	v_add_nc_u32_e32 v2, v2, v25
	v_mul_hi_u32 v2, v38, v2
	s_delay_alu instid0(VALU_DEP_1) | instskip(SKIP_1) | instid1(VALU_DEP_2)
	v_mul_lo_u32 v25, v2, s42
	v_add_nc_u32_e32 v26, 1, v2
	v_sub_nc_u32_e32 v25, v38, v25
	s_delay_alu instid0(VALU_DEP_1) | instskip(SKIP_2) | instid1(VALU_DEP_1)
	v_cmp_le_u32_e32 vcc_lo, s42, v25
	v_subrev_nc_u32_e32 v27, s42, v25
	s_wait_alu 0xfffd
	v_dual_cndmask_b32 v2, v2, v26 :: v_dual_cndmask_b32 v25, v25, v27
	s_delay_alu instid0(VALU_DEP_1) | instskip(NEXT) | instid1(VALU_DEP_2)
	v_add_nc_u32_e32 v26, 1, v2
	v_cmp_le_u32_e32 vcc_lo, s42, v25
	s_wait_alu 0xfffd
	s_delay_alu instid0(VALU_DEP_2)
	v_dual_cndmask_b32 v25, v2, v26 :: v_dual_mov_b32 v26, v1
.LBB3_33:                               ;   in Loop: Header=BB3_5 Depth=1
	s_wait_alu 0xfffe
	s_or_b32 exec_lo, exec_lo, s0
	s_delay_alu instid0(VALU_DEP_1) | instskip(NEXT) | instid1(VALU_DEP_2)
	v_mul_lo_u32 v2, v26, s42
	v_mul_lo_u32 v32, v25, s43
	v_mad_co_u64_u32 v[27:28], null, v25, s42, 0
	s_mov_b32 s0, exec_lo
	v_add3_u32 v2, v28, v32, v2
	v_sub_co_u32 v27, vcc_lo, v7, v27
	v_mul_lo_u32 v28, v26, s12
	v_mul_lo_u32 v32, v25, s13
	s_wait_alu 0xfffd
	v_sub_co_ci_u32_e64 v2, null, v8, v2, vcc_lo
	v_mad_co_u64_u32 v[25:26], null, v25, s12, 0
	v_add_co_u32 v27, vcc_lo, v3, v27
	s_wait_alu 0xfffd
	s_delay_alu instid0(VALU_DEP_3) | instskip(NEXT) | instid1(VALU_DEP_3)
	v_add_co_ci_u32_e64 v2, null, v4, v2, vcc_lo
	v_add3_u32 v26, v26, v32, v28
	s_delay_alu instid0(VALU_DEP_3) | instskip(SKIP_1) | instid1(VALU_DEP_4)
	v_mul_lo_u32 v32, v27, s15
	v_mad_co_u64_u32 v[27:28], null, v27, s14, 0
	v_mul_lo_u32 v2, v2, s14
	s_delay_alu instid0(VALU_DEP_4) | instskip(NEXT) | instid1(VALU_DEP_2)
	v_lshlrev_b64_e32 v[25:26], 3, v[25:26]
	v_add3_u32 v28, v28, v32, v2
	s_delay_alu instid0(VALU_DEP_2) | instskip(SKIP_1) | instid1(VALU_DEP_3)
	v_add_co_u32 v2, vcc_lo, s40, v25
	s_wait_alu 0xfffd
	v_add_co_ci_u32_e64 v26, null, s41, v26, vcc_lo
	s_delay_alu instid0(VALU_DEP_3) | instskip(NEXT) | instid1(VALU_DEP_1)
	v_lshlrev_b64_e32 v[27:28], 3, v[27:28]
	v_add_co_u32 v25, vcc_lo, v2, v27
	s_wait_alu 0xfffd
	s_delay_alu instid0(VALU_DEP_2)
	v_add_co_ci_u32_e64 v26, null, v26, v28, vcc_lo
	v_or_b32_e32 v2, s43, v42
	global_load_b64 v[27:28], v[25:26], off
                                        ; implicit-def: $vgpr25_vgpr26
	v_cmpx_ne_u64_e32 0, v[1:2]
	s_wait_alu 0xfffe
	s_xor_b32 s66, exec_lo, s0
	s_cbranch_execz .LBB3_35
; %bb.34:                               ;   in Loop: Header=BB3_5 Depth=1
	s_ashr_i32 s44, s43, 31
	s_wait_alu 0xfffe
	s_mov_b32 s45, s44
	s_wait_alu 0xfffe
	s_add_nc_u64 s[0:1], s[42:43], s[44:45]
	s_wait_alu 0xfffe
	s_xor_b64 s[2:3], s[0:1], s[44:45]
	s_wait_alu 0xfffe
	s_cvt_f32_u32 s0, s2
	s_cvt_f32_u32 s1, s3
	s_sub_nc_u64 s[54:55], 0, s[2:3]
	s_wait_alu 0xfffe
	s_delay_alu instid0(SALU_CYCLE_1) | instskip(SKIP_1) | instid1(SALU_CYCLE_2)
	s_fmamk_f32 s0, s1, 0x4f800000, s0
	s_wait_alu 0xfffe
	v_s_rcp_f32 s0, s0
	s_delay_alu instid0(TRANS32_DEP_1) | instskip(SKIP_1) | instid1(SALU_CYCLE_2)
	s_mul_f32 s0, s0, 0x5f7ffffc
	s_wait_alu 0xfffe
	s_mul_f32 s1, s0, 0x2f800000
	s_wait_alu 0xfffe
	s_delay_alu instid0(SALU_CYCLE_2) | instskip(SKIP_1) | instid1(SALU_CYCLE_2)
	s_trunc_f32 s1, s1
	s_wait_alu 0xfffe
	s_fmamk_f32 s0, s1, 0xcf800000, s0
	s_cvt_u32_f32 s1, s1
	s_wait_alu 0xfffe
	s_delay_alu instid0(SALU_CYCLE_1) | instskip(SKIP_1) | instid1(SALU_CYCLE_2)
	s_cvt_u32_f32 s0, s0
	s_wait_alu 0xfffe
	s_mul_u64 s[58:59], s[54:55], s[0:1]
	s_delay_alu instid0(SALU_CYCLE_1)
	s_mul_hi_u32 s71, s0, s59
	s_mul_i32 s70, s0, s59
	s_mul_hi_u32 s96, s0, s58
	s_mul_i32 s69, s1, s58
	s_add_nc_u64 s[70:71], s[96:97], s[70:71]
	s_mul_hi_u32 s45, s1, s58
	s_mul_hi_u32 vcc_lo, s1, s59
	s_mul_i32 s58, s1, s59
	s_wait_alu 0xfffe
	s_add_co_u32 s59, s70, s69
	s_add_co_ci_u32 s96, s71, s45
	s_add_co_ci_u32 s59, vcc_lo, 0
	v_add_co_u32 v2, vcc_lo, v41, v37
	s_add_nc_u64 s[58:59], s[96:97], s[58:59]
	s_wait_alu 0xfffd
	v_add_co_ci_u32_e64 v25, null, v42, v37, vcc_lo
	s_add_co_u32 s0, s0, s58
	s_cselect_b32 s45, -1, 0
	v_xor_b32_e32 v2, v2, v37
	s_wait_alu 0xfffe
	s_cmp_lg_u32 s45, 0
	v_xor_b32_e32 v32, v25, v37
	s_add_co_ci_u32 s1, s1, s59
	s_wait_alu 0xfffe
	s_mul_u64 s[54:55], s[54:55], s[0:1]
	s_wait_alu 0xfffe
	s_mul_hi_u32 s59, s0, s55
	s_mul_i32 s58, s0, s55
	s_mul_hi_u32 s96, s0, s54
	s_mul_i32 s69, s1, s54
	s_add_nc_u64 s[58:59], s[96:97], s[58:59]
	s_mul_hi_u32 s45, s1, s54
	s_mul_hi_u32 s70, s1, s55
	s_mul_i32 s54, s1, s55
	s_wait_alu 0xfffe
	s_add_co_u32 s55, s58, s69
	s_add_co_ci_u32 s96, s59, s45
	s_add_co_ci_u32 s55, s70, 0
	s_wait_alu 0xfffe
	s_add_nc_u64 s[54:55], s[96:97], s[54:55]
	s_wait_alu 0xfffe
	s_add_co_u32 s0, s0, s54
	s_cselect_b32 s45, -1, 0
	s_wait_alu 0xfffe
	v_mul_hi_u32 v48, v2, s0
	s_cmp_lg_u32 s45, 0
	v_mad_co_u64_u32 v[35:36], null, v32, s0, 0
	s_add_co_ci_u32 s1, s1, s55
	s_wait_alu 0xfffe
	v_mad_co_u64_u32 v[25:26], null, v2, s1, 0
	v_mad_co_u64_u32 v[46:47], null, v32, s1, 0
	s_delay_alu instid0(VALU_DEP_2) | instskip(SKIP_1) | instid1(VALU_DEP_3)
	v_add_co_u32 v25, vcc_lo, v48, v25
	s_wait_alu 0xfffd
	v_add_co_ci_u32_e64 v26, null, 0, v26, vcc_lo
	s_delay_alu instid0(VALU_DEP_2) | instskip(SKIP_1) | instid1(VALU_DEP_2)
	v_add_co_u32 v25, vcc_lo, v25, v35
	s_wait_alu 0xfffd
	v_add_co_ci_u32_e32 v25, vcc_lo, v26, v36, vcc_lo
	s_wait_alu 0xfffd
	v_add_co_ci_u32_e32 v26, vcc_lo, 0, v47, vcc_lo
	s_delay_alu instid0(VALU_DEP_2) | instskip(SKIP_1) | instid1(VALU_DEP_2)
	v_add_co_u32 v35, vcc_lo, v25, v46
	s_wait_alu 0xfffd
	v_add_co_ci_u32_e64 v36, null, 0, v26, vcc_lo
	s_delay_alu instid0(VALU_DEP_2) | instskip(SKIP_1) | instid1(VALU_DEP_3)
	v_mul_lo_u32 v46, s3, v35
	v_mad_co_u64_u32 v[25:26], null, s2, v35, 0
	v_mul_lo_u32 v47, s2, v36
	s_delay_alu instid0(VALU_DEP_2) | instskip(NEXT) | instid1(VALU_DEP_2)
	v_sub_co_u32 v2, vcc_lo, v2, v25
	v_add3_u32 v26, v26, v47, v46
	s_delay_alu instid0(VALU_DEP_2) | instskip(NEXT) | instid1(VALU_DEP_2)
	v_cmp_le_u32_e64 s1, s2, v2
	v_sub_nc_u32_e32 v46, v32, v26
	s_wait_alu 0xfffd
	v_sub_co_ci_u32_e64 v26, null, v32, v26, vcc_lo
	s_delay_alu instid0(VALU_DEP_2) | instskip(SKIP_2) | instid1(VALU_DEP_2)
	v_subrev_co_ci_u32_e64 v25, null, s3, v46, vcc_lo
	v_sub_co_u32 v46, s0, v2, s2
	s_wait_alu 0xf1ff
	v_subrev_co_ci_u32_e64 v25, null, 0, v25, s0
	s_delay_alu instid0(VALU_DEP_2) | instskip(SKIP_2) | instid1(VALU_DEP_4)
	v_cmp_le_u32_e32 vcc_lo, s2, v46
	v_cmp_le_u32_e64 s2, s3, v26
	v_cndmask_b32_e64 v46, 0, -1, s1
	v_cmp_le_u32_e64 s0, s3, v25
	v_cmp_eq_u32_e64 s1, s3, v26
	s_wait_alu 0xfffd
	v_cndmask_b32_e64 v2, 0, -1, vcc_lo
	v_cmp_eq_u32_e32 vcc_lo, s3, v25
	s_wait_alu 0xf1ff
	v_cndmask_b32_e64 v26, 0, -1, s2
	v_cndmask_b32_e64 v25, 0, -1, s0
	v_add_co_u32 v32, s0, v35, 2
	s_delay_alu instid0(VALU_DEP_3) | instskip(SKIP_1) | instid1(VALU_DEP_3)
	v_cndmask_b32_e64 v26, v26, v46, s1
	s_wait_alu 0xfffd
	v_cndmask_b32_e32 v2, v25, v2, vcc_lo
	s_wait_alu 0xf1ff
	v_add_co_ci_u32_e64 v25, null, 0, v36, s0
	v_add_co_u32 v47, vcc_lo, v35, 1
	s_delay_alu instid0(VALU_DEP_3)
	v_cmp_ne_u32_e64 s0, 0, v2
	s_wait_alu 0xfffd
	v_add_co_ci_u32_e64 v2, null, 0, v36, vcc_lo
	v_cmp_ne_u32_e32 vcc_lo, 0, v26
	s_wait_alu 0xf1ff
	v_cndmask_b32_e64 v26, v47, v32, s0
	s_delay_alu instid0(VALU_DEP_3) | instskip(SKIP_2) | instid1(VALU_DEP_3)
	v_cndmask_b32_e64 v2, v2, v25, s0
	v_xor_b32_e32 v32, s44, v37
	s_wait_alu 0xfffd
	v_cndmask_b32_e32 v25, v35, v26, vcc_lo
	s_delay_alu instid0(VALU_DEP_3) | instskip(NEXT) | instid1(VALU_DEP_2)
	v_cndmask_b32_e32 v2, v36, v2, vcc_lo
	v_xor_b32_e32 v25, v25, v32
	s_delay_alu instid0(VALU_DEP_2) | instskip(NEXT) | instid1(VALU_DEP_2)
	v_xor_b32_e32 v2, v2, v32
	v_sub_co_u32 v25, vcc_lo, v25, v32
	s_wait_alu 0xfffd
	s_delay_alu instid0(VALU_DEP_2)
	v_sub_co_ci_u32_e64 v26, null, v2, v32, vcc_lo
.LBB3_35:                               ;   in Loop: Header=BB3_5 Depth=1
	s_wait_alu 0xfffe
	s_and_not1_saveexec_b32 s0, s66
	s_cbranch_execz .LBB3_37
; %bb.36:                               ;   in Loop: Header=BB3_5 Depth=1
	v_rcp_iflag_f32_e32 v2, v31
	s_sub_co_i32 s1, 0, s42
	s_delay_alu instid0(TRANS32_DEP_1) | instskip(NEXT) | instid1(VALU_DEP_1)
	v_mul_f32_e32 v2, 0x4f7ffffe, v2
	v_cvt_u32_f32_e32 v2, v2
	s_wait_alu 0xfffe
	s_delay_alu instid0(VALU_DEP_1) | instskip(NEXT) | instid1(VALU_DEP_1)
	v_mul_lo_u32 v25, s1, v2
	v_mul_hi_u32 v25, v2, v25
	s_delay_alu instid0(VALU_DEP_1) | instskip(NEXT) | instid1(VALU_DEP_1)
	v_add_nc_u32_e32 v2, v2, v25
	v_mul_hi_u32 v2, v41, v2
	s_delay_alu instid0(VALU_DEP_1) | instskip(SKIP_1) | instid1(VALU_DEP_2)
	v_mul_lo_u32 v25, v2, s42
	v_add_nc_u32_e32 v26, 1, v2
	v_sub_nc_u32_e32 v25, v41, v25
	s_delay_alu instid0(VALU_DEP_1) | instskip(SKIP_2) | instid1(VALU_DEP_1)
	v_cmp_le_u32_e32 vcc_lo, s42, v25
	v_subrev_nc_u32_e32 v32, s42, v25
	s_wait_alu 0xfffd
	v_dual_cndmask_b32 v2, v2, v26 :: v_dual_cndmask_b32 v25, v25, v32
	s_delay_alu instid0(VALU_DEP_1) | instskip(NEXT) | instid1(VALU_DEP_2)
	v_add_nc_u32_e32 v26, 1, v2
	v_cmp_le_u32_e32 vcc_lo, s42, v25
	s_wait_alu 0xfffd
	s_delay_alu instid0(VALU_DEP_2)
	v_dual_cndmask_b32 v25, v2, v26 :: v_dual_mov_b32 v26, v1
.LBB3_37:                               ;   in Loop: Header=BB3_5 Depth=1
	s_wait_alu 0xfffe
	s_or_b32 exec_lo, exec_lo, s0
	s_delay_alu instid0(VALU_DEP_1) | instskip(NEXT) | instid1(VALU_DEP_2)
	v_mul_lo_u32 v2, v26, s42
	v_mul_lo_u32 v32, v25, s43
	v_mad_co_u64_u32 v[35:36], null, v25, s42, 0
	s_mov_b32 s0, exec_lo
	v_add3_u32 v2, v36, v32, v2
	v_sub_co_u32 v35, vcc_lo, v9, v35
	v_mul_lo_u32 v32, v26, s12
	v_mul_lo_u32 v36, v25, s13
	s_wait_alu 0xfffd
	v_sub_co_ci_u32_e64 v2, null, v10, v2, vcc_lo
	v_mad_co_u64_u32 v[25:26], null, v25, s12, 0
	v_add_co_u32 v35, vcc_lo, v3, v35
	s_wait_alu 0xfffd
	s_delay_alu instid0(VALU_DEP_3) | instskip(NEXT) | instid1(VALU_DEP_3)
	v_add_co_ci_u32_e64 v2, null, v4, v2, vcc_lo
	v_add3_u32 v26, v26, v36, v32
	s_delay_alu instid0(VALU_DEP_3) | instskip(SKIP_1) | instid1(VALU_DEP_4)
	v_mul_lo_u32 v32, v35, s15
	v_mad_co_u64_u32 v[35:36], null, v35, s14, 0
	v_mul_lo_u32 v2, v2, s14
	s_delay_alu instid0(VALU_DEP_4) | instskip(NEXT) | instid1(VALU_DEP_2)
	v_lshlrev_b64_e32 v[25:26], 3, v[25:26]
	v_add3_u32 v36, v36, v32, v2
	s_delay_alu instid0(VALU_DEP_2) | instskip(SKIP_1) | instid1(VALU_DEP_3)
	v_add_co_u32 v2, vcc_lo, s40, v25
	s_wait_alu 0xfffd
	v_add_co_ci_u32_e64 v26, null, s41, v26, vcc_lo
	s_delay_alu instid0(VALU_DEP_3) | instskip(NEXT) | instid1(VALU_DEP_1)
	v_lshlrev_b64_e32 v[35:36], 3, v[35:36]
	v_add_co_u32 v25, vcc_lo, v2, v35
	s_wait_alu 0xfffd
	s_delay_alu instid0(VALU_DEP_2)
	v_add_co_ci_u32_e64 v26, null, v26, v36, vcc_lo
	v_or_b32_e32 v2, s43, v44
	global_load_b64 v[35:36], v[25:26], off
                                        ; implicit-def: $vgpr25_vgpr26
	v_cmpx_ne_u64_e32 0, v[1:2]
	s_wait_alu 0xfffe
	s_xor_b32 s66, exec_lo, s0
	s_cbranch_execz .LBB3_39
; %bb.38:                               ;   in Loop: Header=BB3_5 Depth=1
	s_ashr_i32 s44, s43, 31
	s_wait_alu 0xfffe
	s_mov_b32 s45, s44
	s_wait_alu 0xfffe
	s_add_nc_u64 s[0:1], s[42:43], s[44:45]
	s_wait_alu 0xfffe
	s_xor_b64 s[2:3], s[0:1], s[44:45]
	s_wait_alu 0xfffe
	s_cvt_f32_u32 s0, s2
	s_cvt_f32_u32 s1, s3
	s_sub_nc_u64 s[54:55], 0, s[2:3]
	s_wait_alu 0xfffe
	s_delay_alu instid0(SALU_CYCLE_1) | instskip(SKIP_1) | instid1(SALU_CYCLE_2)
	s_fmamk_f32 s0, s1, 0x4f800000, s0
	s_wait_alu 0xfffe
	v_s_rcp_f32 s0, s0
	s_delay_alu instid0(TRANS32_DEP_1) | instskip(SKIP_1) | instid1(SALU_CYCLE_2)
	s_mul_f32 s0, s0, 0x5f7ffffc
	s_wait_alu 0xfffe
	s_mul_f32 s1, s0, 0x2f800000
	s_wait_alu 0xfffe
	s_delay_alu instid0(SALU_CYCLE_2) | instskip(SKIP_1) | instid1(SALU_CYCLE_2)
	s_trunc_f32 s1, s1
	s_wait_alu 0xfffe
	s_fmamk_f32 s0, s1, 0xcf800000, s0
	s_cvt_u32_f32 s1, s1
	s_wait_alu 0xfffe
	s_delay_alu instid0(SALU_CYCLE_1) | instskip(SKIP_1) | instid1(SALU_CYCLE_2)
	s_cvt_u32_f32 s0, s0
	s_wait_alu 0xfffe
	s_mul_u64 s[58:59], s[54:55], s[0:1]
	s_delay_alu instid0(SALU_CYCLE_1)
	s_mul_hi_u32 s71, s0, s59
	s_mul_i32 s70, s0, s59
	s_mul_hi_u32 s96, s0, s58
	s_mul_i32 s69, s1, s58
	s_add_nc_u64 s[70:71], s[96:97], s[70:71]
	s_mul_hi_u32 s45, s1, s58
	s_mul_hi_u32 vcc_lo, s1, s59
	s_mul_i32 s58, s1, s59
	s_wait_alu 0xfffe
	s_add_co_u32 s59, s70, s69
	s_add_co_ci_u32 s96, s71, s45
	s_add_co_ci_u32 s59, vcc_lo, 0
	v_add_co_u32 v2, vcc_lo, v43, v40
	s_add_nc_u64 s[58:59], s[96:97], s[58:59]
	s_wait_alu 0xfffd
	v_add_co_ci_u32_e64 v25, null, v44, v40, vcc_lo
	s_add_co_u32 s0, s0, s58
	s_cselect_b32 s45, -1, 0
	v_xor_b32_e32 v2, v2, v40
	s_wait_alu 0xfffe
	s_cmp_lg_u32 s45, 0
	v_xor_b32_e32 v48, v25, v40
	s_add_co_ci_u32 s1, s1, s59
	s_wait_alu 0xfffe
	s_mul_u64 s[54:55], s[54:55], s[0:1]
	s_wait_alu 0xfffe
	s_mul_hi_u32 s59, s0, s55
	s_mul_i32 s58, s0, s55
	s_mul_hi_u32 s96, s0, s54
	s_mul_i32 s69, s1, s54
	s_add_nc_u64 s[58:59], s[96:97], s[58:59]
	s_mul_hi_u32 s45, s1, s54
	s_mul_hi_u32 s70, s1, s55
	s_mul_i32 s54, s1, s55
	s_wait_alu 0xfffe
	s_add_co_u32 s55, s58, s69
	s_add_co_ci_u32 s96, s59, s45
	s_add_co_ci_u32 s55, s70, 0
	s_wait_alu 0xfffe
	s_add_nc_u64 s[54:55], s[96:97], s[54:55]
	s_wait_alu 0xfffe
	s_add_co_u32 s0, s0, s54
	s_cselect_b32 s45, -1, 0
	s_wait_alu 0xfffe
	v_mul_hi_u32 v49, v2, s0
	s_cmp_lg_u32 s45, 0
	v_mad_co_u64_u32 v[31:32], null, v48, s0, 0
	s_add_co_ci_u32 s1, s1, s55
	s_wait_alu 0xfffe
	v_mad_co_u64_u32 v[25:26], null, v2, s1, 0
	v_mad_co_u64_u32 v[46:47], null, v48, s1, 0
	s_delay_alu instid0(VALU_DEP_2) | instskip(SKIP_1) | instid1(VALU_DEP_3)
	v_add_co_u32 v25, vcc_lo, v49, v25
	s_wait_alu 0xfffd
	v_add_co_ci_u32_e64 v26, null, 0, v26, vcc_lo
	s_delay_alu instid0(VALU_DEP_2) | instskip(SKIP_1) | instid1(VALU_DEP_2)
	v_add_co_u32 v25, vcc_lo, v25, v31
	s_wait_alu 0xfffd
	v_add_co_ci_u32_e32 v25, vcc_lo, v26, v32, vcc_lo
	s_wait_alu 0xfffd
	v_add_co_ci_u32_e32 v26, vcc_lo, 0, v47, vcc_lo
	s_delay_alu instid0(VALU_DEP_2) | instskip(SKIP_1) | instid1(VALU_DEP_2)
	v_add_co_u32 v31, vcc_lo, v25, v46
	s_wait_alu 0xfffd
	v_add_co_ci_u32_e64 v32, null, 0, v26, vcc_lo
	s_delay_alu instid0(VALU_DEP_2) | instskip(SKIP_1) | instid1(VALU_DEP_3)
	v_mul_lo_u32 v46, s3, v31
	v_mad_co_u64_u32 v[25:26], null, s2, v31, 0
	v_mul_lo_u32 v47, s2, v32
	s_delay_alu instid0(VALU_DEP_2) | instskip(NEXT) | instid1(VALU_DEP_2)
	v_sub_co_u32 v2, vcc_lo, v2, v25
	v_add3_u32 v26, v26, v47, v46
	s_delay_alu instid0(VALU_DEP_2) | instskip(NEXT) | instid1(VALU_DEP_2)
	v_cmp_le_u32_e64 s1, s2, v2
	v_sub_nc_u32_e32 v46, v48, v26
	s_wait_alu 0xfffd
	v_sub_co_ci_u32_e64 v26, null, v48, v26, vcc_lo
	s_wait_alu 0xf1ff
	v_cndmask_b32_e64 v47, 0, -1, s1
	v_subrev_co_ci_u32_e64 v25, null, s3, v46, vcc_lo
	v_sub_co_u32 v46, s0, v2, s2
	v_cmp_eq_u32_e64 s1, s3, v26
	s_wait_alu 0xf1ff
	s_delay_alu instid0(VALU_DEP_3) | instskip(NEXT) | instid1(VALU_DEP_3)
	v_subrev_co_ci_u32_e64 v25, null, 0, v25, s0
	v_cmp_le_u32_e32 vcc_lo, s2, v46
	v_cmp_le_u32_e64 s2, s3, v26
	s_delay_alu instid0(VALU_DEP_3)
	v_cmp_le_u32_e64 s0, s3, v25
	s_wait_alu 0xfffd
	v_cndmask_b32_e64 v2, 0, -1, vcc_lo
	v_cmp_eq_u32_e32 vcc_lo, s3, v25
	s_wait_alu 0xf1ff
	v_cndmask_b32_e64 v26, 0, -1, s2
	v_cndmask_b32_e64 v25, 0, -1, s0
	v_add_co_u32 v46, s0, v31, 2
	s_delay_alu instid0(VALU_DEP_3) | instskip(SKIP_1) | instid1(VALU_DEP_3)
	v_cndmask_b32_e64 v26, v26, v47, s1
	s_wait_alu 0xfffd
	v_cndmask_b32_e32 v2, v25, v2, vcc_lo
	s_wait_alu 0xf1ff
	v_add_co_ci_u32_e64 v25, null, 0, v32, s0
	v_add_co_u32 v48, vcc_lo, v31, 1
	s_delay_alu instid0(VALU_DEP_3)
	v_cmp_ne_u32_e64 s0, 0, v2
	s_wait_alu 0xfffd
	v_add_co_ci_u32_e64 v2, null, 0, v32, vcc_lo
	v_cmp_ne_u32_e32 vcc_lo, 0, v26
	s_wait_alu 0xf1ff
	v_cndmask_b32_e64 v26, v48, v46, s0
	s_delay_alu instid0(VALU_DEP_3) | instskip(SKIP_2) | instid1(VALU_DEP_3)
	v_cndmask_b32_e64 v2, v2, v25, s0
	v_xor_b32_e32 v46, s44, v40
	s_wait_alu 0xfffd
	v_cndmask_b32_e32 v25, v31, v26, vcc_lo
	s_delay_alu instid0(VALU_DEP_3) | instskip(NEXT) | instid1(VALU_DEP_2)
	v_cndmask_b32_e32 v2, v32, v2, vcc_lo
                                        ; implicit-def: $vgpr31
	v_xor_b32_e32 v25, v25, v46
	s_delay_alu instid0(VALU_DEP_2) | instskip(NEXT) | instid1(VALU_DEP_2)
	v_xor_b32_e32 v2, v2, v46
	v_sub_co_u32 v25, vcc_lo, v25, v46
	s_wait_alu 0xfffd
	s_delay_alu instid0(VALU_DEP_2)
	v_sub_co_ci_u32_e64 v26, null, v2, v46, vcc_lo
.LBB3_39:                               ;   in Loop: Header=BB3_5 Depth=1
	s_wait_alu 0xfffe
	s_and_not1_saveexec_b32 s0, s66
	s_cbranch_execz .LBB3_41
; %bb.40:                               ;   in Loop: Header=BB3_5 Depth=1
	v_rcp_iflag_f32_e32 v2, v31
	s_sub_co_i32 s1, 0, s42
	s_delay_alu instid0(TRANS32_DEP_1) | instskip(NEXT) | instid1(VALU_DEP_1)
	v_mul_f32_e32 v2, 0x4f7ffffe, v2
	v_cvt_u32_f32_e32 v2, v2
	s_wait_alu 0xfffe
	s_delay_alu instid0(VALU_DEP_1) | instskip(NEXT) | instid1(VALU_DEP_1)
	v_mul_lo_u32 v25, s1, v2
	v_mul_hi_u32 v25, v2, v25
	s_delay_alu instid0(VALU_DEP_1) | instskip(NEXT) | instid1(VALU_DEP_1)
	v_add_nc_u32_e32 v2, v2, v25
	v_mul_hi_u32 v2, v43, v2
	s_delay_alu instid0(VALU_DEP_1) | instskip(SKIP_1) | instid1(VALU_DEP_2)
	v_mul_lo_u32 v25, v2, s42
	v_add_nc_u32_e32 v26, 1, v2
	v_sub_nc_u32_e32 v25, v43, v25
	s_delay_alu instid0(VALU_DEP_1) | instskip(SKIP_2) | instid1(VALU_DEP_1)
	v_cmp_le_u32_e32 vcc_lo, s42, v25
	v_subrev_nc_u32_e32 v31, s42, v25
	s_wait_alu 0xfffd
	v_dual_cndmask_b32 v2, v2, v26 :: v_dual_cndmask_b32 v25, v25, v31
	s_delay_alu instid0(VALU_DEP_1) | instskip(NEXT) | instid1(VALU_DEP_2)
	v_add_nc_u32_e32 v26, 1, v2
	v_cmp_le_u32_e32 vcc_lo, s42, v25
	s_wait_alu 0xfffd
	s_delay_alu instid0(VALU_DEP_2)
	v_dual_cndmask_b32 v25, v2, v26 :: v_dual_mov_b32 v26, v1
.LBB3_41:                               ;   in Loop: Header=BB3_5 Depth=1
	s_wait_alu 0xfffe
	s_or_b32 exec_lo, exec_lo, s0
	s_delay_alu instid0(VALU_DEP_1) | instskip(NEXT) | instid1(VALU_DEP_2)
	v_mul_lo_u32 v2, v26, s42
	v_mul_lo_u32 v46, v25, s43
	v_mad_co_u64_u32 v[31:32], null, v25, s42, 0
	s_mov_b32 s0, exec_lo
	v_add3_u32 v2, v32, v46, v2
	v_sub_co_u32 v31, vcc_lo, v11, v31
	v_mul_lo_u32 v32, v26, s12
	v_mul_lo_u32 v46, v25, s13
	s_wait_alu 0xfffd
	v_sub_co_ci_u32_e64 v2, null, v12, v2, vcc_lo
	v_mad_co_u64_u32 v[25:26], null, v25, s12, 0
	v_add_co_u32 v31, vcc_lo, v3, v31
	s_wait_alu 0xfffd
	s_delay_alu instid0(VALU_DEP_3) | instskip(NEXT) | instid1(VALU_DEP_3)
	v_add_co_ci_u32_e64 v2, null, v4, v2, vcc_lo
	v_add3_u32 v26, v26, v46, v32
	s_delay_alu instid0(VALU_DEP_3) | instskip(SKIP_1) | instid1(VALU_DEP_4)
	v_mul_lo_u32 v46, v31, s15
	v_mad_co_u64_u32 v[31:32], null, v31, s14, 0
	v_mul_lo_u32 v2, v2, s14
	s_delay_alu instid0(VALU_DEP_4) | instskip(NEXT) | instid1(VALU_DEP_2)
	v_lshlrev_b64_e32 v[25:26], 3, v[25:26]
	v_add3_u32 v32, v32, v46, v2
	s_delay_alu instid0(VALU_DEP_2) | instskip(SKIP_1) | instid1(VALU_DEP_3)
	v_add_co_u32 v2, vcc_lo, s40, v25
	s_wait_alu 0xfffd
	v_add_co_ci_u32_e64 v26, null, s41, v26, vcc_lo
	s_delay_alu instid0(VALU_DEP_3) | instskip(NEXT) | instid1(VALU_DEP_1)
	v_lshlrev_b64_e32 v[31:32], 3, v[31:32]
	v_add_co_u32 v25, vcc_lo, v2, v31
	s_wait_alu 0xfffd
	s_delay_alu instid0(VALU_DEP_2)
	v_add_co_ci_u32_e64 v26, null, v26, v32, vcc_lo
	v_or_b32_e32 v2, s65, v34
	global_load_b64 v[31:32], v[25:26], off
                                        ; implicit-def: $vgpr25_vgpr26
	v_cmpx_ne_u64_e32 0, v[1:2]
	s_wait_alu 0xfffe
	s_xor_b32 s66, exec_lo, s0
	s_cbranch_execz .LBB3_43
; %bb.42:                               ;   in Loop: Header=BB3_5 Depth=1
	s_ashr_i32 s44, s65, 31
	s_wait_alu 0xfffe
	s_mov_b32 s45, s44
	s_wait_alu 0xfffe
	s_add_nc_u64 s[0:1], s[64:65], s[44:45]
	s_wait_alu 0xfffe
	s_xor_b64 s[2:3], s[0:1], s[44:45]
	s_wait_alu 0xfffe
	s_cvt_f32_u32 s0, s2
	s_cvt_f32_u32 s1, s3
	s_sub_nc_u64 s[54:55], 0, s[2:3]
	s_wait_alu 0xfffe
	s_delay_alu instid0(SALU_CYCLE_1) | instskip(SKIP_1) | instid1(SALU_CYCLE_2)
	s_fmamk_f32 s0, s1, 0x4f800000, s0
	s_wait_alu 0xfffe
	v_s_rcp_f32 s0, s0
	s_delay_alu instid0(TRANS32_DEP_1) | instskip(SKIP_1) | instid1(SALU_CYCLE_2)
	s_mul_f32 s0, s0, 0x5f7ffffc
	s_wait_alu 0xfffe
	s_mul_f32 s1, s0, 0x2f800000
	s_wait_alu 0xfffe
	s_delay_alu instid0(SALU_CYCLE_2) | instskip(SKIP_1) | instid1(SALU_CYCLE_2)
	s_trunc_f32 s1, s1
	s_wait_alu 0xfffe
	s_fmamk_f32 s0, s1, 0xcf800000, s0
	s_cvt_u32_f32 s1, s1
	s_wait_alu 0xfffe
	s_delay_alu instid0(SALU_CYCLE_1) | instskip(SKIP_1) | instid1(SALU_CYCLE_2)
	s_cvt_u32_f32 s0, s0
	s_wait_alu 0xfffe
	s_mul_u64 s[58:59], s[54:55], s[0:1]
	s_delay_alu instid0(SALU_CYCLE_1)
	s_mul_hi_u32 s71, s0, s59
	s_mul_i32 s70, s0, s59
	s_mul_hi_u32 s96, s0, s58
	s_mul_i32 s69, s1, s58
	s_add_nc_u64 s[70:71], s[96:97], s[70:71]
	s_mul_hi_u32 s45, s1, s58
	s_mul_hi_u32 vcc_lo, s1, s59
	s_mul_i32 s58, s1, s59
	s_wait_alu 0xfffe
	s_add_co_u32 s59, s70, s69
	s_add_co_ci_u32 s96, s71, s45
	s_add_co_ci_u32 s59, vcc_lo, 0
	v_add_co_u32 v2, vcc_lo, v30, v29
	s_add_nc_u64 s[58:59], s[96:97], s[58:59]
	s_wait_alu 0xfffd
	v_add_co_ci_u32_e64 v25, null, v34, v29, vcc_lo
	s_add_co_u32 s0, s0, s58
	s_cselect_b32 s45, -1, 0
	v_xor_b32_e32 v2, v2, v29
	s_wait_alu 0xfffe
	s_cmp_lg_u32 s45, 0
	v_xor_b32_e32 v30, v25, v29
	s_add_co_ci_u32 s1, s1, s59
	v_xor_b32_e32 v29, s44, v29
	s_wait_alu 0xfffe
	s_mul_u64 s[54:55], s[54:55], s[0:1]
	s_wait_alu 0xfffe
	s_mul_hi_u32 s59, s0, s55
	s_mul_i32 s58, s0, s55
	s_mul_hi_u32 s96, s0, s54
	s_mul_i32 s69, s1, s54
	s_add_nc_u64 s[58:59], s[96:97], s[58:59]
	s_mul_hi_u32 s45, s1, s54
	s_mul_hi_u32 s70, s1, s55
	s_mul_i32 s54, s1, s55
	s_wait_alu 0xfffe
	s_add_co_u32 s55, s58, s69
	s_add_co_ci_u32 s96, s59, s45
	s_add_co_ci_u32 s55, s70, 0
	s_wait_alu 0xfffe
	s_add_nc_u64 s[54:55], s[96:97], s[54:55]
	s_wait_alu 0xfffe
	s_add_co_u32 s0, s0, s54
	s_cselect_b32 s45, -1, 0
	s_wait_alu 0xfffe
	v_mul_hi_u32 v34, v2, s0
	s_cmp_lg_u32 s45, 0
	v_mad_co_u64_u32 v[46:47], null, v30, s0, 0
	s_add_co_ci_u32 s1, s1, s55
	s_wait_alu 0xfffe
	v_mad_co_u64_u32 v[25:26], null, v2, s1, 0
	v_mad_co_u64_u32 v[48:49], null, v30, s1, 0
	s_delay_alu instid0(VALU_DEP_2) | instskip(SKIP_1) | instid1(VALU_DEP_3)
	v_add_co_u32 v25, vcc_lo, v34, v25
	s_wait_alu 0xfffd
	v_add_co_ci_u32_e64 v26, null, 0, v26, vcc_lo
	s_delay_alu instid0(VALU_DEP_2) | instskip(SKIP_1) | instid1(VALU_DEP_2)
	v_add_co_u32 v25, vcc_lo, v25, v46
	s_wait_alu 0xfffd
	v_add_co_ci_u32_e32 v25, vcc_lo, v26, v47, vcc_lo
	s_wait_alu 0xfffd
	v_add_co_ci_u32_e32 v26, vcc_lo, 0, v49, vcc_lo
	s_delay_alu instid0(VALU_DEP_2) | instskip(SKIP_1) | instid1(VALU_DEP_2)
	v_add_co_u32 v34, vcc_lo, v25, v48
	s_wait_alu 0xfffd
	v_add_co_ci_u32_e64 v46, null, 0, v26, vcc_lo
	s_delay_alu instid0(VALU_DEP_2) | instskip(SKIP_1) | instid1(VALU_DEP_3)
	v_mul_lo_u32 v47, s3, v34
	v_mad_co_u64_u32 v[25:26], null, s2, v34, 0
	v_mul_lo_u32 v48, s2, v46
	s_delay_alu instid0(VALU_DEP_2) | instskip(NEXT) | instid1(VALU_DEP_2)
	v_sub_co_u32 v2, vcc_lo, v2, v25
	v_add3_u32 v26, v26, v48, v47
	s_delay_alu instid0(VALU_DEP_2) | instskip(NEXT) | instid1(VALU_DEP_2)
	v_cmp_le_u32_e64 s1, s2, v2
	v_sub_nc_u32_e32 v47, v30, v26
	s_wait_alu 0xfffd
	v_sub_co_ci_u32_e64 v26, null, v30, v26, vcc_lo
	s_delay_alu instid0(VALU_DEP_2) | instskip(SKIP_2) | instid1(VALU_DEP_2)
	v_subrev_co_ci_u32_e64 v25, null, s3, v47, vcc_lo
	v_sub_co_u32 v47, s0, v2, s2
	s_wait_alu 0xf1ff
	v_subrev_co_ci_u32_e64 v25, null, 0, v25, s0
	s_delay_alu instid0(VALU_DEP_2) | instskip(SKIP_2) | instid1(VALU_DEP_4)
	v_cmp_le_u32_e32 vcc_lo, s2, v47
	v_cmp_le_u32_e64 s2, s3, v26
	v_cndmask_b32_e64 v47, 0, -1, s1
	v_cmp_le_u32_e64 s0, s3, v25
	v_cmp_eq_u32_e64 s1, s3, v26
	s_wait_alu 0xfffd
	v_cndmask_b32_e64 v2, 0, -1, vcc_lo
	v_cmp_eq_u32_e32 vcc_lo, s3, v25
	s_wait_alu 0xf1ff
	v_cndmask_b32_e64 v26, 0, -1, s2
	v_cndmask_b32_e64 v25, 0, -1, s0
	v_add_co_u32 v30, s0, v34, 2
	s_delay_alu instid0(VALU_DEP_3) | instskip(SKIP_1) | instid1(VALU_DEP_3)
	v_cndmask_b32_e64 v26, v26, v47, s1
	s_wait_alu 0xfffd
	v_cndmask_b32_e32 v2, v25, v2, vcc_lo
	s_wait_alu 0xf1ff
	v_add_co_ci_u32_e64 v25, null, 0, v46, s0
	v_add_co_u32 v48, vcc_lo, v34, 1
	s_delay_alu instid0(VALU_DEP_3)
	v_cmp_ne_u32_e64 s0, 0, v2
	s_wait_alu 0xfffd
	v_add_co_ci_u32_e64 v2, null, 0, v46, vcc_lo
	v_cmp_ne_u32_e32 vcc_lo, 0, v26
	s_wait_alu 0xf1ff
	v_cndmask_b32_e64 v26, v48, v30, s0
	s_delay_alu instid0(VALU_DEP_3) | instskip(SKIP_1) | instid1(VALU_DEP_2)
	v_cndmask_b32_e64 v2, v2, v25, s0
                                        ; implicit-def: $vgpr30
	s_wait_alu 0xfffd
	v_cndmask_b32_e32 v25, v34, v26, vcc_lo
	s_delay_alu instid0(VALU_DEP_2) | instskip(NEXT) | instid1(VALU_DEP_2)
	v_cndmask_b32_e32 v2, v46, v2, vcc_lo
	v_xor_b32_e32 v25, v25, v29
	s_delay_alu instid0(VALU_DEP_2) | instskip(NEXT) | instid1(VALU_DEP_2)
	v_xor_b32_e32 v2, v2, v29
	v_sub_co_u32 v25, vcc_lo, v25, v29
	s_wait_alu 0xfffd
	s_delay_alu instid0(VALU_DEP_2)
	v_sub_co_ci_u32_e64 v26, null, v2, v29, vcc_lo
.LBB3_43:                               ;   in Loop: Header=BB3_5 Depth=1
	s_wait_alu 0xfffe
	s_or_saveexec_b32 s0, s66
	v_cvt_f32_u32_e32 v46, s64
	s_wait_alu 0xfffe
	s_xor_b32 exec_lo, exec_lo, s0
	s_cbranch_execz .LBB3_45
; %bb.44:                               ;   in Loop: Header=BB3_5 Depth=1
	s_delay_alu instid0(VALU_DEP_1) | instskip(SKIP_1) | instid1(TRANS32_DEP_1)
	v_rcp_iflag_f32_e32 v2, v46
	s_sub_co_i32 s1, 0, s64
	v_mul_f32_e32 v2, 0x4f7ffffe, v2
	s_delay_alu instid0(VALU_DEP_1) | instskip(SKIP_1) | instid1(VALU_DEP_1)
	v_cvt_u32_f32_e32 v2, v2
	s_wait_alu 0xfffe
	v_mul_lo_u32 v25, s1, v2
	s_delay_alu instid0(VALU_DEP_1) | instskip(NEXT) | instid1(VALU_DEP_1)
	v_mul_hi_u32 v25, v2, v25
	v_add_nc_u32_e32 v2, v2, v25
	s_delay_alu instid0(VALU_DEP_1) | instskip(NEXT) | instid1(VALU_DEP_1)
	v_mul_hi_u32 v2, v30, v2
	v_mul_lo_u32 v25, v2, s64
	v_add_nc_u32_e32 v26, 1, v2
	s_delay_alu instid0(VALU_DEP_2) | instskip(NEXT) | instid1(VALU_DEP_1)
	v_sub_nc_u32_e32 v25, v30, v25
	v_cmp_le_u32_e32 vcc_lo, s64, v25
	v_subrev_nc_u32_e32 v29, s64, v25
	s_wait_alu 0xfffd
	s_delay_alu instid0(VALU_DEP_1) | instskip(NEXT) | instid1(VALU_DEP_1)
	v_dual_cndmask_b32 v2, v2, v26 :: v_dual_cndmask_b32 v25, v25, v29
	v_add_nc_u32_e32 v26, 1, v2
	s_delay_alu instid0(VALU_DEP_2) | instskip(SKIP_1) | instid1(VALU_DEP_2)
	v_cmp_le_u32_e32 vcc_lo, s64, v25
	s_wait_alu 0xfffd
	v_dual_cndmask_b32 v25, v2, v26 :: v_dual_mov_b32 v26, v1
.LBB3_45:                               ;   in Loop: Header=BB3_5 Depth=1
	s_or_b32 exec_lo, exec_lo, s0
	v_or_b32_e32 v2, s65, v39
                                        ; implicit-def: $vgpr29_vgpr30
	s_mov_b32 s0, exec_lo
	s_delay_alu instid0(VALU_DEP_1)
	v_cmpx_ne_u64_e32 0, v[1:2]
	s_wait_alu 0xfffe
	s_xor_b32 s66, exec_lo, s0
	s_cbranch_execz .LBB3_47
; %bb.46:                               ;   in Loop: Header=BB3_5 Depth=1
	s_ashr_i32 s44, s65, 31
	s_wait_alu 0xfffe
	s_mov_b32 s45, s44
	s_wait_alu 0xfffe
	s_add_nc_u64 s[0:1], s[64:65], s[44:45]
	s_wait_alu 0xfffe
	s_xor_b64 s[2:3], s[0:1], s[44:45]
	s_wait_alu 0xfffe
	s_cvt_f32_u32 s0, s2
	s_cvt_f32_u32 s1, s3
	s_sub_nc_u64 s[54:55], 0, s[2:3]
	s_wait_alu 0xfffe
	s_delay_alu instid0(SALU_CYCLE_1) | instskip(SKIP_1) | instid1(SALU_CYCLE_2)
	s_fmamk_f32 s0, s1, 0x4f800000, s0
	s_wait_alu 0xfffe
	v_s_rcp_f32 s0, s0
	s_delay_alu instid0(TRANS32_DEP_1) | instskip(SKIP_1) | instid1(SALU_CYCLE_2)
	s_mul_f32 s0, s0, 0x5f7ffffc
	s_wait_alu 0xfffe
	s_mul_f32 s1, s0, 0x2f800000
	s_wait_alu 0xfffe
	s_delay_alu instid0(SALU_CYCLE_2) | instskip(SKIP_1) | instid1(SALU_CYCLE_2)
	s_trunc_f32 s1, s1
	s_wait_alu 0xfffe
	s_fmamk_f32 s0, s1, 0xcf800000, s0
	s_cvt_u32_f32 s1, s1
	s_wait_alu 0xfffe
	s_delay_alu instid0(SALU_CYCLE_1) | instskip(SKIP_1) | instid1(SALU_CYCLE_2)
	s_cvt_u32_f32 s0, s0
	s_wait_alu 0xfffe
	s_mul_u64 s[58:59], s[54:55], s[0:1]
	s_delay_alu instid0(SALU_CYCLE_1)
	s_mul_hi_u32 s71, s0, s59
	s_mul_i32 s70, s0, s59
	s_mul_hi_u32 s96, s0, s58
	s_mul_i32 s69, s1, s58
	s_add_nc_u64 s[70:71], s[96:97], s[70:71]
	s_mul_hi_u32 s45, s1, s58
	s_mul_hi_u32 vcc_lo, s1, s59
	s_mul_i32 s58, s1, s59
	s_wait_alu 0xfffe
	s_add_co_u32 s59, s70, s69
	s_add_co_ci_u32 s96, s71, s45
	s_add_co_ci_u32 s59, vcc_lo, 0
	v_add_co_u32 v2, vcc_lo, v38, v33
	s_add_nc_u64 s[58:59], s[96:97], s[58:59]
	s_wait_alu 0xfffd
	v_add_co_ci_u32_e64 v29, null, v39, v33, vcc_lo
	s_add_co_u32 s0, s0, s58
	s_cselect_b32 s45, -1, 0
	v_xor_b32_e32 v2, v2, v33
	s_wait_alu 0xfffe
	s_cmp_lg_u32 s45, 0
	v_xor_b32_e32 v34, v29, v33
	s_add_co_ci_u32 s1, s1, s59
	v_xor_b32_e32 v33, s44, v33
	s_wait_alu 0xfffe
	s_mul_u64 s[54:55], s[54:55], s[0:1]
	s_wait_alu 0xfffe
	s_mul_hi_u32 s59, s0, s55
	s_mul_i32 s58, s0, s55
	s_mul_hi_u32 s96, s0, s54
	s_mul_i32 s69, s1, s54
	s_add_nc_u64 s[58:59], s[96:97], s[58:59]
	s_mul_hi_u32 s45, s1, s54
	s_mul_hi_u32 s70, s1, s55
	s_mul_i32 s54, s1, s55
	s_wait_alu 0xfffe
	s_add_co_u32 s55, s58, s69
	s_add_co_ci_u32 s96, s59, s45
	s_add_co_ci_u32 s55, s70, 0
	s_wait_alu 0xfffe
	s_add_nc_u64 s[54:55], s[96:97], s[54:55]
	s_wait_alu 0xfffe
	s_add_co_u32 s0, s0, s54
	s_cselect_b32 s45, -1, 0
	s_wait_alu 0xfffe
	v_mul_hi_u32 v49, v2, s0
	s_cmp_lg_u32 s45, 0
	v_mad_co_u64_u32 v[38:39], null, v34, s0, 0
	s_add_co_ci_u32 s1, s1, s55
	s_wait_alu 0xfffe
	v_mad_co_u64_u32 v[29:30], null, v2, s1, 0
	v_mad_co_u64_u32 v[47:48], null, v34, s1, 0
	s_delay_alu instid0(VALU_DEP_2) | instskip(SKIP_1) | instid1(VALU_DEP_3)
	v_add_co_u32 v29, vcc_lo, v49, v29
	s_wait_alu 0xfffd
	v_add_co_ci_u32_e64 v30, null, 0, v30, vcc_lo
	s_delay_alu instid0(VALU_DEP_2) | instskip(SKIP_1) | instid1(VALU_DEP_2)
	v_add_co_u32 v29, vcc_lo, v29, v38
	s_wait_alu 0xfffd
	v_add_co_ci_u32_e32 v29, vcc_lo, v30, v39, vcc_lo
	s_wait_alu 0xfffd
	v_add_co_ci_u32_e32 v30, vcc_lo, 0, v48, vcc_lo
	s_delay_alu instid0(VALU_DEP_2) | instskip(SKIP_1) | instid1(VALU_DEP_2)
	v_add_co_u32 v38, vcc_lo, v29, v47
	s_wait_alu 0xfffd
	v_add_co_ci_u32_e64 v39, null, 0, v30, vcc_lo
	s_delay_alu instid0(VALU_DEP_2) | instskip(SKIP_1) | instid1(VALU_DEP_3)
	v_mul_lo_u32 v47, s3, v38
	v_mad_co_u64_u32 v[29:30], null, s2, v38, 0
	v_mul_lo_u32 v48, s2, v39
	s_delay_alu instid0(VALU_DEP_2) | instskip(NEXT) | instid1(VALU_DEP_2)
	v_sub_co_u32 v2, vcc_lo, v2, v29
	v_add3_u32 v30, v30, v48, v47
	s_delay_alu instid0(VALU_DEP_2) | instskip(NEXT) | instid1(VALU_DEP_2)
	v_cmp_le_u32_e64 s1, s2, v2
	v_sub_nc_u32_e32 v47, v34, v30
	s_wait_alu 0xfffd
	v_sub_co_ci_u32_e64 v30, null, v34, v30, vcc_lo
	s_delay_alu instid0(VALU_DEP_2) | instskip(SKIP_2) | instid1(VALU_DEP_2)
	v_subrev_co_ci_u32_e64 v29, null, s3, v47, vcc_lo
	v_sub_co_u32 v47, s0, v2, s2
	s_wait_alu 0xf1ff
	v_subrev_co_ci_u32_e64 v29, null, 0, v29, s0
	s_delay_alu instid0(VALU_DEP_2) | instskip(SKIP_2) | instid1(VALU_DEP_4)
	v_cmp_le_u32_e32 vcc_lo, s2, v47
	v_cmp_le_u32_e64 s2, s3, v30
	v_cndmask_b32_e64 v47, 0, -1, s1
	v_cmp_le_u32_e64 s0, s3, v29
	v_cmp_eq_u32_e64 s1, s3, v30
	s_wait_alu 0xfffd
	v_cndmask_b32_e64 v2, 0, -1, vcc_lo
	v_cmp_eq_u32_e32 vcc_lo, s3, v29
	s_wait_alu 0xf1ff
	v_cndmask_b32_e64 v30, 0, -1, s2
	v_cndmask_b32_e64 v29, 0, -1, s0
	v_add_co_u32 v34, s0, v38, 2
	s_delay_alu instid0(VALU_DEP_3) | instskip(SKIP_1) | instid1(VALU_DEP_3)
	v_cndmask_b32_e64 v30, v30, v47, s1
	s_wait_alu 0xfffd
	v_cndmask_b32_e32 v2, v29, v2, vcc_lo
	s_wait_alu 0xf1ff
	v_add_co_ci_u32_e64 v29, null, 0, v39, s0
	v_add_co_u32 v48, vcc_lo, v38, 1
	s_delay_alu instid0(VALU_DEP_3)
	v_cmp_ne_u32_e64 s0, 0, v2
	s_wait_alu 0xfffd
	v_add_co_ci_u32_e64 v2, null, 0, v39, vcc_lo
	v_cmp_ne_u32_e32 vcc_lo, 0, v30
	s_wait_alu 0xf1ff
	v_cndmask_b32_e64 v30, v48, v34, s0
	s_delay_alu instid0(VALU_DEP_3) | instskip(SKIP_1) | instid1(VALU_DEP_2)
	v_cndmask_b32_e64 v2, v2, v29, s0
	s_wait_alu 0xfffd
	v_cndmask_b32_e32 v29, v38, v30, vcc_lo
	s_delay_alu instid0(VALU_DEP_2) | instskip(NEXT) | instid1(VALU_DEP_2)
	v_cndmask_b32_e32 v2, v39, v2, vcc_lo
                                        ; implicit-def: $vgpr38
	v_xor_b32_e32 v29, v29, v33
	s_delay_alu instid0(VALU_DEP_2) | instskip(NEXT) | instid1(VALU_DEP_2)
	v_xor_b32_e32 v2, v2, v33
	v_sub_co_u32 v29, vcc_lo, v29, v33
	s_wait_alu 0xfffd
	s_delay_alu instid0(VALU_DEP_2)
	v_sub_co_ci_u32_e64 v30, null, v2, v33, vcc_lo
.LBB3_47:                               ;   in Loop: Header=BB3_5 Depth=1
	s_wait_alu 0xfffe
	s_and_not1_saveexec_b32 s0, s66
	s_cbranch_execz .LBB3_49
; %bb.48:                               ;   in Loop: Header=BB3_5 Depth=1
	v_rcp_iflag_f32_e32 v2, v46
	s_sub_co_i32 s1, 0, s64
	s_delay_alu instid0(TRANS32_DEP_1) | instskip(NEXT) | instid1(VALU_DEP_1)
	v_mul_f32_e32 v2, 0x4f7ffffe, v2
	v_cvt_u32_f32_e32 v2, v2
	s_wait_alu 0xfffe
	s_delay_alu instid0(VALU_DEP_1) | instskip(NEXT) | instid1(VALU_DEP_1)
	v_mul_lo_u32 v29, s1, v2
	v_mul_hi_u32 v29, v2, v29
	s_delay_alu instid0(VALU_DEP_1) | instskip(NEXT) | instid1(VALU_DEP_1)
	v_add_nc_u32_e32 v2, v2, v29
	v_mul_hi_u32 v2, v38, v2
	s_delay_alu instid0(VALU_DEP_1) | instskip(SKIP_1) | instid1(VALU_DEP_2)
	v_mul_lo_u32 v29, v2, s64
	v_add_nc_u32_e32 v30, 1, v2
	v_sub_nc_u32_e32 v29, v38, v29
	s_delay_alu instid0(VALU_DEP_1) | instskip(SKIP_2) | instid1(VALU_DEP_1)
	v_cmp_le_u32_e32 vcc_lo, s64, v29
	v_subrev_nc_u32_e32 v33, s64, v29
	s_wait_alu 0xfffd
	v_dual_cndmask_b32 v2, v2, v30 :: v_dual_cndmask_b32 v29, v29, v33
	s_delay_alu instid0(VALU_DEP_1) | instskip(NEXT) | instid1(VALU_DEP_2)
	v_add_nc_u32_e32 v30, 1, v2
	v_cmp_le_u32_e32 vcc_lo, s64, v29
	s_wait_alu 0xfffd
	s_delay_alu instid0(VALU_DEP_2)
	v_dual_cndmask_b32 v29, v2, v30 :: v_dual_mov_b32 v30, v1
.LBB3_49:                               ;   in Loop: Header=BB3_5 Depth=1
	s_wait_alu 0xfffe
	s_or_b32 exec_lo, exec_lo, s0
	v_or_b32_e32 v2, s65, v42
                                        ; implicit-def: $vgpr33_vgpr34
	s_mov_b32 s0, exec_lo
	s_delay_alu instid0(VALU_DEP_1)
	v_cmpx_ne_u64_e32 0, v[1:2]
	s_wait_alu 0xfffe
	s_xor_b32 s66, exec_lo, s0
	s_cbranch_execz .LBB3_51
; %bb.50:                               ;   in Loop: Header=BB3_5 Depth=1
	s_ashr_i32 s44, s65, 31
	s_wait_alu 0xfffe
	s_mov_b32 s45, s44
	s_wait_alu 0xfffe
	s_add_nc_u64 s[0:1], s[64:65], s[44:45]
	s_wait_alu 0xfffe
	s_xor_b64 s[2:3], s[0:1], s[44:45]
	s_wait_alu 0xfffe
	s_cvt_f32_u32 s0, s2
	s_cvt_f32_u32 s1, s3
	s_sub_nc_u64 s[54:55], 0, s[2:3]
	s_wait_alu 0xfffe
	s_delay_alu instid0(SALU_CYCLE_1) | instskip(SKIP_1) | instid1(SALU_CYCLE_2)
	s_fmamk_f32 s0, s1, 0x4f800000, s0
	s_wait_alu 0xfffe
	v_s_rcp_f32 s0, s0
	s_delay_alu instid0(TRANS32_DEP_1) | instskip(SKIP_1) | instid1(SALU_CYCLE_2)
	s_mul_f32 s0, s0, 0x5f7ffffc
	s_wait_alu 0xfffe
	s_mul_f32 s1, s0, 0x2f800000
	s_wait_alu 0xfffe
	s_delay_alu instid0(SALU_CYCLE_2) | instskip(SKIP_1) | instid1(SALU_CYCLE_2)
	s_trunc_f32 s1, s1
	s_wait_alu 0xfffe
	s_fmamk_f32 s0, s1, 0xcf800000, s0
	s_cvt_u32_f32 s1, s1
	s_wait_alu 0xfffe
	s_delay_alu instid0(SALU_CYCLE_1) | instskip(SKIP_1) | instid1(SALU_CYCLE_2)
	s_cvt_u32_f32 s0, s0
	s_wait_alu 0xfffe
	s_mul_u64 s[58:59], s[54:55], s[0:1]
	s_delay_alu instid0(SALU_CYCLE_1)
	s_mul_hi_u32 s71, s0, s59
	s_mul_i32 s70, s0, s59
	s_mul_hi_u32 s96, s0, s58
	s_mul_i32 s69, s1, s58
	s_add_nc_u64 s[70:71], s[96:97], s[70:71]
	s_mul_hi_u32 s45, s1, s58
	s_mul_hi_u32 vcc_lo, s1, s59
	s_mul_i32 s58, s1, s59
	s_wait_alu 0xfffe
	s_add_co_u32 s59, s70, s69
	s_add_co_ci_u32 s96, s71, s45
	s_add_co_ci_u32 s59, vcc_lo, 0
	v_add_co_u32 v2, vcc_lo, v41, v37
	s_add_nc_u64 s[58:59], s[96:97], s[58:59]
	s_wait_alu 0xfffd
	v_add_co_ci_u32_e64 v33, null, v42, v37, vcc_lo
	s_add_co_u32 s0, s0, s58
	s_cselect_b32 s45, -1, 0
	v_xor_b32_e32 v2, v2, v37
	s_wait_alu 0xfffe
	s_cmp_lg_u32 s45, 0
	v_xor_b32_e32 v47, v33, v37
	s_add_co_ci_u32 s1, s1, s59
	v_xor_b32_e32 v37, s44, v37
	s_wait_alu 0xfffe
	s_mul_u64 s[54:55], s[54:55], s[0:1]
	s_wait_alu 0xfffe
	s_mul_hi_u32 s59, s0, s55
	s_mul_i32 s58, s0, s55
	s_mul_hi_u32 s96, s0, s54
	s_mul_i32 s69, s1, s54
	s_add_nc_u64 s[58:59], s[96:97], s[58:59]
	s_mul_hi_u32 s45, s1, s54
	s_mul_hi_u32 s70, s1, s55
	s_mul_i32 s54, s1, s55
	s_wait_alu 0xfffe
	s_add_co_u32 s55, s58, s69
	s_add_co_ci_u32 s96, s59, s45
	s_add_co_ci_u32 s55, s70, 0
	s_wait_alu 0xfffe
	s_add_nc_u64 s[54:55], s[96:97], s[54:55]
	s_wait_alu 0xfffe
	s_add_co_u32 s0, s0, s54
	s_cselect_b32 s45, -1, 0
	s_wait_alu 0xfffe
	v_mul_hi_u32 v48, v2, s0
	s_cmp_lg_u32 s45, 0
	v_mad_co_u64_u32 v[38:39], null, v47, s0, 0
	s_add_co_ci_u32 s1, s1, s55
	s_wait_alu 0xfffe
	v_mad_co_u64_u32 v[33:34], null, v2, s1, 0
	v_mad_co_u64_u32 v[41:42], null, v47, s1, 0
	s_delay_alu instid0(VALU_DEP_2) | instskip(SKIP_1) | instid1(VALU_DEP_3)
	v_add_co_u32 v33, vcc_lo, v48, v33
	s_wait_alu 0xfffd
	v_add_co_ci_u32_e64 v34, null, 0, v34, vcc_lo
	s_delay_alu instid0(VALU_DEP_2) | instskip(SKIP_1) | instid1(VALU_DEP_2)
	v_add_co_u32 v33, vcc_lo, v33, v38
	s_wait_alu 0xfffd
	v_add_co_ci_u32_e32 v33, vcc_lo, v34, v39, vcc_lo
	s_wait_alu 0xfffd
	v_add_co_ci_u32_e32 v34, vcc_lo, 0, v42, vcc_lo
	s_delay_alu instid0(VALU_DEP_2) | instskip(SKIP_1) | instid1(VALU_DEP_2)
	v_add_co_u32 v38, vcc_lo, v33, v41
	s_wait_alu 0xfffd
	v_add_co_ci_u32_e64 v39, null, 0, v34, vcc_lo
	s_delay_alu instid0(VALU_DEP_2) | instskip(SKIP_1) | instid1(VALU_DEP_3)
	v_mul_lo_u32 v41, s3, v38
	v_mad_co_u64_u32 v[33:34], null, s2, v38, 0
	v_mul_lo_u32 v42, s2, v39
	s_delay_alu instid0(VALU_DEP_2) | instskip(NEXT) | instid1(VALU_DEP_2)
	v_sub_co_u32 v2, vcc_lo, v2, v33
	v_add3_u32 v34, v34, v42, v41
	s_delay_alu instid0(VALU_DEP_2) | instskip(NEXT) | instid1(VALU_DEP_2)
	v_cmp_le_u32_e64 s1, s2, v2
	v_sub_nc_u32_e32 v41, v47, v34
	s_wait_alu 0xfffd
	v_sub_co_ci_u32_e64 v34, null, v47, v34, vcc_lo
	s_wait_alu 0xf1ff
	v_cndmask_b32_e64 v42, 0, -1, s1
	v_subrev_co_ci_u32_e64 v33, null, s3, v41, vcc_lo
	v_sub_co_u32 v41, s0, v2, s2
	v_cmp_eq_u32_e64 s1, s3, v34
	s_wait_alu 0xf1ff
	s_delay_alu instid0(VALU_DEP_3) | instskip(NEXT) | instid1(VALU_DEP_3)
	v_subrev_co_ci_u32_e64 v33, null, 0, v33, s0
	v_cmp_le_u32_e32 vcc_lo, s2, v41
	v_cmp_le_u32_e64 s2, s3, v34
	s_delay_alu instid0(VALU_DEP_3)
	v_cmp_le_u32_e64 s0, s3, v33
	s_wait_alu 0xfffd
	v_cndmask_b32_e64 v2, 0, -1, vcc_lo
	v_cmp_eq_u32_e32 vcc_lo, s3, v33
	s_wait_alu 0xf1ff
	v_cndmask_b32_e64 v34, 0, -1, s2
	v_cndmask_b32_e64 v33, 0, -1, s0
	v_add_co_u32 v41, s0, v38, 2
	s_delay_alu instid0(VALU_DEP_3) | instskip(SKIP_1) | instid1(VALU_DEP_3)
	v_cndmask_b32_e64 v34, v34, v42, s1
	s_wait_alu 0xfffd
	v_cndmask_b32_e32 v2, v33, v2, vcc_lo
	s_wait_alu 0xf1ff
	v_add_co_ci_u32_e64 v33, null, 0, v39, s0
	v_add_co_u32 v47, vcc_lo, v38, 1
	s_delay_alu instid0(VALU_DEP_3)
	v_cmp_ne_u32_e64 s0, 0, v2
	s_wait_alu 0xfffd
	v_add_co_ci_u32_e64 v2, null, 0, v39, vcc_lo
	v_cmp_ne_u32_e32 vcc_lo, 0, v34
	s_wait_alu 0xf1ff
	v_cndmask_b32_e64 v34, v47, v41, s0
	s_delay_alu instid0(VALU_DEP_3) | instskip(SKIP_1) | instid1(VALU_DEP_2)
	v_cndmask_b32_e64 v2, v2, v33, s0
                                        ; implicit-def: $vgpr41
	s_wait_alu 0xfffd
	v_cndmask_b32_e32 v33, v38, v34, vcc_lo
	s_delay_alu instid0(VALU_DEP_2) | instskip(NEXT) | instid1(VALU_DEP_2)
	v_cndmask_b32_e32 v2, v39, v2, vcc_lo
	v_xor_b32_e32 v33, v33, v37
	s_delay_alu instid0(VALU_DEP_2) | instskip(NEXT) | instid1(VALU_DEP_2)
	v_xor_b32_e32 v2, v2, v37
	v_sub_co_u32 v33, vcc_lo, v33, v37
	s_wait_alu 0xfffd
	s_delay_alu instid0(VALU_DEP_2)
	v_sub_co_ci_u32_e64 v34, null, v2, v37, vcc_lo
.LBB3_51:                               ;   in Loop: Header=BB3_5 Depth=1
	s_wait_alu 0xfffe
	s_and_not1_saveexec_b32 s0, s66
	s_cbranch_execz .LBB3_53
; %bb.52:                               ;   in Loop: Header=BB3_5 Depth=1
	v_rcp_iflag_f32_e32 v2, v46
	s_sub_co_i32 s1, 0, s64
	s_delay_alu instid0(TRANS32_DEP_1) | instskip(NEXT) | instid1(VALU_DEP_1)
	v_mul_f32_e32 v2, 0x4f7ffffe, v2
	v_cvt_u32_f32_e32 v2, v2
	s_wait_alu 0xfffe
	s_delay_alu instid0(VALU_DEP_1) | instskip(NEXT) | instid1(VALU_DEP_1)
	v_mul_lo_u32 v33, s1, v2
	v_mul_hi_u32 v33, v2, v33
	s_delay_alu instid0(VALU_DEP_1) | instskip(NEXT) | instid1(VALU_DEP_1)
	v_add_nc_u32_e32 v2, v2, v33
	v_mul_hi_u32 v2, v41, v2
	s_delay_alu instid0(VALU_DEP_1) | instskip(SKIP_1) | instid1(VALU_DEP_2)
	v_mul_lo_u32 v33, v2, s64
	v_add_nc_u32_e32 v34, 1, v2
	v_sub_nc_u32_e32 v33, v41, v33
	s_delay_alu instid0(VALU_DEP_1) | instskip(SKIP_2) | instid1(VALU_DEP_1)
	v_cmp_le_u32_e32 vcc_lo, s64, v33
	v_subrev_nc_u32_e32 v37, s64, v33
	s_wait_alu 0xfffd
	v_dual_cndmask_b32 v2, v2, v34 :: v_dual_cndmask_b32 v33, v33, v37
	s_delay_alu instid0(VALU_DEP_1) | instskip(NEXT) | instid1(VALU_DEP_2)
	v_add_nc_u32_e32 v34, 1, v2
	v_cmp_le_u32_e32 vcc_lo, s64, v33
	s_wait_alu 0xfffd
	s_delay_alu instid0(VALU_DEP_2)
	v_dual_cndmask_b32 v33, v2, v34 :: v_dual_mov_b32 v34, v1
.LBB3_53:                               ;   in Loop: Header=BB3_5 Depth=1
	s_wait_alu 0xfffe
	s_or_b32 exec_lo, exec_lo, s0
	v_or_b32_e32 v2, s65, v44
                                        ; implicit-def: $vgpr37_vgpr38
	s_mov_b32 s0, exec_lo
	s_delay_alu instid0(VALU_DEP_1)
	v_cmpx_ne_u64_e32 0, v[1:2]
	s_wait_alu 0xfffe
	s_xor_b32 s66, exec_lo, s0
	s_cbranch_execz .LBB3_55
; %bb.54:                               ;   in Loop: Header=BB3_5 Depth=1
	s_ashr_i32 s44, s65, 31
	s_wait_alu 0xfffe
	s_mov_b32 s45, s44
	s_wait_alu 0xfffe
	s_add_nc_u64 s[0:1], s[64:65], s[44:45]
	s_wait_alu 0xfffe
	s_xor_b64 s[2:3], s[0:1], s[44:45]
	s_wait_alu 0xfffe
	s_cvt_f32_u32 s0, s2
	s_cvt_f32_u32 s1, s3
	s_sub_nc_u64 s[54:55], 0, s[2:3]
	s_wait_alu 0xfffe
	s_delay_alu instid0(SALU_CYCLE_1) | instskip(SKIP_1) | instid1(SALU_CYCLE_2)
	s_fmamk_f32 s0, s1, 0x4f800000, s0
	s_wait_alu 0xfffe
	v_s_rcp_f32 s0, s0
	s_delay_alu instid0(TRANS32_DEP_1) | instskip(SKIP_1) | instid1(SALU_CYCLE_2)
	s_mul_f32 s0, s0, 0x5f7ffffc
	s_wait_alu 0xfffe
	s_mul_f32 s1, s0, 0x2f800000
	s_wait_alu 0xfffe
	s_delay_alu instid0(SALU_CYCLE_2) | instskip(SKIP_1) | instid1(SALU_CYCLE_2)
	s_trunc_f32 s1, s1
	s_wait_alu 0xfffe
	s_fmamk_f32 s0, s1, 0xcf800000, s0
	s_cvt_u32_f32 s1, s1
	s_wait_alu 0xfffe
	s_delay_alu instid0(SALU_CYCLE_1) | instskip(SKIP_1) | instid1(SALU_CYCLE_2)
	s_cvt_u32_f32 s0, s0
	s_wait_alu 0xfffe
	s_mul_u64 s[58:59], s[54:55], s[0:1]
	s_delay_alu instid0(SALU_CYCLE_1)
	s_mul_hi_u32 s71, s0, s59
	s_mul_i32 s70, s0, s59
	s_mul_hi_u32 s96, s0, s58
	s_mul_i32 s69, s1, s58
	s_add_nc_u64 s[70:71], s[96:97], s[70:71]
	s_mul_hi_u32 s45, s1, s58
	s_mul_hi_u32 vcc_lo, s1, s59
	s_mul_i32 s58, s1, s59
	s_wait_alu 0xfffe
	s_add_co_u32 s59, s70, s69
	s_add_co_ci_u32 s96, s71, s45
	s_add_co_ci_u32 s59, vcc_lo, 0
	v_add_co_u32 v2, vcc_lo, v43, v40
	s_add_nc_u64 s[58:59], s[96:97], s[58:59]
	s_wait_alu 0xfffd
	v_add_co_ci_u32_e64 v37, null, v44, v40, vcc_lo
	s_add_co_u32 s0, s0, s58
	s_cselect_b32 s45, -1, 0
	v_xor_b32_e32 v2, v2, v40
	s_wait_alu 0xfffe
	s_cmp_lg_u32 s45, 0
	v_xor_b32_e32 v39, v37, v40
	s_add_co_ci_u32 s1, s1, s59
	s_wait_alu 0xfffe
	s_mul_u64 s[54:55], s[54:55], s[0:1]
	s_wait_alu 0xfffe
	s_mul_hi_u32 s59, s0, s55
	s_mul_i32 s58, s0, s55
	s_mul_hi_u32 s96, s0, s54
	s_mul_i32 s69, s1, s54
	s_add_nc_u64 s[58:59], s[96:97], s[58:59]
	s_mul_hi_u32 s45, s1, s54
	s_mul_hi_u32 s70, s1, s55
	s_mul_i32 s54, s1, s55
	s_wait_alu 0xfffe
	s_add_co_u32 s55, s58, s69
	s_add_co_ci_u32 s96, s59, s45
	s_add_co_ci_u32 s55, s70, 0
	s_wait_alu 0xfffe
	s_add_nc_u64 s[54:55], s[96:97], s[54:55]
	s_wait_alu 0xfffe
	s_add_co_u32 s0, s0, s54
	s_cselect_b32 s45, -1, 0
	s_wait_alu 0xfffe
	v_mul_hi_u32 v46, v2, s0
	s_cmp_lg_u32 s45, 0
	v_mad_co_u64_u32 v[41:42], null, v39, s0, 0
	s_add_co_ci_u32 s1, s1, s55
	s_wait_alu 0xfffe
	v_mad_co_u64_u32 v[37:38], null, v2, s1, 0
	v_mad_co_u64_u32 v[43:44], null, v39, s1, 0
	s_delay_alu instid0(VALU_DEP_2) | instskip(SKIP_1) | instid1(VALU_DEP_3)
	v_add_co_u32 v37, vcc_lo, v46, v37
	s_wait_alu 0xfffd
	v_add_co_ci_u32_e64 v38, null, 0, v38, vcc_lo
                                        ; implicit-def: $vgpr46
	s_delay_alu instid0(VALU_DEP_2) | instskip(SKIP_1) | instid1(VALU_DEP_2)
	v_add_co_u32 v37, vcc_lo, v37, v41
	s_wait_alu 0xfffd
	v_add_co_ci_u32_e32 v37, vcc_lo, v38, v42, vcc_lo
	s_wait_alu 0xfffd
	v_add_co_ci_u32_e32 v38, vcc_lo, 0, v44, vcc_lo
	s_delay_alu instid0(VALU_DEP_2) | instskip(SKIP_1) | instid1(VALU_DEP_2)
	v_add_co_u32 v41, vcc_lo, v37, v43
	s_wait_alu 0xfffd
	v_add_co_ci_u32_e64 v42, null, 0, v38, vcc_lo
	s_delay_alu instid0(VALU_DEP_2) | instskip(SKIP_1) | instid1(VALU_DEP_3)
	v_mul_lo_u32 v43, s3, v41
	v_mad_co_u64_u32 v[37:38], null, s2, v41, 0
	v_mul_lo_u32 v44, s2, v42
	s_delay_alu instid0(VALU_DEP_2) | instskip(NEXT) | instid1(VALU_DEP_2)
	v_sub_co_u32 v2, vcc_lo, v2, v37
	v_add3_u32 v38, v38, v44, v43
	s_delay_alu instid0(VALU_DEP_2) | instskip(NEXT) | instid1(VALU_DEP_2)
	v_cmp_le_u32_e64 s1, s2, v2
	v_sub_nc_u32_e32 v43, v39, v38
	s_wait_alu 0xfffd
	v_sub_co_ci_u32_e64 v38, null, v39, v38, vcc_lo
	s_delay_alu instid0(VALU_DEP_2) | instskip(SKIP_2) | instid1(VALU_DEP_2)
	v_subrev_co_ci_u32_e64 v37, null, s3, v43, vcc_lo
	v_sub_co_u32 v43, s0, v2, s2
	s_wait_alu 0xf1ff
	v_subrev_co_ci_u32_e64 v37, null, 0, v37, s0
	s_delay_alu instid0(VALU_DEP_2) | instskip(SKIP_2) | instid1(VALU_DEP_4)
	v_cmp_le_u32_e32 vcc_lo, s2, v43
	v_cmp_le_u32_e64 s2, s3, v38
	v_cndmask_b32_e64 v43, 0, -1, s1
	v_cmp_le_u32_e64 s0, s3, v37
	v_cmp_eq_u32_e64 s1, s3, v38
	s_wait_alu 0xfffd
	v_cndmask_b32_e64 v2, 0, -1, vcc_lo
	v_cmp_eq_u32_e32 vcc_lo, s3, v37
	s_wait_alu 0xf1ff
	v_cndmask_b32_e64 v38, 0, -1, s2
	v_cndmask_b32_e64 v37, 0, -1, s0
	v_add_co_u32 v39, s0, v41, 2
	s_delay_alu instid0(VALU_DEP_3) | instskip(SKIP_1) | instid1(VALU_DEP_3)
	v_cndmask_b32_e64 v38, v38, v43, s1
	s_wait_alu 0xfffd
	v_cndmask_b32_e32 v2, v37, v2, vcc_lo
	s_wait_alu 0xf1ff
	v_add_co_ci_u32_e64 v37, null, 0, v42, s0
	v_add_co_u32 v44, vcc_lo, v41, 1
	s_delay_alu instid0(VALU_DEP_3)
	v_cmp_ne_u32_e64 s0, 0, v2
	s_wait_alu 0xfffd
	v_add_co_ci_u32_e64 v2, null, 0, v42, vcc_lo
	v_cmp_ne_u32_e32 vcc_lo, 0, v38
                                        ; implicit-def: $vgpr43
	s_wait_alu 0xf1ff
	v_cndmask_b32_e64 v38, v44, v39, s0
	s_delay_alu instid0(VALU_DEP_3) | instskip(SKIP_2) | instid1(VALU_DEP_3)
	v_cndmask_b32_e64 v2, v2, v37, s0
	v_xor_b32_e32 v39, s44, v40
	s_wait_alu 0xfffd
	v_cndmask_b32_e32 v37, v41, v38, vcc_lo
	s_delay_alu instid0(VALU_DEP_3) | instskip(NEXT) | instid1(VALU_DEP_2)
	v_cndmask_b32_e32 v2, v42, v2, vcc_lo
	v_xor_b32_e32 v37, v37, v39
	s_delay_alu instid0(VALU_DEP_2) | instskip(NEXT) | instid1(VALU_DEP_2)
	v_xor_b32_e32 v2, v2, v39
	v_sub_co_u32 v37, vcc_lo, v37, v39
	s_wait_alu 0xfffd
	s_delay_alu instid0(VALU_DEP_2)
	v_sub_co_ci_u32_e64 v38, null, v2, v39, vcc_lo
.LBB3_55:                               ;   in Loop: Header=BB3_5 Depth=1
	s_wait_alu 0xfffe
	s_and_not1_saveexec_b32 s0, s66
	s_cbranch_execz .LBB3_57
; %bb.56:                               ;   in Loop: Header=BB3_5 Depth=1
	v_rcp_iflag_f32_e32 v2, v46
	s_sub_co_i32 s1, 0, s64
	s_delay_alu instid0(TRANS32_DEP_1) | instskip(NEXT) | instid1(VALU_DEP_1)
	v_mul_f32_e32 v2, 0x4f7ffffe, v2
	v_cvt_u32_f32_e32 v2, v2
	s_wait_alu 0xfffe
	s_delay_alu instid0(VALU_DEP_1) | instskip(NEXT) | instid1(VALU_DEP_1)
	v_mul_lo_u32 v37, s1, v2
	v_mul_hi_u32 v37, v2, v37
	s_delay_alu instid0(VALU_DEP_1) | instskip(NEXT) | instid1(VALU_DEP_1)
	v_add_nc_u32_e32 v2, v2, v37
	v_mul_hi_u32 v2, v43, v2
	s_delay_alu instid0(VALU_DEP_1) | instskip(SKIP_1) | instid1(VALU_DEP_2)
	v_mul_lo_u32 v37, v2, s64
	v_add_nc_u32_e32 v38, 1, v2
	v_sub_nc_u32_e32 v37, v43, v37
	s_delay_alu instid0(VALU_DEP_1) | instskip(SKIP_2) | instid1(VALU_DEP_1)
	v_cmp_le_u32_e32 vcc_lo, s64, v37
	v_subrev_nc_u32_e32 v39, s64, v37
	s_wait_alu 0xfffd
	v_dual_cndmask_b32 v2, v2, v38 :: v_dual_cndmask_b32 v37, v37, v39
	s_delay_alu instid0(VALU_DEP_1) | instskip(NEXT) | instid1(VALU_DEP_2)
	v_add_nc_u32_e32 v38, 1, v2
	v_cmp_le_u32_e32 vcc_lo, s64, v37
	s_wait_alu 0xfffd
	s_delay_alu instid0(VALU_DEP_2)
	v_dual_cndmask_b32 v37, v2, v38 :: v_dual_mov_b32 v38, v1
.LBB3_57:                               ;   in Loop: Header=BB3_5 Depth=1
	s_wait_alu 0xfffe
	s_or_b32 exec_lo, exec_lo, s0
	v_or_b32_e32 v2, s47, v4
                                        ; implicit-def: $vgpr39_vgpr40
	s_mov_b32 s0, exec_lo
	s_delay_alu instid0(VALU_DEP_1)
	v_cmpx_ne_u64_e32 0, v[1:2]
	s_wait_alu 0xfffe
	s_xor_b32 s66, exec_lo, s0
	s_cbranch_execz .LBB3_59
; %bb.58:                               ;   in Loop: Header=BB3_5 Depth=1
	s_ashr_i32 s44, s47, 31
	s_wait_alu 0xfffe
	s_mov_b32 s45, s44
	s_wait_alu 0xfffe
	s_add_nc_u64 s[0:1], s[46:47], s[44:45]
	s_wait_alu 0xfffe
	s_xor_b64 s[2:3], s[0:1], s[44:45]
	s_wait_alu 0xfffe
	s_cvt_f32_u32 s0, s2
	s_cvt_f32_u32 s1, s3
	s_sub_nc_u64 s[54:55], 0, s[2:3]
	s_wait_alu 0xfffe
	s_delay_alu instid0(SALU_CYCLE_1) | instskip(SKIP_1) | instid1(SALU_CYCLE_2)
	s_fmamk_f32 s0, s1, 0x4f800000, s0
	s_wait_alu 0xfffe
	v_s_rcp_f32 s0, s0
	s_delay_alu instid0(TRANS32_DEP_1) | instskip(SKIP_1) | instid1(SALU_CYCLE_2)
	s_mul_f32 s0, s0, 0x5f7ffffc
	s_wait_alu 0xfffe
	s_mul_f32 s1, s0, 0x2f800000
	s_wait_alu 0xfffe
	s_delay_alu instid0(SALU_CYCLE_2) | instskip(SKIP_1) | instid1(SALU_CYCLE_2)
	s_trunc_f32 s1, s1
	s_wait_alu 0xfffe
	s_fmamk_f32 s0, s1, 0xcf800000, s0
	s_cvt_u32_f32 s1, s1
	s_wait_alu 0xfffe
	s_delay_alu instid0(SALU_CYCLE_1) | instskip(SKIP_1) | instid1(SALU_CYCLE_2)
	s_cvt_u32_f32 s0, s0
	s_wait_alu 0xfffe
	s_mul_u64 s[58:59], s[54:55], s[0:1]
	s_delay_alu instid0(SALU_CYCLE_1)
	s_mul_hi_u32 s71, s0, s59
	s_mul_i32 s70, s0, s59
	s_mul_hi_u32 s96, s0, s58
	s_mul_i32 s69, s1, s58
	s_add_nc_u64 s[70:71], s[96:97], s[70:71]
	s_mul_hi_u32 s45, s1, s58
	s_mul_hi_u32 vcc_lo, s1, s59
	s_mul_i32 s58, s1, s59
	s_wait_alu 0xfffe
	s_add_co_u32 s59, s70, s69
	s_add_co_ci_u32 s96, s71, s45
	s_add_co_ci_u32 s59, vcc_lo, 0
	v_add_co_u32 v2, vcc_lo, v3, v45
	s_add_nc_u64 s[58:59], s[96:97], s[58:59]
	s_wait_alu 0xfffd
	v_add_co_ci_u32_e64 v39, null, v4, v45, vcc_lo
	s_add_co_u32 s0, s0, s58
	s_cselect_b32 s45, -1, 0
	v_xor_b32_e32 v2, v2, v45
	s_wait_alu 0xfffe
	s_cmp_lg_u32 s45, 0
	v_xor_b32_e32 v46, v39, v45
	s_add_co_ci_u32 s1, s1, s59
	s_wait_alu 0xfffe
	s_mul_u64 s[54:55], s[54:55], s[0:1]
	s_wait_alu 0xfffe
	s_mul_hi_u32 s59, s0, s55
	s_mul_i32 s58, s0, s55
	s_mul_hi_u32 s96, s0, s54
	s_mul_i32 s69, s1, s54
	s_add_nc_u64 s[58:59], s[96:97], s[58:59]
	s_mul_hi_u32 s45, s1, s54
	s_mul_hi_u32 s70, s1, s55
	s_mul_i32 s54, s1, s55
	s_wait_alu 0xfffe
	s_add_co_u32 s55, s58, s69
	s_add_co_ci_u32 s96, s59, s45
	s_add_co_ci_u32 s55, s70, 0
	s_wait_alu 0xfffe
	s_add_nc_u64 s[54:55], s[96:97], s[54:55]
	s_wait_alu 0xfffe
	s_add_co_u32 s0, s0, s54
	s_cselect_b32 s45, -1, 0
	s_wait_alu 0xfffe
	v_mul_hi_u32 v47, v2, s0
	s_cmp_lg_u32 s45, 0
	v_mad_co_u64_u32 v[41:42], null, v46, s0, 0
	s_add_co_ci_u32 s1, s1, s55
	s_wait_alu 0xfffe
	v_mad_co_u64_u32 v[39:40], null, v2, s1, 0
	v_mad_co_u64_u32 v[43:44], null, v46, s1, 0
	s_delay_alu instid0(VALU_DEP_2) | instskip(SKIP_1) | instid1(VALU_DEP_3)
	v_add_co_u32 v39, vcc_lo, v47, v39
	s_wait_alu 0xfffd
	v_add_co_ci_u32_e64 v40, null, 0, v40, vcc_lo
	s_delay_alu instid0(VALU_DEP_2) | instskip(SKIP_1) | instid1(VALU_DEP_2)
	v_add_co_u32 v39, vcc_lo, v39, v41
	s_wait_alu 0xfffd
	v_add_co_ci_u32_e32 v39, vcc_lo, v40, v42, vcc_lo
	s_wait_alu 0xfffd
	v_add_co_ci_u32_e32 v40, vcc_lo, 0, v44, vcc_lo
	s_delay_alu instid0(VALU_DEP_2) | instskip(SKIP_1) | instid1(VALU_DEP_2)
	v_add_co_u32 v41, vcc_lo, v39, v43
	s_wait_alu 0xfffd
	v_add_co_ci_u32_e64 v42, null, 0, v40, vcc_lo
	s_delay_alu instid0(VALU_DEP_2) | instskip(SKIP_1) | instid1(VALU_DEP_3)
	v_mul_lo_u32 v43, s3, v41
	v_mad_co_u64_u32 v[39:40], null, s2, v41, 0
	v_mul_lo_u32 v44, s2, v42
	s_delay_alu instid0(VALU_DEP_2) | instskip(NEXT) | instid1(VALU_DEP_2)
	v_sub_co_u32 v2, vcc_lo, v2, v39
	v_add3_u32 v40, v40, v44, v43
	s_delay_alu instid0(VALU_DEP_2) | instskip(NEXT) | instid1(VALU_DEP_2)
	v_cmp_le_u32_e64 s1, s2, v2
	v_sub_nc_u32_e32 v43, v46, v40
	s_wait_alu 0xfffd
	v_sub_co_ci_u32_e64 v40, null, v46, v40, vcc_lo
	s_wait_alu 0xf1ff
	v_cndmask_b32_e64 v44, 0, -1, s1
	v_subrev_co_ci_u32_e64 v39, null, s3, v43, vcc_lo
	v_sub_co_u32 v43, s0, v2, s2
	v_cmp_eq_u32_e64 s1, s3, v40
	s_wait_alu 0xf1ff
	s_delay_alu instid0(VALU_DEP_3) | instskip(NEXT) | instid1(VALU_DEP_3)
	v_subrev_co_ci_u32_e64 v39, null, 0, v39, s0
	v_cmp_le_u32_e32 vcc_lo, s2, v43
	v_cmp_le_u32_e64 s2, s3, v40
	s_delay_alu instid0(VALU_DEP_3)
	v_cmp_le_u32_e64 s0, s3, v39
	s_wait_alu 0xfffd
	v_cndmask_b32_e64 v2, 0, -1, vcc_lo
	v_cmp_eq_u32_e32 vcc_lo, s3, v39
	s_wait_alu 0xf1ff
	v_cndmask_b32_e64 v40, 0, -1, s2
	v_cndmask_b32_e64 v39, 0, -1, s0
	v_add_co_u32 v43, s0, v41, 2
	s_delay_alu instid0(VALU_DEP_3) | instskip(SKIP_1) | instid1(VALU_DEP_3)
	v_cndmask_b32_e64 v40, v40, v44, s1
	s_wait_alu 0xfffd
	v_cndmask_b32_e32 v2, v39, v2, vcc_lo
	s_wait_alu 0xf1ff
	v_add_co_ci_u32_e64 v39, null, 0, v42, s0
	v_add_co_u32 v46, vcc_lo, v41, 1
	s_delay_alu instid0(VALU_DEP_3)
	v_cmp_ne_u32_e64 s0, 0, v2
	s_wait_alu 0xfffd
	v_add_co_ci_u32_e64 v2, null, 0, v42, vcc_lo
	v_cmp_ne_u32_e32 vcc_lo, 0, v40
	s_wait_alu 0xf1ff
	v_cndmask_b32_e64 v40, v46, v43, s0
	s_delay_alu instid0(VALU_DEP_3) | instskip(SKIP_2) | instid1(VALU_DEP_2)
	v_cndmask_b32_e64 v2, v2, v39, s0
	v_xor_b32_e32 v43, s44, v45
	s_wait_alu 0xfffd
	v_dual_cndmask_b32 v39, v41, v40 :: v_dual_cndmask_b32 v2, v42, v2
	s_delay_alu instid0(VALU_DEP_1) | instskip(NEXT) | instid1(VALU_DEP_2)
	v_xor_b32_e32 v39, v39, v43
	v_xor_b32_e32 v2, v2, v43
	s_delay_alu instid0(VALU_DEP_2) | instskip(SKIP_1) | instid1(VALU_DEP_2)
	v_sub_co_u32 v39, vcc_lo, v39, v43
	s_wait_alu 0xfffd
	v_sub_co_ci_u32_e64 v40, null, v2, v43, vcc_lo
.LBB3_59:                               ;   in Loop: Header=BB3_5 Depth=1
	s_wait_alu 0xfffe
	s_and_not1_saveexec_b32 s0, s66
	s_cbranch_execz .LBB3_61
; %bb.60:                               ;   in Loop: Header=BB3_5 Depth=1
	v_cvt_f32_u32_e32 v2, s46
	s_sub_co_i32 s1, 0, s46
	s_delay_alu instid0(VALU_DEP_1) | instskip(NEXT) | instid1(TRANS32_DEP_1)
	v_rcp_iflag_f32_e32 v2, v2
	v_mul_f32_e32 v2, 0x4f7ffffe, v2
	s_delay_alu instid0(VALU_DEP_1) | instskip(SKIP_1) | instid1(VALU_DEP_1)
	v_cvt_u32_f32_e32 v2, v2
	s_wait_alu 0xfffe
	v_mul_lo_u32 v39, s1, v2
	s_delay_alu instid0(VALU_DEP_1) | instskip(NEXT) | instid1(VALU_DEP_1)
	v_mul_hi_u32 v39, v2, v39
	v_add_nc_u32_e32 v2, v2, v39
	s_delay_alu instid0(VALU_DEP_1) | instskip(NEXT) | instid1(VALU_DEP_1)
	v_mul_hi_u32 v2, v3, v2
	v_mul_lo_u32 v39, v2, s46
	v_add_nc_u32_e32 v40, 1, v2
	s_delay_alu instid0(VALU_DEP_2) | instskip(NEXT) | instid1(VALU_DEP_1)
	v_sub_nc_u32_e32 v39, v3, v39
	v_cmp_le_u32_e32 vcc_lo, s46, v39
	v_subrev_nc_u32_e32 v41, s46, v39
	s_wait_alu 0xfffd
	s_delay_alu instid0(VALU_DEP_1) | instskip(NEXT) | instid1(VALU_DEP_1)
	v_dual_cndmask_b32 v2, v2, v40 :: v_dual_cndmask_b32 v39, v39, v41
	v_add_nc_u32_e32 v40, 1, v2
	s_delay_alu instid0(VALU_DEP_2) | instskip(SKIP_1) | instid1(VALU_DEP_2)
	v_cmp_le_u32_e32 vcc_lo, s46, v39
	s_wait_alu 0xfffd
	v_dual_cndmask_b32 v39, v2, v40 :: v_dual_mov_b32 v40, v1
.LBB3_61:                               ;   in Loop: Header=BB3_5 Depth=1
	s_wait_alu 0xfffe
	s_or_b32 exec_lo, exec_lo, s0
	s_delay_alu instid0(VALU_DEP_1) | instskip(NEXT) | instid1(VALU_DEP_2)
	v_mad_co_u64_u32 v[41:42], null, s102, v39, v[3:4]
	v_mul_lo_u32 v2, s102, v40
	v_mul_lo_u32 v43, s103, v39
	;; [unrolled: 1-line block ×4, first 2 shown]
	v_mad_co_u64_u32 v[39:40], null, v39, s16, 0
	v_readlane_b32 s0, v70, 0
	v_readlane_b32 s1, v70, 1
	v_add3_u32 v2, v43, v42, v2
	v_mul_lo_u32 v43, v41, s19
	v_mad_co_u64_u32 v[41:42], null, v41, s18, 0
	v_add3_u32 v40, v40, v46, v44
	s_delay_alu instid0(VALU_DEP_4) | instskip(NEXT) | instid1(VALU_DEP_2)
	v_mul_lo_u32 v2, v2, s18
	v_lshlrev_b64_e32 v[39:40], 3, v[39:40]
	s_delay_alu instid0(VALU_DEP_2) | instskip(SKIP_1) | instid1(VALU_DEP_2)
	v_add3_u32 v42, v42, v43, v2
                                        ; implicit-def: $vgpr43_vgpr44
	s_wait_alu 0xf1ff
	v_add_co_u32 v2, vcc_lo, s0, v39
	s_wait_alu 0xfffd
	s_delay_alu instid0(VALU_DEP_3) | instskip(SKIP_2) | instid1(VALU_DEP_1)
	v_add_co_ci_u32_e64 v40, null, s1, v40, vcc_lo
	v_lshlrev_b64_e32 v[41:42], 3, v[41:42]
	s_mov_b32 s0, exec_lo
	v_add_co_u32 v39, vcc_lo, v2, v41
	s_wait_alu 0xfffd
	s_delay_alu instid0(VALU_DEP_2)
	v_add_co_ci_u32_e64 v40, null, v40, v42, vcc_lo
	v_or_b32_e32 v2, s57, v4
	global_load_b64 v[39:40], v[39:40], off
	v_cmpx_ne_u64_e32 0, v[1:2]
	s_wait_alu 0xfffe
	s_xor_b32 s66, exec_lo, s0
	s_cbranch_execz .LBB3_63
; %bb.62:                               ;   in Loop: Header=BB3_5 Depth=1
	s_ashr_i32 s44, s57, 31
	s_wait_alu 0xfffe
	s_mov_b32 s45, s44
	s_wait_alu 0xfffe
	s_add_nc_u64 s[0:1], s[56:57], s[44:45]
	s_wait_alu 0xfffe
	s_xor_b64 s[2:3], s[0:1], s[44:45]
	s_wait_alu 0xfffe
	s_cvt_f32_u32 s0, s2
	s_cvt_f32_u32 s1, s3
	s_sub_nc_u64 s[54:55], 0, s[2:3]
	s_wait_alu 0xfffe
	s_delay_alu instid0(SALU_CYCLE_1) | instskip(SKIP_1) | instid1(SALU_CYCLE_2)
	s_fmamk_f32 s0, s1, 0x4f800000, s0
	s_wait_alu 0xfffe
	v_s_rcp_f32 s0, s0
	s_delay_alu instid0(TRANS32_DEP_1) | instskip(SKIP_1) | instid1(SALU_CYCLE_2)
	s_mul_f32 s0, s0, 0x5f7ffffc
	s_wait_alu 0xfffe
	s_mul_f32 s1, s0, 0x2f800000
	s_wait_alu 0xfffe
	s_delay_alu instid0(SALU_CYCLE_2) | instskip(SKIP_1) | instid1(SALU_CYCLE_2)
	s_trunc_f32 s1, s1
	s_wait_alu 0xfffe
	s_fmamk_f32 s0, s1, 0xcf800000, s0
	s_cvt_u32_f32 s1, s1
	s_wait_alu 0xfffe
	s_delay_alu instid0(SALU_CYCLE_1) | instskip(SKIP_1) | instid1(SALU_CYCLE_2)
	s_cvt_u32_f32 s0, s0
	s_wait_alu 0xfffe
	s_mul_u64 s[58:59], s[54:55], s[0:1]
	s_delay_alu instid0(SALU_CYCLE_1)
	s_mul_hi_u32 s71, s0, s59
	s_mul_i32 s70, s0, s59
	s_mul_hi_u32 s96, s0, s58
	s_mul_i32 s69, s1, s58
	s_add_nc_u64 s[70:71], s[96:97], s[70:71]
	s_mul_hi_u32 s45, s1, s58
	s_mul_hi_u32 vcc_lo, s1, s59
	s_mul_i32 s58, s1, s59
	s_wait_alu 0xfffe
	s_add_co_u32 s59, s70, s69
	s_add_co_ci_u32 s96, s71, s45
	s_add_co_ci_u32 s59, vcc_lo, 0
	v_add_co_u32 v2, vcc_lo, v3, v45
	s_add_nc_u64 s[58:59], s[96:97], s[58:59]
	s_wait_alu 0xfffd
	v_add_co_ci_u32_e64 v41, null, v4, v45, vcc_lo
	s_add_co_u32 s0, s0, s58
	s_cselect_b32 s45, -1, 0
	v_xor_b32_e32 v2, v2, v45
	s_wait_alu 0xfffe
	s_cmp_lg_u32 s45, 0
	v_xor_b32_e32 v48, v41, v45
	s_add_co_ci_u32 s1, s1, s59
	s_wait_alu 0xfffe
	s_mul_u64 s[54:55], s[54:55], s[0:1]
	s_wait_alu 0xfffe
	s_mul_hi_u32 s59, s0, s55
	s_mul_i32 s58, s0, s55
	s_mul_hi_u32 s96, s0, s54
	s_mul_i32 s69, s1, s54
	s_add_nc_u64 s[58:59], s[96:97], s[58:59]
	s_mul_hi_u32 s45, s1, s54
	s_mul_hi_u32 s70, s1, s55
	s_mul_i32 s54, s1, s55
	s_wait_alu 0xfffe
	s_add_co_u32 s55, s58, s69
	s_add_co_ci_u32 s96, s59, s45
	s_add_co_ci_u32 s55, s70, 0
	s_wait_alu 0xfffe
	s_add_nc_u64 s[54:55], s[96:97], s[54:55]
	s_wait_alu 0xfffe
	s_add_co_u32 s0, s0, s54
	s_cselect_b32 s45, -1, 0
	s_wait_alu 0xfffe
	v_mul_hi_u32 v49, v2, s0
	s_cmp_lg_u32 s45, 0
	v_mad_co_u64_u32 v[43:44], null, v48, s0, 0
	s_add_co_ci_u32 s1, s1, s55
	s_wait_alu 0xfffe
	v_mad_co_u64_u32 v[41:42], null, v2, s1, 0
	v_mad_co_u64_u32 v[46:47], null, v48, s1, 0
	s_delay_alu instid0(VALU_DEP_2) | instskip(SKIP_1) | instid1(VALU_DEP_3)
	v_add_co_u32 v41, vcc_lo, v49, v41
	s_wait_alu 0xfffd
	v_add_co_ci_u32_e64 v42, null, 0, v42, vcc_lo
	s_delay_alu instid0(VALU_DEP_2) | instskip(SKIP_1) | instid1(VALU_DEP_2)
	v_add_co_u32 v41, vcc_lo, v41, v43
	s_wait_alu 0xfffd
	v_add_co_ci_u32_e32 v41, vcc_lo, v42, v44, vcc_lo
	s_wait_alu 0xfffd
	v_add_co_ci_u32_e32 v42, vcc_lo, 0, v47, vcc_lo
	s_delay_alu instid0(VALU_DEP_2) | instskip(SKIP_1) | instid1(VALU_DEP_2)
	v_add_co_u32 v43, vcc_lo, v41, v46
	s_wait_alu 0xfffd
	v_add_co_ci_u32_e64 v44, null, 0, v42, vcc_lo
	s_delay_alu instid0(VALU_DEP_2) | instskip(SKIP_1) | instid1(VALU_DEP_3)
	v_mul_lo_u32 v46, s3, v43
	v_mad_co_u64_u32 v[41:42], null, s2, v43, 0
	v_mul_lo_u32 v47, s2, v44
	s_delay_alu instid0(VALU_DEP_2) | instskip(NEXT) | instid1(VALU_DEP_2)
	v_sub_co_u32 v2, vcc_lo, v2, v41
	v_add3_u32 v42, v42, v47, v46
	s_delay_alu instid0(VALU_DEP_2) | instskip(NEXT) | instid1(VALU_DEP_2)
	v_cmp_le_u32_e64 s1, s2, v2
	v_sub_nc_u32_e32 v46, v48, v42
	s_wait_alu 0xfffd
	v_sub_co_ci_u32_e64 v42, null, v48, v42, vcc_lo
	s_wait_alu 0xf1ff
	v_cndmask_b32_e64 v47, 0, -1, s1
	v_subrev_co_ci_u32_e64 v41, null, s3, v46, vcc_lo
	v_sub_co_u32 v46, s0, v2, s2
	v_cmp_eq_u32_e64 s1, s3, v42
	s_wait_alu 0xf1ff
	s_delay_alu instid0(VALU_DEP_3) | instskip(NEXT) | instid1(VALU_DEP_3)
	v_subrev_co_ci_u32_e64 v41, null, 0, v41, s0
	v_cmp_le_u32_e32 vcc_lo, s2, v46
	v_cmp_le_u32_e64 s2, s3, v42
	s_delay_alu instid0(VALU_DEP_3)
	v_cmp_le_u32_e64 s0, s3, v41
	s_wait_alu 0xfffd
	v_cndmask_b32_e64 v2, 0, -1, vcc_lo
	v_cmp_eq_u32_e32 vcc_lo, s3, v41
	s_wait_alu 0xf1ff
	v_cndmask_b32_e64 v42, 0, -1, s2
	v_cndmask_b32_e64 v41, 0, -1, s0
	v_add_co_u32 v46, s0, v43, 2
	s_delay_alu instid0(VALU_DEP_3) | instskip(SKIP_1) | instid1(VALU_DEP_3)
	v_cndmask_b32_e64 v42, v42, v47, s1
	s_wait_alu 0xfffd
	v_cndmask_b32_e32 v2, v41, v2, vcc_lo
	s_wait_alu 0xf1ff
	v_add_co_ci_u32_e64 v41, null, 0, v44, s0
	v_add_co_u32 v48, vcc_lo, v43, 1
	s_delay_alu instid0(VALU_DEP_3)
	v_cmp_ne_u32_e64 s0, 0, v2
	s_wait_alu 0xfffd
	v_add_co_ci_u32_e64 v2, null, 0, v44, vcc_lo
	v_cmp_ne_u32_e32 vcc_lo, 0, v42
	s_wait_alu 0xf1ff
	v_cndmask_b32_e64 v42, v48, v46, s0
	s_delay_alu instid0(VALU_DEP_3) | instskip(SKIP_2) | instid1(VALU_DEP_3)
	v_cndmask_b32_e64 v2, v2, v41, s0
	v_xor_b32_e32 v41, s44, v45
	s_wait_alu 0xfffd
	v_cndmask_b32_e32 v42, v43, v42, vcc_lo
	s_delay_alu instid0(VALU_DEP_3) | instskip(NEXT) | instid1(VALU_DEP_2)
	v_cndmask_b32_e32 v2, v44, v2, vcc_lo
	v_xor_b32_e32 v42, v42, v41
	s_delay_alu instid0(VALU_DEP_2) | instskip(NEXT) | instid1(VALU_DEP_2)
	v_xor_b32_e32 v2, v2, v41
	v_sub_co_u32 v43, vcc_lo, v42, v41
	s_wait_alu 0xfffd
	s_delay_alu instid0(VALU_DEP_2)
	v_sub_co_ci_u32_e64 v44, null, v2, v41, vcc_lo
.LBB3_63:                               ;   in Loop: Header=BB3_5 Depth=1
	s_wait_alu 0xfffe
	s_and_not1_saveexec_b32 s0, s66
	s_cbranch_execz .LBB3_65
; %bb.64:                               ;   in Loop: Header=BB3_5 Depth=1
	v_cvt_f32_u32_e32 v2, s56
	s_sub_co_i32 s1, 0, s56
	v_mov_b32_e32 v44, v1
	s_delay_alu instid0(VALU_DEP_2) | instskip(NEXT) | instid1(TRANS32_DEP_1)
	v_rcp_iflag_f32_e32 v2, v2
	v_mul_f32_e32 v2, 0x4f7ffffe, v2
	s_delay_alu instid0(VALU_DEP_1) | instskip(SKIP_1) | instid1(VALU_DEP_1)
	v_cvt_u32_f32_e32 v2, v2
	s_wait_alu 0xfffe
	v_mul_lo_u32 v41, s1, v2
	s_delay_alu instid0(VALU_DEP_1) | instskip(NEXT) | instid1(VALU_DEP_1)
	v_mul_hi_u32 v41, v2, v41
	v_add_nc_u32_e32 v2, v2, v41
	s_delay_alu instid0(VALU_DEP_1) | instskip(NEXT) | instid1(VALU_DEP_1)
	v_mul_hi_u32 v2, v3, v2
	v_mul_lo_u32 v41, v2, s56
	v_add_nc_u32_e32 v42, 1, v2
	s_delay_alu instid0(VALU_DEP_2) | instskip(NEXT) | instid1(VALU_DEP_1)
	v_sub_nc_u32_e32 v41, v3, v41
	v_cmp_le_u32_e32 vcc_lo, s56, v41
	v_subrev_nc_u32_e32 v43, s56, v41
	s_wait_alu 0xfffd
	s_delay_alu instid0(VALU_DEP_1) | instskip(NEXT) | instid1(VALU_DEP_1)
	v_dual_cndmask_b32 v2, v2, v42 :: v_dual_cndmask_b32 v41, v41, v43
	v_add_nc_u32_e32 v42, 1, v2
	s_delay_alu instid0(VALU_DEP_2) | instskip(SKIP_1) | instid1(VALU_DEP_2)
	v_cmp_le_u32_e32 vcc_lo, s56, v41
	s_wait_alu 0xfffd
	v_cndmask_b32_e32 v43, v2, v42, vcc_lo
.LBB3_65:                               ;   in Loop: Header=BB3_5 Depth=1
	s_wait_alu 0xfffe
	s_or_b32 exec_lo, exec_lo, s0
	v_or_b32_e32 v2, s61, v4
                                        ; implicit-def: $vgpr41_vgpr42
	s_mov_b32 s0, exec_lo
	s_delay_alu instid0(VALU_DEP_1)
	v_cmpx_ne_u64_e32 0, v[1:2]
	s_wait_alu 0xfffe
	s_xor_b32 s66, exec_lo, s0
	s_cbranch_execnz .LBB3_67
; %bb.66:                               ;   in Loop: Header=BB3_5 Depth=1
	s_wait_alu 0xfffe
	s_and_not1_saveexec_b32 s0, s66
	s_cbranch_execz .LBB3_2
	s_branch .LBB3_68
.LBB3_67:                               ;   in Loop: Header=BB3_5 Depth=1
	s_ashr_i32 s44, s61, 31
	s_wait_alu 0xfffe
	s_mov_b32 s45, s44
	s_wait_alu 0xfffe
	s_add_nc_u64 s[0:1], s[60:61], s[44:45]
	s_wait_alu 0xfffe
	s_xor_b64 s[2:3], s[0:1], s[44:45]
	s_wait_alu 0xfffe
	s_cvt_f32_u32 s0, s2
	s_cvt_f32_u32 s1, s3
	s_sub_nc_u64 s[54:55], 0, s[2:3]
	s_wait_alu 0xfffe
	s_delay_alu instid0(SALU_CYCLE_1) | instskip(SKIP_1) | instid1(SALU_CYCLE_2)
	s_fmamk_f32 s0, s1, 0x4f800000, s0
	s_wait_alu 0xfffe
	v_s_rcp_f32 s0, s0
	s_delay_alu instid0(TRANS32_DEP_1) | instskip(SKIP_1) | instid1(SALU_CYCLE_2)
	s_mul_f32 s0, s0, 0x5f7ffffc
	s_wait_alu 0xfffe
	s_mul_f32 s1, s0, 0x2f800000
	s_wait_alu 0xfffe
	s_delay_alu instid0(SALU_CYCLE_2) | instskip(SKIP_1) | instid1(SALU_CYCLE_2)
	s_trunc_f32 s1, s1
	s_wait_alu 0xfffe
	s_fmamk_f32 s0, s1, 0xcf800000, s0
	s_cvt_u32_f32 s1, s1
	s_wait_alu 0xfffe
	s_delay_alu instid0(SALU_CYCLE_1) | instskip(SKIP_1) | instid1(SALU_CYCLE_2)
	s_cvt_u32_f32 s0, s0
	s_wait_alu 0xfffe
	s_mul_u64 s[58:59], s[54:55], s[0:1]
	s_delay_alu instid0(SALU_CYCLE_1)
	s_mul_hi_u32 s71, s0, s59
	s_mul_i32 s70, s0, s59
	s_mul_hi_u32 s96, s0, s58
	s_mul_i32 s69, s1, s58
	s_add_nc_u64 s[70:71], s[96:97], s[70:71]
	s_mul_hi_u32 s45, s1, s58
	s_mul_hi_u32 vcc_lo, s1, s59
	s_mul_i32 s58, s1, s59
	s_wait_alu 0xfffe
	s_add_co_u32 s59, s70, s69
	s_add_co_ci_u32 s96, s71, s45
	s_add_co_ci_u32 s59, vcc_lo, 0
	v_add_co_u32 v2, vcc_lo, v3, v45
	s_add_nc_u64 s[58:59], s[96:97], s[58:59]
	s_wait_alu 0xfffd
	v_add_co_ci_u32_e64 v41, null, v4, v45, vcc_lo
	s_add_co_u32 s0, s0, s58
	s_cselect_b32 s45, -1, 0
	v_xor_b32_e32 v2, v2, v45
	s_wait_alu 0xfffe
	s_cmp_lg_u32 s45, 0
	v_xor_b32_e32 v50, v41, v45
	s_add_co_ci_u32 s1, s1, s59
	v_xor_b32_e32 v45, s44, v45
	s_wait_alu 0xfffe
	s_mul_u64 s[54:55], s[54:55], s[0:1]
	s_wait_alu 0xfffe
	s_mul_hi_u32 s59, s0, s55
	s_mul_i32 s58, s0, s55
	s_mul_hi_u32 s96, s0, s54
	s_mul_i32 s69, s1, s54
	s_add_nc_u64 s[58:59], s[96:97], s[58:59]
	s_mul_hi_u32 s45, s1, s54
	s_mul_hi_u32 s70, s1, s55
	s_mul_i32 s54, s1, s55
	s_wait_alu 0xfffe
	s_add_co_u32 s55, s58, s69
	s_add_co_ci_u32 s96, s59, s45
	s_add_co_ci_u32 s55, s70, 0
	s_wait_alu 0xfffe
	s_add_nc_u64 s[54:55], s[96:97], s[54:55]
	s_wait_alu 0xfffe
	s_add_co_u32 s0, s0, s54
	s_cselect_b32 s45, -1, 0
	s_wait_alu 0xfffe
	v_mul_hi_u32 v51, v2, s0
	s_cmp_lg_u32 s45, 0
	v_mad_co_u64_u32 v[46:47], null, v50, s0, 0
	s_add_co_ci_u32 s1, s1, s55
	s_wait_alu 0xfffe
	v_mad_co_u64_u32 v[41:42], null, v2, s1, 0
	v_mad_co_u64_u32 v[48:49], null, v50, s1, 0
	s_delay_alu instid0(VALU_DEP_2) | instskip(SKIP_1) | instid1(VALU_DEP_3)
	v_add_co_u32 v41, vcc_lo, v51, v41
	s_wait_alu 0xfffd
	v_add_co_ci_u32_e64 v42, null, 0, v42, vcc_lo
	s_delay_alu instid0(VALU_DEP_2) | instskip(SKIP_1) | instid1(VALU_DEP_2)
	v_add_co_u32 v41, vcc_lo, v41, v46
	s_wait_alu 0xfffd
	v_add_co_ci_u32_e32 v41, vcc_lo, v42, v47, vcc_lo
	s_wait_alu 0xfffd
	v_add_co_ci_u32_e32 v42, vcc_lo, 0, v49, vcc_lo
	s_delay_alu instid0(VALU_DEP_2) | instskip(SKIP_1) | instid1(VALU_DEP_2)
	v_add_co_u32 v46, vcc_lo, v41, v48
	s_wait_alu 0xfffd
	v_add_co_ci_u32_e64 v47, null, 0, v42, vcc_lo
	s_delay_alu instid0(VALU_DEP_2) | instskip(SKIP_1) | instid1(VALU_DEP_3)
	v_mul_lo_u32 v48, s3, v46
	v_mad_co_u64_u32 v[41:42], null, s2, v46, 0
	v_mul_lo_u32 v49, s2, v47
	s_delay_alu instid0(VALU_DEP_2) | instskip(NEXT) | instid1(VALU_DEP_2)
	v_sub_co_u32 v2, vcc_lo, v2, v41
	v_add3_u32 v42, v42, v49, v48
	s_delay_alu instid0(VALU_DEP_2) | instskip(NEXT) | instid1(VALU_DEP_2)
	v_cmp_le_u32_e64 s1, s2, v2
	v_sub_nc_u32_e32 v48, v50, v42
	s_wait_alu 0xfffd
	v_sub_co_ci_u32_e64 v42, null, v50, v42, vcc_lo
	s_wait_alu 0xf1ff
	v_cndmask_b32_e64 v49, 0, -1, s1
	v_subrev_co_ci_u32_e64 v41, null, s3, v48, vcc_lo
	v_sub_co_u32 v48, s0, v2, s2
	v_cmp_eq_u32_e64 s1, s3, v42
	s_wait_alu 0xf1ff
	s_delay_alu instid0(VALU_DEP_3) | instskip(NEXT) | instid1(VALU_DEP_3)
	v_subrev_co_ci_u32_e64 v41, null, 0, v41, s0
	v_cmp_le_u32_e32 vcc_lo, s2, v48
	v_cmp_le_u32_e64 s2, s3, v42
	s_delay_alu instid0(VALU_DEP_3)
	v_cmp_le_u32_e64 s0, s3, v41
	s_wait_alu 0xfffd
	v_cndmask_b32_e64 v2, 0, -1, vcc_lo
	v_cmp_eq_u32_e32 vcc_lo, s3, v41
	s_wait_alu 0xf1ff
	v_cndmask_b32_e64 v42, 0, -1, s2
	v_cndmask_b32_e64 v41, 0, -1, s0
	v_add_co_u32 v48, s0, v46, 2
	s_delay_alu instid0(VALU_DEP_3) | instskip(SKIP_1) | instid1(VALU_DEP_3)
	v_cndmask_b32_e64 v42, v42, v49, s1
	s_wait_alu 0xfffd
	v_cndmask_b32_e32 v2, v41, v2, vcc_lo
	s_wait_alu 0xf1ff
	v_add_co_ci_u32_e64 v41, null, 0, v47, s0
	v_add_co_u32 v50, vcc_lo, v46, 1
	s_delay_alu instid0(VALU_DEP_3)
	v_cmp_ne_u32_e64 s0, 0, v2
	s_wait_alu 0xfffd
	v_add_co_ci_u32_e64 v2, null, 0, v47, vcc_lo
	v_cmp_ne_u32_e32 vcc_lo, 0, v42
	s_wait_alu 0xf1ff
	v_cndmask_b32_e64 v42, v50, v48, s0
	s_delay_alu instid0(VALU_DEP_3) | instskip(SKIP_1) | instid1(VALU_DEP_2)
	v_cndmask_b32_e64 v2, v2, v41, s0
	s_wait_alu 0xfffd
	v_cndmask_b32_e32 v41, v46, v42, vcc_lo
	s_delay_alu instid0(VALU_DEP_2) | instskip(NEXT) | instid1(VALU_DEP_2)
	v_cndmask_b32_e32 v2, v47, v2, vcc_lo
	v_xor_b32_e32 v41, v41, v45
	s_delay_alu instid0(VALU_DEP_2) | instskip(NEXT) | instid1(VALU_DEP_2)
	v_xor_b32_e32 v2, v2, v45
	v_sub_co_u32 v41, vcc_lo, v41, v45
	s_wait_alu 0xfffd
	s_delay_alu instid0(VALU_DEP_2)
	v_sub_co_ci_u32_e64 v42, null, v2, v45, vcc_lo
	s_and_not1_saveexec_b32 s0, s66
	s_cbranch_execz .LBB3_2
.LBB3_68:                               ;   in Loop: Header=BB3_5 Depth=1
	v_cvt_f32_u32_e32 v2, s60
	s_sub_co_i32 s1, 0, s60
	s_delay_alu instid0(VALU_DEP_1) | instskip(NEXT) | instid1(TRANS32_DEP_1)
	v_rcp_iflag_f32_e32 v2, v2
	v_mul_f32_e32 v2, 0x4f7ffffe, v2
	s_delay_alu instid0(VALU_DEP_1) | instskip(SKIP_1) | instid1(VALU_DEP_1)
	v_cvt_u32_f32_e32 v2, v2
	s_wait_alu 0xfffe
	v_mul_lo_u32 v41, s1, v2
	s_delay_alu instid0(VALU_DEP_1) | instskip(NEXT) | instid1(VALU_DEP_1)
	v_mul_hi_u32 v41, v2, v41
	v_add_nc_u32_e32 v2, v2, v41
	s_delay_alu instid0(VALU_DEP_1) | instskip(NEXT) | instid1(VALU_DEP_1)
	v_mul_hi_u32 v2, v3, v2
	v_mul_lo_u32 v41, v2, s60
	v_add_nc_u32_e32 v42, 1, v2
	s_delay_alu instid0(VALU_DEP_2) | instskip(NEXT) | instid1(VALU_DEP_1)
	v_sub_nc_u32_e32 v41, v3, v41
	v_cmp_le_u32_e32 vcc_lo, s60, v41
	v_subrev_nc_u32_e32 v45, s60, v41
	s_wait_alu 0xfffd
	s_delay_alu instid0(VALU_DEP_1) | instskip(NEXT) | instid1(VALU_DEP_1)
	v_dual_cndmask_b32 v2, v2, v42 :: v_dual_cndmask_b32 v41, v41, v45
	v_add_nc_u32_e32 v42, 1, v2
	s_delay_alu instid0(VALU_DEP_2) | instskip(SKIP_1) | instid1(VALU_DEP_2)
	v_cmp_le_u32_e32 vcc_lo, s60, v41
	s_wait_alu 0xfffd
	v_dual_cndmask_b32 v41, v2, v42 :: v_dual_mov_b32 v42, v1
	s_branch .LBB3_2
.LBB3_69:                               ;   in Loop: Header=BB3_5 Depth=1
	v_mov_b32_e32 v49, 0
	v_mov_b32_e32 v17, 0
	;; [unrolled: 1-line block ×3, first 2 shown]
	v_dual_mov_b32 v51, 0 :: v_dual_mov_b32 v50, 0
	v_dual_mov_b32 v47, 0 :: v_dual_mov_b32 v18, 0
	;; [unrolled: 1-line block ×5, first 2 shown]
	v_mov_b32_e32 v60, 0
	v_mov_b32_e32 v54, 0
	;; [unrolled: 1-line block ×3, first 2 shown]
	s_branch .LBB3_4
.LBB3_70:
	s_endpgm
	.section	.rodata,"a",@progbits
	.p2align	6, 0x0
	.amdhsa_kernel _ZN2at6native12_GLOBAL__N_16kernel17lstm_cell_forwardIddlLi2EEEvNS_4cuda6detail10TensorInfoIT_T1_EES9_S9_S9_S9_S9_S9_S9_S8_S8_
		.amdhsa_group_segment_fixed_size 0
		.amdhsa_private_segment_fixed_size 0
		.amdhsa_kernarg_size 3600
		.amdhsa_user_sgpr_count 2
		.amdhsa_user_sgpr_dispatch_ptr 0
		.amdhsa_user_sgpr_queue_ptr 0
		.amdhsa_user_sgpr_kernarg_segment_ptr 1
		.amdhsa_user_sgpr_dispatch_id 0
		.amdhsa_user_sgpr_private_segment_size 0
		.amdhsa_wavefront_size32 1
		.amdhsa_uses_dynamic_stack 0
		.amdhsa_enable_private_segment 0
		.amdhsa_system_sgpr_workgroup_id_x 1
		.amdhsa_system_sgpr_workgroup_id_y 0
		.amdhsa_system_sgpr_workgroup_id_z 0
		.amdhsa_system_sgpr_workgroup_info 0
		.amdhsa_system_vgpr_workitem_id 0
		.amdhsa_next_free_vgpr 71
		.amdhsa_next_free_sgpr 105
		.amdhsa_reserve_vcc 1
		.amdhsa_float_round_mode_32 0
		.amdhsa_float_round_mode_16_64 0
		.amdhsa_float_denorm_mode_32 3
		.amdhsa_float_denorm_mode_16_64 3
		.amdhsa_fp16_overflow 0
		.amdhsa_workgroup_processor_mode 1
		.amdhsa_memory_ordered 1
		.amdhsa_forward_progress 1
		.amdhsa_inst_pref_size 190
		.amdhsa_round_robin_scheduling 0
		.amdhsa_exception_fp_ieee_invalid_op 0
		.amdhsa_exception_fp_denorm_src 0
		.amdhsa_exception_fp_ieee_div_zero 0
		.amdhsa_exception_fp_ieee_overflow 0
		.amdhsa_exception_fp_ieee_underflow 0
		.amdhsa_exception_fp_ieee_inexact 0
		.amdhsa_exception_int_div_zero 0
	.end_amdhsa_kernel
	.section	.text._ZN2at6native12_GLOBAL__N_16kernel17lstm_cell_forwardIddlLi2EEEvNS_4cuda6detail10TensorInfoIT_T1_EES9_S9_S9_S9_S9_S9_S9_S8_S8_,"axG",@progbits,_ZN2at6native12_GLOBAL__N_16kernel17lstm_cell_forwardIddlLi2EEEvNS_4cuda6detail10TensorInfoIT_T1_EES9_S9_S9_S9_S9_S9_S9_S8_S8_,comdat
.Lfunc_end3:
	.size	_ZN2at6native12_GLOBAL__N_16kernel17lstm_cell_forwardIddlLi2EEEvNS_4cuda6detail10TensorInfoIT_T1_EES9_S9_S9_S9_S9_S9_S9_S8_S8_, .Lfunc_end3-_ZN2at6native12_GLOBAL__N_16kernel17lstm_cell_forwardIddlLi2EEEvNS_4cuda6detail10TensorInfoIT_T1_EES9_S9_S9_S9_S9_S9_S9_S8_S8_
                                        ; -- End function
	.set _ZN2at6native12_GLOBAL__N_16kernel17lstm_cell_forwardIddlLi2EEEvNS_4cuda6detail10TensorInfoIT_T1_EES9_S9_S9_S9_S9_S9_S9_S8_S8_.num_vgpr, 71
	.set _ZN2at6native12_GLOBAL__N_16kernel17lstm_cell_forwardIddlLi2EEEvNS_4cuda6detail10TensorInfoIT_T1_EES9_S9_S9_S9_S9_S9_S9_S8_S8_.num_agpr, 0
	.set _ZN2at6native12_GLOBAL__N_16kernel17lstm_cell_forwardIddlLi2EEEvNS_4cuda6detail10TensorInfoIT_T1_EES9_S9_S9_S9_S9_S9_S9_S8_S8_.numbered_sgpr, 105
	.set _ZN2at6native12_GLOBAL__N_16kernel17lstm_cell_forwardIddlLi2EEEvNS_4cuda6detail10TensorInfoIT_T1_EES9_S9_S9_S9_S9_S9_S9_S8_S8_.num_named_barrier, 0
	.set _ZN2at6native12_GLOBAL__N_16kernel17lstm_cell_forwardIddlLi2EEEvNS_4cuda6detail10TensorInfoIT_T1_EES9_S9_S9_S9_S9_S9_S9_S8_S8_.private_seg_size, 0
	.set _ZN2at6native12_GLOBAL__N_16kernel17lstm_cell_forwardIddlLi2EEEvNS_4cuda6detail10TensorInfoIT_T1_EES9_S9_S9_S9_S9_S9_S9_S8_S8_.uses_vcc, 1
	.set _ZN2at6native12_GLOBAL__N_16kernel17lstm_cell_forwardIddlLi2EEEvNS_4cuda6detail10TensorInfoIT_T1_EES9_S9_S9_S9_S9_S9_S9_S8_S8_.uses_flat_scratch, 0
	.set _ZN2at6native12_GLOBAL__N_16kernel17lstm_cell_forwardIddlLi2EEEvNS_4cuda6detail10TensorInfoIT_T1_EES9_S9_S9_S9_S9_S9_S9_S8_S8_.has_dyn_sized_stack, 0
	.set _ZN2at6native12_GLOBAL__N_16kernel17lstm_cell_forwardIddlLi2EEEvNS_4cuda6detail10TensorInfoIT_T1_EES9_S9_S9_S9_S9_S9_S9_S8_S8_.has_recursion, 0
	.set _ZN2at6native12_GLOBAL__N_16kernel17lstm_cell_forwardIddlLi2EEEvNS_4cuda6detail10TensorInfoIT_T1_EES9_S9_S9_S9_S9_S9_S9_S8_S8_.has_indirect_call, 0
	.section	.AMDGPU.csdata,"",@progbits
; Kernel info:
; codeLenInByte = 24244
; TotalNumSgprs: 107
; NumVgprs: 71
; ScratchSize: 0
; MemoryBound: 0
; FloatMode: 240
; IeeeMode: 1
; LDSByteSize: 0 bytes/workgroup (compile time only)
; SGPRBlocks: 0
; VGPRBlocks: 8
; NumSGPRsForWavesPerEU: 107
; NumVGPRsForWavesPerEU: 71
; Occupancy: 16
; WaveLimiterHint : 1
; COMPUTE_PGM_RSRC2:SCRATCH_EN: 0
; COMPUTE_PGM_RSRC2:USER_SGPR: 2
; COMPUTE_PGM_RSRC2:TRAP_HANDLER: 0
; COMPUTE_PGM_RSRC2:TGID_X_EN: 1
; COMPUTE_PGM_RSRC2:TGID_Y_EN: 0
; COMPUTE_PGM_RSRC2:TGID_Z_EN: 0
; COMPUTE_PGM_RSRC2:TIDIG_COMP_CNT: 0
	.section	.text._ZN2at6native12_GLOBAL__N_16kernel17lstm_cell_forwardIffiLi1EEEvNS_4cuda6detail10TensorInfoIT_T1_EES9_S9_S9_S9_S9_S9_S9_S8_S8_,"axG",@progbits,_ZN2at6native12_GLOBAL__N_16kernel17lstm_cell_forwardIffiLi1EEEvNS_4cuda6detail10TensorInfoIT_T1_EES9_S9_S9_S9_S9_S9_S9_S8_S8_,comdat
	.globl	_ZN2at6native12_GLOBAL__N_16kernel17lstm_cell_forwardIffiLi1EEEvNS_4cuda6detail10TensorInfoIT_T1_EES9_S9_S9_S9_S9_S9_S9_S8_S8_ ; -- Begin function _ZN2at6native12_GLOBAL__N_16kernel17lstm_cell_forwardIffiLi1EEEvNS_4cuda6detail10TensorInfoIT_T1_EES9_S9_S9_S9_S9_S9_S9_S8_S8_
	.p2align	8
	.type	_ZN2at6native12_GLOBAL__N_16kernel17lstm_cell_forwardIffiLi1EEEvNS_4cuda6detail10TensorInfoIT_T1_EES9_S9_S9_S9_S9_S9_S9_S8_S8_,@function
_ZN2at6native12_GLOBAL__N_16kernel17lstm_cell_forwardIffiLi1EEEvNS_4cuda6detail10TensorInfoIT_T1_EES9_S9_S9_S9_S9_S9_S9_S8_S8_: ; @_ZN2at6native12_GLOBAL__N_16kernel17lstm_cell_forwardIffiLi1EEEvNS_4cuda6detail10TensorInfoIT_T1_EES9_S9_S9_S9_S9_S9_S9_S8_S8_
; %bb.0:
	s_clause 0x1
	s_load_b32 s4, s[0:1], 0x6d4
	s_load_b64 s[2:3], s[0:1], 0x6c0
	s_wait_kmcnt 0x0
	s_and_b32 s28, s4, 0xffff
	s_mov_b32 s4, exec_lo
	v_mad_co_u64_u32 v[0:1], null, ttmp9, s28, v[0:1]
	s_delay_alu instid0(VALU_DEP_1)
	v_cmpx_gt_i32_e64 s3, v0
	s_cbranch_execz .LBB4_14
; %bb.1:
	s_clause 0x1
	s_load_b64 s[4:5], s[0:1], 0x1b0
	s_load_b32 s34, s[0:1], 0x57c
	s_add_nc_u64 s[8:9], s[0:1], 0x6c8
	s_clause 0x4
	s_load_b32 s20, s[0:1], 0x21c
	s_load_b64 s[6:7], s[0:1], 0x288
	s_load_b32 s21, s[0:1], 0x2f4
	s_load_b32 s31, s[0:1], 0x3cc
	;; [unrolled: 1-line block ×4, first 2 shown]
	s_mov_b32 s26, 0
	s_mul_i32 s27, s2, 3
	s_mov_b32 s36, 0xbbbac73d
	s_wait_kmcnt 0x0
	s_cmp_lg_u64 s[4:5], 0
	v_mul_lo_u32 v5, v0, s34
	s_cselect_b32 s22, -1, 0
	s_abs_i32 s23, s2
	v_mul_lo_u32 v3, v0, s33
	s_cvt_f32_u32 s10, s23
	s_sub_co_i32 s35, 0, s23
	s_mul_i32 s28, s29, s28
	s_ashr_i32 s29, s2, 31
	v_rcp_iflag_f32_e32 v1, s10
	s_clause 0x8
	s_load_b64 s[8:9], s[0:1], 0x360
	s_load_b64 s[10:11], s[0:1], 0x438
	s_load_b64 s[12:13], s[0:1], 0x0
	s_load_b32 s24, s[0:1], 0x6c
	s_load_b64 s[14:15], s[0:1], 0xd8
	s_load_b32 s25, s[0:1], 0x144
	s_load_b64 s[16:17], s[0:1], 0x510
	s_load_b64 s[18:19], s[0:1], 0x5e8
	s_load_b32 s1, s[0:1], 0x654
	s_sub_co_i32 s30, 0, s2
	s_mul_i32 s33, s28, s33
	s_mul_i32 s34, s28, s34
	v_readfirstlane_b32 s0, v1
	v_mul_lo_u32 v1, v0, s31
	s_mul_i32 s31, s28, s31
	s_mul_f32 s0, s0, 0x4f7ffffe
	s_wait_alu 0xfffe
	s_delay_alu instid0(SALU_CYCLE_2) | instskip(SKIP_1) | instid1(SALU_CYCLE_2)
	s_cvt_u32_f32 s0, s0
	s_wait_alu 0xfffe
	s_mul_i32 s35, s35, s0
	s_wait_alu 0xfffe
	s_mul_hi_u32 s35, s0, s35
	s_wait_alu 0xfffe
	s_add_co_i32 s35, s0, s35
	s_branch .LBB4_3
.LBB4_2:                                ;   in Loop: Header=BB4_3 Depth=1
	s_wait_alu 0xfffe
	s_or_b32 exec_lo, exec_lo, s0
	v_add_f32_e32 v4, v4, v7
	v_bfi_b32 v25, 0x7fffffff, v9, v16
	v_mul_lo_u32 v19, v6, s1
	v_ashrrev_i32_e32 v6, 31, v5
	v_add_nc_u32_e32 v0, s28, v0
	v_add_f32_e32 v4, v4, v13
	v_mul_lo_u32 v17, v8, s1
	v_add_nc_u32_e32 v1, s31, v1
	v_lshlrev_b64_e32 v[21:22], 2, v[5:6]
	s_delay_alu instid0(VALU_DEP_4) | instskip(SKIP_2) | instid1(VALU_DEP_3)
	v_dual_add_f32 v4, v14, v4 :: v_dual_add_nc_u32 v5, s34, v5
	v_ashrrev_i32_e32 v20, 31, v19
	v_ashrrev_i32_e32 v18, 31, v17
	v_mul_f32_e32 v7, 0xbfb8aa3b, v4
	s_delay_alu instid0(VALU_DEP_3) | instskip(NEXT) | instid1(VALU_DEP_3)
	v_lshlrev_b64_e32 v[19:20], 2, v[19:20]
	v_lshlrev_b64_e32 v[17:18], 2, v[17:18]
	s_delay_alu instid0(VALU_DEP_3) | instskip(SKIP_1) | instid1(VALU_DEP_2)
	v_fma_f32 v13, 0xbfb8aa3b, v4, -v7
	v_rndne_f32_e32 v14, v7
	v_fmac_f32_e32 v13, 0xb2a5705f, v4
	s_delay_alu instid0(VALU_DEP_2) | instskip(NEXT) | instid1(VALU_DEP_1)
	v_sub_f32_e32 v7, v7, v14
	v_add_f32_e32 v7, v7, v13
	v_cvt_i32_f32_e32 v13, v14
	v_cmp_nlt_f32_e32 vcc_lo, 0x42ce8ed0, v4
	s_delay_alu instid0(VALU_DEP_3) | instskip(NEXT) | instid1(TRANS32_DEP_1)
	v_exp_f32_e32 v7, v7
	v_ldexp_f32 v7, v7, v13
	v_mul_lo_u32 v13, v2, s1
	s_wait_alu 0xfffd
	s_delay_alu instid0(VALU_DEP_2) | instskip(SKIP_1) | instid1(VALU_DEP_3)
	v_cndmask_b32_e32 v7, 0, v7, vcc_lo
	v_cmp_ngt_f32_e32 vcc_lo, 0xc2b17218, v4
	v_ashrrev_i32_e32 v14, 31, v13
	s_wait_alu 0xfffd
	s_delay_alu instid0(VALU_DEP_3) | instskip(SKIP_3) | instid1(VALU_DEP_4)
	v_cndmask_b32_e32 v4, 0x7f800000, v7, vcc_lo
	v_mul_lo_u32 v7, v10, s1
	v_cmp_le_i32_e32 vcc_lo, s3, v0
	v_lshlrev_b64_e32 v[13:14], 2, v[13:14]
	v_add_f32_e32 v23, 1.0, v4
	v_ashrrev_i32_e32 v4, 31, v3
	s_or_b32 s26, vcc_lo, s26
	v_ashrrev_i32_e32 v8, 31, v7
	s_delay_alu instid0(VALU_DEP_3) | instskip(NEXT) | instid1(VALU_DEP_3)
	v_div_scale_f32 v24, null, v23, v23, 1.0
	v_lshlrev_b64_e32 v[9:10], 2, v[3:4]
	v_div_scale_f32 v26, s0, 1.0, v23, 1.0
	s_delay_alu instid0(VALU_DEP_3) | instskip(NEXT) | instid1(VALU_DEP_2)
	v_rcp_f32_e32 v2, v24
	v_add_co_u32 v9, vcc_lo, s10, v9
	s_wait_alu 0xfffd
	s_delay_alu instid0(VALU_DEP_3) | instskip(SKIP_3) | instid1(TRANS32_DEP_1)
	v_add_co_ci_u32_e64 v10, null, s11, v10, vcc_lo
	v_add_co_u32 v21, vcc_lo, s16, v21
	s_wait_alu 0xfffd
	v_add_co_ci_u32_e64 v22, null, s17, v22, vcc_lo
	v_fma_f32 v4, -v24, v2, 1.0
	s_delay_alu instid0(VALU_DEP_1) | instskip(NEXT) | instid1(VALU_DEP_1)
	v_fmac_f32_e32 v2, v4, v2
	v_mul_f32_e32 v4, v26, v2
	s_delay_alu instid0(VALU_DEP_1) | instskip(NEXT) | instid1(VALU_DEP_1)
	v_fma_f32 v6, -v24, v4, v26
	v_fmac_f32_e32 v4, v6, v2
	v_lshlrev_b64_e32 v[6:7], 2, v[7:8]
	s_delay_alu instid0(VALU_DEP_2) | instskip(NEXT) | instid1(VALU_DEP_2)
	v_fma_f32 v8, -v24, v4, v26
	v_add_co_u32 v6, vcc_lo, s18, v6
	s_wait_alu 0xfffd
	s_delay_alu instid0(VALU_DEP_3)
	v_add_co_ci_u32_e64 v7, null, s19, v7, vcc_lo
	s_mov_b32 vcc_lo, s0
	s_wait_alu 0xfffe
	v_div_fmas_f32 v2, v8, v2, v4
	v_add_co_u32 v13, vcc_lo, s18, v13
	s_wait_alu 0xfffd
	v_add_co_ci_u32_e64 v14, null, s19, v14, vcc_lo
	s_delay_alu instid0(VALU_DEP_3)
	v_div_fixup_f32 v2, v2, v23, 1.0
	v_add_nc_u32_e32 v3, s33, v3
	v_add_co_u32 v17, vcc_lo, s18, v17
	s_wait_alu 0xfffd
	v_add_co_ci_u32_e64 v18, null, s19, v18, vcc_lo
	v_mul_f32_e32 v4, v2, v25
	v_add_co_u32 v19, vcc_lo, s18, v19
	s_wait_alu 0xfffd
	v_add_co_ci_u32_e64 v20, null, s19, v20, vcc_lo
	global_store_b32 v[9:10], v4, off
	global_store_b32 v[21:22], v16, off
	s_clause 0x3
	global_store_b32 v[6:7], v11, off
	global_store_b32 v[13:14], v15, off
	;; [unrolled: 1-line block ×4, first 2 shown]
	s_and_not1_b32 exec_lo, exec_lo, s26
	s_cbranch_execz .LBB4_14
.LBB4_3:                                ; =>This Inner Loop Header: Depth=1
	v_sub_nc_u32_e32 v2, 0, v0
	s_delay_alu instid0(VALU_DEP_1) | instskip(SKIP_1) | instid1(VALU_DEP_1)
	v_max_i32_e32 v2, v0, v2
	s_wait_alu 0xfffe
	v_mul_hi_u32 v4, v2, s35
	s_delay_alu instid0(VALU_DEP_1) | instskip(NEXT) | instid1(VALU_DEP_1)
	v_mul_lo_u32 v6, v4, s23
	v_sub_nc_u32_e32 v2, v2, v6
	v_add_nc_u32_e32 v6, 1, v4
	s_delay_alu instid0(VALU_DEP_2) | instskip(SKIP_2) | instid1(VALU_DEP_3)
	v_subrev_nc_u32_e32 v7, s23, v2
	v_cmp_le_u32_e32 vcc_lo, s23, v2
	s_wait_alu 0xfffd
	v_cndmask_b32_e32 v4, v4, v6, vcc_lo
	s_delay_alu instid0(VALU_DEP_3) | instskip(SKIP_1) | instid1(VALU_DEP_3)
	v_cndmask_b32_e32 v2, v2, v7, vcc_lo
	v_ashrrev_i32_e32 v6, 31, v0
	v_add_nc_u32_e32 v7, 1, v4
	s_delay_alu instid0(VALU_DEP_3) | instskip(NEXT) | instid1(VALU_DEP_3)
	v_cmp_le_u32_e32 vcc_lo, s23, v2
	v_xor_b32_e32 v13, s29, v6
	s_wait_alu 0xfffd
	s_delay_alu instid0(VALU_DEP_3) | instskip(NEXT) | instid1(VALU_DEP_2)
	v_cndmask_b32_e32 v2, v4, v7, vcc_lo
	v_mul_i32_i24_e32 v4, 3, v13
	s_delay_alu instid0(VALU_DEP_2) | instskip(SKIP_1) | instid1(VALU_DEP_2)
	v_xor_b32_e32 v14, v2, v13
	v_ashrrev_i32_e32 v2, 31, v1
	v_lshl_add_u32 v6, v14, 1, v14
	v_sub_nc_u32_e32 v19, v14, v13
	s_delay_alu instid0(VALU_DEP_2) | instskip(NEXT) | instid1(VALU_DEP_2)
	v_sub_nc_u32_e32 v4, v6, v4
	v_mad_co_u64_u32 v[10:11], null, s27, v19, v[0:1]
	v_lshlrev_b64_e32 v[11:12], 2, v[1:2]
	s_delay_alu instid0(VALU_DEP_3)
	v_mul_lo_u32 v2, s2, v4
	v_add_nc_u32_e32 v6, 2, v4
	v_add_nc_u32_e32 v4, 3, v4
	s_wait_kmcnt 0x0
	v_mul_lo_u32 v15, v10, s24
	v_mul_lo_u32 v17, v10, s25
	v_mad_co_u64_u32 v[8:9], null, s2, v6, v[0:1]
	v_add3_u32 v2, v2, s2, v0
	v_mad_co_u64_u32 v[6:7], null, s2, v4, v[0:1]
	v_add_co_u32 v20, vcc_lo, s8, v11
	v_ashrrev_i32_e32 v16, 31, v15
	s_delay_alu instid0(VALU_DEP_4)
	v_mul_lo_u32 v11, v2, s24
	v_ashrrev_i32_e32 v18, 31, v17
	v_mul_lo_u32 v22, v8, s24
	v_mul_lo_u32 v24, v6, s24
	v_lshlrev_b64_e32 v[15:16], 2, v[15:16]
	v_mul_lo_u32 v26, v2, s25
	v_lshlrev_b64_e32 v[17:18], 2, v[17:18]
	s_wait_alu 0xfffd
	v_add_co_ci_u32_e64 v21, null, s9, v12, vcc_lo
	v_mul_lo_u32 v28, v8, s25
	v_ashrrev_i32_e32 v12, 31, v11
	v_mul_lo_u32 v30, v6, s25
	v_ashrrev_i32_e32 v23, 31, v22
	v_add_co_u32 v15, vcc_lo, s12, v15
	v_ashrrev_i32_e32 v25, 31, v24
	s_wait_alu 0xfffd
	v_add_co_ci_u32_e64 v16, null, s13, v16, vcc_lo
	v_add_co_u32 v32, vcc_lo, s14, v17
	v_lshlrev_b64_e32 v[11:12], 2, v[11:12]
	v_ashrrev_i32_e32 v27, 31, v26
	s_wait_alu 0xfffd
	v_add_co_ci_u32_e64 v33, null, s15, v18, vcc_lo
	v_lshlrev_b64_e32 v[17:18], 2, v[22:23]
	v_ashrrev_i32_e32 v29, 31, v28
	v_lshlrev_b64_e32 v[22:23], 2, v[24:25]
	v_ashrrev_i32_e32 v31, 31, v30
	v_lshlrev_b64_e32 v[24:25], 2, v[26:27]
	v_add_co_u32 v11, vcc_lo, s12, v11
	v_lshlrev_b64_e32 v[26:27], 2, v[28:29]
	s_wait_alu 0xfffd
	v_add_co_ci_u32_e64 v12, null, s13, v12, vcc_lo
	v_add_co_u32 v17, vcc_lo, s12, v17
	v_lshlrev_b64_e32 v[28:29], 2, v[30:31]
	s_wait_alu 0xfffd
	v_add_co_ci_u32_e64 v18, null, s13, v18, vcc_lo
	v_add_co_u32 v22, vcc_lo, s12, v22
	s_wait_alu 0xfffd
	v_add_co_ci_u32_e64 v23, null, s13, v23, vcc_lo
	v_add_co_u32 v24, vcc_lo, s14, v24
	;; [unrolled: 3-line block ×4, first 2 shown]
	s_wait_alu 0xfffd
	v_add_co_ci_u32_e64 v29, null, s15, v29, vcc_lo
	s_clause 0x3
	global_load_b32 v15, v[15:16], off
	global_load_b32 v11, v[11:12], off
	;; [unrolled: 1-line block ×4, first 2 shown]
	s_clause 0x3
	global_load_b32 v16, v[32:33], off
	global_load_b32 v12, v[24:25], off
	;; [unrolled: 1-line block ×5, first 2 shown]
	s_and_not1_b32 vcc_lo, exec_lo, s22
	s_wait_alu 0xfffe
	s_cbranch_vccnz .LBB4_5
; %bb.4:                                ;   in Loop: Header=BB4_3 Depth=1
	v_sub_nc_u32_e32 v20, v13, v14
	v_mad_co_u64_u32 v[13:14], null, s30, v19, v[0:1]
	s_delay_alu instid0(VALU_DEP_2) | instskip(SKIP_2) | instid1(VALU_DEP_4)
	v_mul_lo_u32 v14, s2, v20
	v_add_nc_u32_e32 v21, 2, v20
	v_add_nc_u32_e32 v20, 3, v20
	v_mul_lo_u32 v19, v13, s20
	v_mul_lo_u32 v13, v13, s21
	s_delay_alu instid0(VALU_DEP_4) | instskip(SKIP_3) | instid1(VALU_DEP_3)
	v_mad_co_u64_u32 v[21:22], null, s2, v21, v[0:1]
	v_add3_u32 v26, v14, s2, v0
	v_mad_co_u64_u32 v[22:23], null, s2, v20, v[0:1]
	v_ashrrev_i32_e32 v20, 31, v19
	v_mul_lo_u32 v23, v26, s20
	v_mul_lo_u32 v25, v21, s20
	;; [unrolled: 1-line block ×3, first 2 shown]
	v_ashrrev_i32_e32 v14, 31, v13
	v_mul_lo_u32 v27, v22, s20
	v_lshlrev_b64_e32 v[19:20], 2, v[19:20]
	v_mul_lo_u32 v21, v21, s21
	v_mul_lo_u32 v31, v22, s21
	v_ashrrev_i32_e32 v24, 31, v23
	v_ashrrev_i32_e32 v26, 31, v25
	v_lshlrev_b64_e32 v[13:14], 2, v[13:14]
	v_add_co_u32 v19, vcc_lo, s4, v19
	v_ashrrev_i32_e32 v28, 31, v27
	v_lshlrev_b64_e32 v[23:24], 2, v[23:24]
	v_lshlrev_b64_e32 v[25:26], 2, v[25:26]
	s_wait_alu 0xfffd
	v_add_co_ci_u32_e64 v20, null, s5, v20, vcc_lo
	v_lshlrev_b64_e32 v[27:28], 2, v[27:28]
	v_ashrrev_i32_e32 v30, 31, v29
	v_add_co_u32 v23, vcc_lo, s4, v23
	s_wait_alu 0xfffd
	v_add_co_ci_u32_e64 v24, null, s5, v24, vcc_lo
	v_add_co_u32 v25, vcc_lo, s4, v25
	v_ashrrev_i32_e32 v22, 31, v21
	s_wait_alu 0xfffd
	v_add_co_ci_u32_e64 v26, null, s5, v26, vcc_lo
	v_add_co_u32 v27, vcc_lo, s4, v27
	v_ashrrev_i32_e32 v32, 31, v31
	s_wait_alu 0xfffd
	v_add_co_ci_u32_e64 v28, null, s5, v28, vcc_lo
	v_lshlrev_b64_e32 v[29:30], 2, v[29:30]
	v_add_co_u32 v33, vcc_lo, s6, v13
	s_wait_alu 0xfffd
	v_add_co_ci_u32_e64 v34, null, s7, v14, vcc_lo
	v_lshlrev_b64_e32 v[13:14], 2, v[21:22]
	v_lshlrev_b64_e32 v[21:22], 2, v[31:32]
	v_add_co_u32 v29, vcc_lo, s6, v29
	s_wait_alu 0xfffd
	v_add_co_ci_u32_e64 v30, null, s7, v30, vcc_lo
	s_delay_alu instid0(VALU_DEP_4)
	v_add_co_u32 v31, vcc_lo, s6, v13
	s_wait_alu 0xfffd
	v_add_co_ci_u32_e64 v32, null, s7, v14, vcc_lo
	v_add_co_u32 v35, vcc_lo, s6, v21
	s_wait_alu 0xfffd
	v_add_co_ci_u32_e64 v36, null, s7, v22, vcc_lo
	s_clause 0x3
	global_load_b32 v22, v[19:20], off
	global_load_b32 v21, v[23:24], off
	;; [unrolled: 1-line block ×4, first 2 shown]
	s_clause 0x3
	global_load_b32 v20, v[33:34], off
	global_load_b32 v19, v[29:30], off
	;; [unrolled: 1-line block ×4, first 2 shown]
	s_branch .LBB4_6
.LBB4_5:                                ;   in Loop: Header=BB4_3 Depth=1
	v_dual_mov_b32 v19, 0 :: v_dual_mov_b32 v14, 0
	v_dual_mov_b32 v23, 0 :: v_dual_mov_b32 v20, 0
	;; [unrolled: 1-line block ×4, first 2 shown]
.LBB4_6:                                ;   in Loop: Header=BB4_3 Depth=1
	s_wait_loadcnt 0x2
	v_add_f32_e32 v17, v17, v18
                                        ; implicit-def: $vgpr18
	s_delay_alu instid0(VALU_DEP_1) | instskip(SKIP_1) | instid1(VALU_DEP_1)
	v_add_f32_e32 v17, v17, v24
	s_wait_loadcnt 0x1
	v_add_f32_e32 v17, v23, v17
	s_delay_alu instid0(VALU_DEP_1)
	v_cmp_ngt_f32_e64 s0, 0x3f200000, |v17|
	s_and_saveexec_b32 s37, s0
	s_wait_alu 0xfffe
	s_xor_b32 s0, exec_lo, s37
	s_cbranch_execz .LBB4_8
; %bb.7:                                ;   in Loop: Header=BB4_3 Depth=1
	v_add_f32_e64 v18, |v17|, |v17|
	s_delay_alu instid0(VALU_DEP_1) | instskip(SKIP_1) | instid1(VALU_DEP_2)
	v_mul_f32_e32 v23, 0x3fb8aa3b, v18
	v_cmp_ngt_f32_e32 vcc_lo, 0xc2ce8ed0, v18
	v_rndne_f32_e32 v24, v23
	v_fma_f32 v25, 0x3fb8aa3b, v18, -v23
	s_delay_alu instid0(VALU_DEP_2) | instskip(NEXT) | instid1(VALU_DEP_2)
	v_sub_f32_e32 v23, v23, v24
	v_fmac_f32_e32 v25, 0x32a5705f, v18
	v_cvt_i32_f32_e32 v24, v24
	s_delay_alu instid0(VALU_DEP_2) | instskip(NEXT) | instid1(VALU_DEP_1)
	v_add_f32_e32 v23, v23, v25
	v_exp_f32_e32 v23, v23
	s_delay_alu instid0(TRANS32_DEP_1) | instskip(SKIP_1) | instid1(VALU_DEP_1)
	v_ldexp_f32 v23, v23, v24
	s_wait_alu 0xfffd
	v_cndmask_b32_e32 v23, 0, v23, vcc_lo
	v_cmp_nlt_f32_e32 vcc_lo, 0x42b17218, v18
	s_wait_alu 0xfffd
	s_delay_alu instid0(VALU_DEP_2) | instskip(NEXT) | instid1(VALU_DEP_1)
	v_cndmask_b32_e32 v18, 0x7f800000, v23, vcc_lo
	v_add_f32_e32 v18, 1.0, v18
	s_delay_alu instid0(VALU_DEP_1) | instskip(NEXT) | instid1(TRANS32_DEP_1)
	v_rcp_f32_e32 v18, v18
	v_fma_f32 v18, v18, -2.0, 1.0
.LBB4_8:                                ;   in Loop: Header=BB4_3 Depth=1
	s_wait_alu 0xfffe
	s_and_not1_saveexec_b32 s0, s0
	s_cbranch_execz .LBB4_10
; %bb.9:                                ;   in Loop: Header=BB4_3 Depth=1
	v_mul_f32_e32 v18, v17, v17
	s_delay_alu instid0(VALU_DEP_1) | instskip(NEXT) | instid1(VALU_DEP_1)
	v_fmaak_f32 v23, s36, v18, 0x3ca908c9
	v_fmaak_f32 v23, v18, v23, 0xbd5c1c4e
	s_delay_alu instid0(VALU_DEP_1) | instskip(NEXT) | instid1(VALU_DEP_1)
	v_fmaak_f32 v23, v18, v23, 0x3e088382
	v_fmaak_f32 v23, v18, v23, 0xbeaaaa99
	s_delay_alu instid0(VALU_DEP_1) | instskip(NEXT) | instid1(VALU_DEP_1)
	v_mul_f32_e64 v23, |v17|, v23
	v_fma_f32 v18, v18, v23, |v17|
.LBB4_10:                               ;   in Loop: Header=BB4_3 Depth=1
	s_wait_alu 0xfffe
	s_or_b32 exec_lo, exec_lo, s0
	v_add_f32_e32 v11, v11, v12
	s_delay_alu instid0(VALU_DEP_1) | instskip(NEXT) | instid1(VALU_DEP_1)
	v_add_f32_e32 v11, v11, v21
	v_add_f32_e32 v11, v19, v11
	s_delay_alu instid0(VALU_DEP_1) | instskip(NEXT) | instid1(VALU_DEP_1)
	v_dual_add_f32 v15, v15, v16 :: v_dual_mul_f32 v16, 0xbfb8aa3b, v11
	v_fma_f32 v21, 0xbfb8aa3b, v11, -v16
	s_delay_alu instid0(VALU_DEP_2) | instskip(SKIP_1) | instid1(VALU_DEP_2)
	v_add_f32_e32 v12, v15, v22
	v_rndne_f32_e32 v22, v16
	v_dual_fmac_f32 v21, 0xb2a5705f, v11 :: v_dual_add_f32 v12, v20, v12
	s_delay_alu instid0(VALU_DEP_1) | instskip(NEXT) | instid1(VALU_DEP_1)
	v_dual_sub_f32 v16, v16, v22 :: v_dual_mul_f32 v15, 0xbfb8aa3b, v12
	v_add_f32_e32 v16, v16, v21
	v_cmp_nlt_f32_e32 vcc_lo, 0x42ce8ed0, v12
	s_delay_alu instid0(VALU_DEP_3) | instskip(SKIP_1) | instid1(VALU_DEP_4)
	v_fma_f32 v19, 0xbfb8aa3b, v12, -v15
	v_rndne_f32_e32 v20, v15
	v_exp_f32_e32 v16, v16
	s_delay_alu instid0(VALU_DEP_2) | instskip(NEXT) | instid1(VALU_DEP_2)
	v_fmac_f32_e32 v19, 0xb2a5705f, v12
	v_sub_f32_e32 v15, v15, v20
	s_delay_alu instid0(VALU_DEP_1) | instskip(SKIP_2) | instid1(VALU_DEP_3)
	v_add_f32_e32 v15, v15, v19
	v_cvt_i32_f32_e32 v19, v20
	v_cvt_i32_f32_e32 v20, v22
	v_exp_f32_e32 v15, v15
	s_delay_alu instid0(TRANS32_DEP_2) | instid1(VALU_DEP_1)
	v_ldexp_f32 v16, v16, v20
	s_delay_alu instid0(TRANS32_DEP_1) | instskip(SKIP_1) | instid1(VALU_DEP_1)
	v_ldexp_f32 v15, v15, v19
	s_wait_alu 0xfffd
	v_cndmask_b32_e32 v15, 0, v15, vcc_lo
	v_cmp_nlt_f32_e32 vcc_lo, 0x42ce8ed0, v11
	s_wait_alu 0xfffd
	v_cndmask_b32_e32 v16, 0, v16, vcc_lo
	v_cmp_ngt_f32_e32 vcc_lo, 0xc2b17218, v12
	s_wait_alu 0xfffd
	v_cndmask_b32_e32 v12, 0x7f800000, v15, vcc_lo
	v_cmp_ngt_f32_e32 vcc_lo, 0xc2b17218, v11
	s_delay_alu instid0(VALU_DEP_2) | instskip(SKIP_2) | instid1(VALU_DEP_2)
	v_add_f32_e32 v12, 1.0, v12
	s_wait_alu 0xfffd
	v_cndmask_b32_e32 v11, 0x7f800000, v16, vcc_lo
	v_div_scale_f32 v23, vcc_lo, 1.0, v12, 1.0
	s_delay_alu instid0(VALU_DEP_2) | instskip(SKIP_1) | instid1(VALU_DEP_2)
	v_add_f32_e32 v15, 1.0, v11
	v_div_scale_f32 v11, null, v12, v12, 1.0
	v_div_scale_f32 v16, null, v15, v15, 1.0
	s_delay_alu instid0(VALU_DEP_2) | instskip(NEXT) | instid1(VALU_DEP_1)
	v_rcp_f32_e32 v19, v11
	v_rcp_f32_e32 v20, v16
	s_delay_alu instid0(TRANS32_DEP_2) | instskip(NEXT) | instid1(TRANS32_DEP_1)
	v_fma_f32 v21, -v11, v19, 1.0
	v_fma_f32 v22, -v16, v20, 1.0
	s_delay_alu instid0(VALU_DEP_1) | instskip(SKIP_1) | instid1(VALU_DEP_1)
	v_dual_fmac_f32 v20, v22, v20 :: v_dual_fmac_f32 v19, v21, v19
	v_div_scale_f32 v21, s0, 1.0, v15, 1.0
	v_mul_f32_e32 v24, v21, v20
	s_delay_alu instid0(VALU_DEP_1) | instskip(NEXT) | instid1(VALU_DEP_1)
	v_fma_f32 v26, -v16, v24, v21
	v_fmac_f32_e32 v24, v26, v20
	v_mul_f32_e32 v22, v23, v19
	s_delay_alu instid0(VALU_DEP_2) | instskip(NEXT) | instid1(VALU_DEP_2)
	v_fma_f32 v16, -v16, v24, v21
	v_fma_f32 v25, -v11, v22, v23
	s_delay_alu instid0(VALU_DEP_1) | instskip(NEXT) | instid1(VALU_DEP_1)
	v_fmac_f32_e32 v22, v25, v19
	v_fma_f32 v11, -v11, v22, v23
	s_wait_alu 0xfffd
	s_delay_alu instid0(VALU_DEP_1) | instskip(SKIP_3) | instid1(VALU_DEP_2)
	v_div_fmas_f32 v11, v11, v19, v22
	s_mov_b32 vcc_lo, s0
	s_wait_alu 0xfffe
	v_div_fmas_f32 v16, v16, v20, v24
	v_div_fixup_f32 v11, v11, v12, 1.0
	v_bfi_b32 v12, 0x7fffffff, v18, v17
	s_delay_alu instid0(VALU_DEP_3) | instskip(NEXT) | instid1(VALU_DEP_2)
	v_div_fixup_f32 v15, v16, v15, 1.0
	v_mul_f32_e32 v16, v11, v12
	s_wait_loadcnt 0x0
	s_delay_alu instid0(VALU_DEP_1) | instskip(NEXT) | instid1(VALU_DEP_1)
	v_fmac_f32_e32 v16, v9, v15
                                        ; implicit-def: $vgpr9
	v_cmp_ngt_f32_e64 s0, 0x3f200000, |v16|
	s_and_saveexec_b32 s37, s0
	s_wait_alu 0xfffe
	s_xor_b32 s0, exec_lo, s37
	s_cbranch_execz .LBB4_12
; %bb.11:                               ;   in Loop: Header=BB4_3 Depth=1
	v_add_f32_e64 v9, |v16|, |v16|
	s_delay_alu instid0(VALU_DEP_1) | instskip(SKIP_1) | instid1(VALU_DEP_2)
	v_mul_f32_e32 v17, 0x3fb8aa3b, v9
	v_cmp_ngt_f32_e32 vcc_lo, 0xc2ce8ed0, v9
	v_rndne_f32_e32 v18, v17
	v_fma_f32 v19, 0x3fb8aa3b, v9, -v17
	s_delay_alu instid0(VALU_DEP_2) | instskip(NEXT) | instid1(VALU_DEP_2)
	v_sub_f32_e32 v17, v17, v18
	v_fmac_f32_e32 v19, 0x32a5705f, v9
	v_cvt_i32_f32_e32 v18, v18
	s_delay_alu instid0(VALU_DEP_2) | instskip(NEXT) | instid1(VALU_DEP_1)
	v_add_f32_e32 v17, v17, v19
	v_exp_f32_e32 v17, v17
	s_delay_alu instid0(TRANS32_DEP_1) | instskip(SKIP_1) | instid1(VALU_DEP_1)
	v_ldexp_f32 v17, v17, v18
	s_wait_alu 0xfffd
	v_cndmask_b32_e32 v17, 0, v17, vcc_lo
	v_cmp_nlt_f32_e32 vcc_lo, 0x42b17218, v9
	s_wait_alu 0xfffd
	s_delay_alu instid0(VALU_DEP_2) | instskip(NEXT) | instid1(VALU_DEP_1)
	v_cndmask_b32_e32 v9, 0x7f800000, v17, vcc_lo
	v_add_f32_e32 v9, 1.0, v9
	s_delay_alu instid0(VALU_DEP_1) | instskip(NEXT) | instid1(TRANS32_DEP_1)
	v_rcp_f32_e32 v9, v9
	v_fma_f32 v9, v9, -2.0, 1.0
.LBB4_12:                               ;   in Loop: Header=BB4_3 Depth=1
	s_wait_alu 0xfffe
	s_and_not1_saveexec_b32 s0, s0
	s_cbranch_execz .LBB4_2
; %bb.13:                               ;   in Loop: Header=BB4_3 Depth=1
	v_mul_f32_e32 v9, v16, v16
	s_delay_alu instid0(VALU_DEP_1) | instskip(NEXT) | instid1(VALU_DEP_1)
	v_fmaak_f32 v17, s36, v9, 0x3ca908c9
	v_fmaak_f32 v17, v9, v17, 0xbd5c1c4e
	s_delay_alu instid0(VALU_DEP_1) | instskip(NEXT) | instid1(VALU_DEP_1)
	v_fmaak_f32 v17, v9, v17, 0x3e088382
	v_fmaak_f32 v17, v9, v17, 0xbeaaaa99
	s_delay_alu instid0(VALU_DEP_1) | instskip(NEXT) | instid1(VALU_DEP_1)
	v_mul_f32_e64 v17, |v16|, v17
	v_fma_f32 v9, v9, v17, |v16|
	s_branch .LBB4_2
.LBB4_14:
	s_endpgm
	.section	.rodata,"a",@progbits
	.p2align	6, 0x0
	.amdhsa_kernel _ZN2at6native12_GLOBAL__N_16kernel17lstm_cell_forwardIffiLi1EEEvNS_4cuda6detail10TensorInfoIT_T1_EES9_S9_S9_S9_S9_S9_S9_S8_S8_
		.amdhsa_group_segment_fixed_size 0
		.amdhsa_private_segment_fixed_size 0
		.amdhsa_kernarg_size 1992
		.amdhsa_user_sgpr_count 2
		.amdhsa_user_sgpr_dispatch_ptr 0
		.amdhsa_user_sgpr_queue_ptr 0
		.amdhsa_user_sgpr_kernarg_segment_ptr 1
		.amdhsa_user_sgpr_dispatch_id 0
		.amdhsa_user_sgpr_private_segment_size 0
		.amdhsa_wavefront_size32 1
		.amdhsa_uses_dynamic_stack 0
		.amdhsa_enable_private_segment 0
		.amdhsa_system_sgpr_workgroup_id_x 1
		.amdhsa_system_sgpr_workgroup_id_y 0
		.amdhsa_system_sgpr_workgroup_id_z 0
		.amdhsa_system_sgpr_workgroup_info 0
		.amdhsa_system_vgpr_workitem_id 0
		.amdhsa_next_free_vgpr 37
		.amdhsa_next_free_sgpr 38
		.amdhsa_reserve_vcc 1
		.amdhsa_float_round_mode_32 0
		.amdhsa_float_round_mode_16_64 0
		.amdhsa_float_denorm_mode_32 3
		.amdhsa_float_denorm_mode_16_64 3
		.amdhsa_fp16_overflow 0
		.amdhsa_workgroup_processor_mode 1
		.amdhsa_memory_ordered 1
		.amdhsa_forward_progress 1
		.amdhsa_inst_pref_size 25
		.amdhsa_round_robin_scheduling 0
		.amdhsa_exception_fp_ieee_invalid_op 0
		.amdhsa_exception_fp_denorm_src 0
		.amdhsa_exception_fp_ieee_div_zero 0
		.amdhsa_exception_fp_ieee_overflow 0
		.amdhsa_exception_fp_ieee_underflow 0
		.amdhsa_exception_fp_ieee_inexact 0
		.amdhsa_exception_int_div_zero 0
	.end_amdhsa_kernel
	.section	.text._ZN2at6native12_GLOBAL__N_16kernel17lstm_cell_forwardIffiLi1EEEvNS_4cuda6detail10TensorInfoIT_T1_EES9_S9_S9_S9_S9_S9_S9_S8_S8_,"axG",@progbits,_ZN2at6native12_GLOBAL__N_16kernel17lstm_cell_forwardIffiLi1EEEvNS_4cuda6detail10TensorInfoIT_T1_EES9_S9_S9_S9_S9_S9_S9_S8_S8_,comdat
.Lfunc_end4:
	.size	_ZN2at6native12_GLOBAL__N_16kernel17lstm_cell_forwardIffiLi1EEEvNS_4cuda6detail10TensorInfoIT_T1_EES9_S9_S9_S9_S9_S9_S9_S8_S8_, .Lfunc_end4-_ZN2at6native12_GLOBAL__N_16kernel17lstm_cell_forwardIffiLi1EEEvNS_4cuda6detail10TensorInfoIT_T1_EES9_S9_S9_S9_S9_S9_S9_S8_S8_
                                        ; -- End function
	.set _ZN2at6native12_GLOBAL__N_16kernel17lstm_cell_forwardIffiLi1EEEvNS_4cuda6detail10TensorInfoIT_T1_EES9_S9_S9_S9_S9_S9_S9_S8_S8_.num_vgpr, 37
	.set _ZN2at6native12_GLOBAL__N_16kernel17lstm_cell_forwardIffiLi1EEEvNS_4cuda6detail10TensorInfoIT_T1_EES9_S9_S9_S9_S9_S9_S9_S8_S8_.num_agpr, 0
	.set _ZN2at6native12_GLOBAL__N_16kernel17lstm_cell_forwardIffiLi1EEEvNS_4cuda6detail10TensorInfoIT_T1_EES9_S9_S9_S9_S9_S9_S9_S8_S8_.numbered_sgpr, 38
	.set _ZN2at6native12_GLOBAL__N_16kernel17lstm_cell_forwardIffiLi1EEEvNS_4cuda6detail10TensorInfoIT_T1_EES9_S9_S9_S9_S9_S9_S9_S8_S8_.num_named_barrier, 0
	.set _ZN2at6native12_GLOBAL__N_16kernel17lstm_cell_forwardIffiLi1EEEvNS_4cuda6detail10TensorInfoIT_T1_EES9_S9_S9_S9_S9_S9_S9_S8_S8_.private_seg_size, 0
	.set _ZN2at6native12_GLOBAL__N_16kernel17lstm_cell_forwardIffiLi1EEEvNS_4cuda6detail10TensorInfoIT_T1_EES9_S9_S9_S9_S9_S9_S9_S8_S8_.uses_vcc, 1
	.set _ZN2at6native12_GLOBAL__N_16kernel17lstm_cell_forwardIffiLi1EEEvNS_4cuda6detail10TensorInfoIT_T1_EES9_S9_S9_S9_S9_S9_S9_S8_S8_.uses_flat_scratch, 0
	.set _ZN2at6native12_GLOBAL__N_16kernel17lstm_cell_forwardIffiLi1EEEvNS_4cuda6detail10TensorInfoIT_T1_EES9_S9_S9_S9_S9_S9_S9_S8_S8_.has_dyn_sized_stack, 0
	.set _ZN2at6native12_GLOBAL__N_16kernel17lstm_cell_forwardIffiLi1EEEvNS_4cuda6detail10TensorInfoIT_T1_EES9_S9_S9_S9_S9_S9_S9_S8_S8_.has_recursion, 0
	.set _ZN2at6native12_GLOBAL__N_16kernel17lstm_cell_forwardIffiLi1EEEvNS_4cuda6detail10TensorInfoIT_T1_EES9_S9_S9_S9_S9_S9_S9_S8_S8_.has_indirect_call, 0
	.section	.AMDGPU.csdata,"",@progbits
; Kernel info:
; codeLenInByte = 3080
; TotalNumSgprs: 40
; NumVgprs: 37
; ScratchSize: 0
; MemoryBound: 0
; FloatMode: 240
; IeeeMode: 1
; LDSByteSize: 0 bytes/workgroup (compile time only)
; SGPRBlocks: 0
; VGPRBlocks: 4
; NumSGPRsForWavesPerEU: 40
; NumVGPRsForWavesPerEU: 37
; Occupancy: 16
; WaveLimiterHint : 1
; COMPUTE_PGM_RSRC2:SCRATCH_EN: 0
; COMPUTE_PGM_RSRC2:USER_SGPR: 2
; COMPUTE_PGM_RSRC2:TRAP_HANDLER: 0
; COMPUTE_PGM_RSRC2:TGID_X_EN: 1
; COMPUTE_PGM_RSRC2:TGID_Y_EN: 0
; COMPUTE_PGM_RSRC2:TGID_Z_EN: 0
; COMPUTE_PGM_RSRC2:TIDIG_COMP_CNT: 0
	.section	.text._ZN2at6native12_GLOBAL__N_16kernel17lstm_cell_forwardIffiLi2EEEvNS_4cuda6detail10TensorInfoIT_T1_EES9_S9_S9_S9_S9_S9_S9_S8_S8_,"axG",@progbits,_ZN2at6native12_GLOBAL__N_16kernel17lstm_cell_forwardIffiLi2EEEvNS_4cuda6detail10TensorInfoIT_T1_EES9_S9_S9_S9_S9_S9_S9_S8_S8_,comdat
	.globl	_ZN2at6native12_GLOBAL__N_16kernel17lstm_cell_forwardIffiLi2EEEvNS_4cuda6detail10TensorInfoIT_T1_EES9_S9_S9_S9_S9_S9_S9_S8_S8_ ; -- Begin function _ZN2at6native12_GLOBAL__N_16kernel17lstm_cell_forwardIffiLi2EEEvNS_4cuda6detail10TensorInfoIT_T1_EES9_S9_S9_S9_S9_S9_S9_S8_S8_
	.p2align	8
	.type	_ZN2at6native12_GLOBAL__N_16kernel17lstm_cell_forwardIffiLi2EEEvNS_4cuda6detail10TensorInfoIT_T1_EES9_S9_S9_S9_S9_S9_S9_S8_S8_,@function
_ZN2at6native12_GLOBAL__N_16kernel17lstm_cell_forwardIffiLi2EEEvNS_4cuda6detail10TensorInfoIT_T1_EES9_S9_S9_S9_S9_S9_S9_S8_S8_: ; @_ZN2at6native12_GLOBAL__N_16kernel17lstm_cell_forwardIffiLi2EEEvNS_4cuda6detail10TensorInfoIT_T1_EES9_S9_S9_S9_S9_S9_S9_S8_S8_
; %bb.0:
	s_clause 0x1
	s_load_b32 s2, s[0:1], 0x6d4
	s_load_b64 s[4:5], s[0:1], 0x6c0
	s_mov_b32 s3, exec_lo
	s_wait_kmcnt 0x0
	s_and_b32 s2, s2, 0xffff
	s_delay_alu instid0(SALU_CYCLE_1) | instskip(NEXT) | instid1(VALU_DEP_1)
	v_mad_co_u64_u32 v[0:1], null, ttmp9, s2, v[0:1]
	v_cmpx_gt_i32_e64 s5, v0
	s_cbranch_execz .LBB5_13
; %bb.1:
	s_clause 0xc
	s_load_b64 s[6:7], s[0:1], 0x1b0
	s_load_b32 s3, s[0:1], 0xc
	s_load_b32 s33, s[0:1], 0xe4
	s_load_b64 s[8:9], s[0:1], 0x0
	s_load_b64 s[10:11], s[0:1], 0x6c
	;; [unrolled: 1-line block ×4, first 2 shown]
	s_load_b32 s36, s[0:1], 0x21c
	s_load_b64 s[16:17], s[0:1], 0x288
	s_load_b32 s37, s[0:1], 0x2f4
	s_load_b64 s[18:19], s[0:1], 0x360
	s_load_b32 s65, s[0:1], 0x36c
	s_load_b32 s38, s[0:1], 0x5f4
	s_add_nc_u64 s[20:21], s[0:1], 0x6c8
	s_mov_b32 s43, 0
	s_load_b32 s44, s[20:21], 0x0
	s_clause 0x3
	s_load_b64 s[20:21], s[0:1], 0x3cc
	s_load_b64 s[22:23], s[0:1], 0x438
	s_load_b32 s66, s[0:1], 0x444
	s_load_b64 s[24:25], s[0:1], 0x4a4
	s_mul_i32 s63, s4, 3
	s_mov_b32 s68, 0xbbbac73d
	s_wait_kmcnt 0x0
	s_cmp_lg_u64 s[6:7], 0
	s_cselect_b32 s39, -1, 0
	s_abs_i32 s40, s4
	s_abs_i32 s41, s3
	s_cvt_f32_u32 s26, s40
	s_cvt_f32_u32 s27, s41
	s_abs_i32 s42, s33
	s_abs_i32 s47, s38
	v_rcp_iflag_f32_e32 v1, s26
	v_rcp_iflag_f32_e32 v2, s27
	s_cvt_f32_u32 s45, s42
	s_clause 0x4
	s_load_b64 s[26:27], s[0:1], 0x510
	s_load_b32 s67, s[0:1], 0x51c
	s_load_b64 s[28:29], s[0:1], 0x57c
	s_load_b64 s[30:31], s[0:1], 0x5e8
	;; [unrolled: 1-line block ×3, first 2 shown]
	s_cvt_f32_u32 s48, s47
	s_mul_i32 s44, s44, s2
	v_rcp_iflag_f32_e32 v3, s45
	s_sub_co_i32 s2, 0, s40
	s_sub_co_i32 s50, 0, s41
	s_abs_i32 s53, s66
	v_readfirstlane_b32 s0, v1
	v_readfirstlane_b32 s1, v2
	v_rcp_iflag_f32_e32 v1, s48
	s_ashr_i32 s45, s4, 31
	s_ashr_i32 s46, s3, 31
	s_mul_f32 s0, s0, 0x4f7ffffe
	s_mul_f32 s1, s1, 0x4f7ffffe
	v_readfirstlane_b32 s49, v3
	s_sub_co_i32 s64, 0, s4
	s_wait_alu 0xfffe
	s_cvt_u32_f32 s0, s0
	s_cvt_u32_f32 s1, s1
	s_wait_kmcnt 0x0
	s_abs_i32 s54, s67
	s_mul_f32 s51, s49, 0x4f7ffffe
	s_wait_alu 0xfffe
	s_mul_i32 s2, s2, s0
	s_mul_i32 s50, s50, s1
	s_wait_alu 0xfffe
	s_mul_hi_u32 s2, s0, s2
	s_abs_i32 s49, s65
	s_wait_alu 0xfffe
	s_add_co_i32 s48, s0, s2
	s_mul_hi_u32 s0, s1, s50
	s_cvt_f32_u32 s2, s49
	s_cvt_u32_f32 s52, s51
	s_wait_alu 0xfffe
	s_add_co_i32 s50, s1, s0
	s_sub_co_i32 s0, 0, s42
	v_readfirstlane_b32 s1, v1
	v_rcp_iflag_f32_e32 v2, s2
	s_wait_alu 0xfffe
	s_mul_i32 s0, s0, s52
	s_cvt_f32_u32 s55, s54
	s_wait_alu 0xfffe
	s_mul_hi_u32 s0, s52, s0
	s_sub_co_i32 s57, 0, s49
	s_wait_alu 0xfffe
	s_add_co_i32 s52, s52, s0
	s_mul_f32 s0, s1, 0x4f7ffffe
	s_cvt_f32_u32 s1, s53
	s_sub_co_i32 s60, 0, s54
	s_ashr_i32 s51, s33, 31
	v_readfirstlane_b32 s2, v2
	s_wait_alu 0xfffe
	v_rcp_iflag_f32_e32 v1, s1
	v_rcp_iflag_f32_e32 v2, s55
	s_cvt_u32_f32 s0, s0
	s_sub_co_i32 s1, 0, s47
	s_mul_f32 s2, s2, 0x4f7ffffe
	s_ashr_i32 s55, s38, 31
	s_wait_alu 0xfffe
	s_mul_i32 s1, s1, s0
	s_wait_alu 0xfffe
	s_mul_hi_u32 s1, s0, s1
	s_cvt_u32_f32 s2, s2
	v_readfirstlane_b32 s58, v1
	s_wait_alu 0xfffe
	s_add_co_i32 s56, s0, s1
	v_readfirstlane_b32 s0, v2
	s_mul_i32 s57, s57, s2
	s_mul_f32 s59, s58, 0x4f7ffffe
	s_mul_hi_u32 s1, s2, s57
	s_mul_f32 s0, s0, 0x4f7ffffe
	s_wait_alu 0xfffe
	s_add_co_i32 s58, s2, s1
	s_cvt_u32_f32 s1, s59
	s_sub_co_i32 s2, 0, s53
	s_cvt_u32_f32 s0, s0
	s_ashr_i32 s57, s65, 31
	s_wait_alu 0xfffe
	s_mul_i32 s2, s2, s1
	s_ashr_i32 s59, s66, 31
	s_wait_alu 0xfffe
	s_mul_hi_u32 s2, s1, s2
	s_mul_i32 s61, s60, s0
	s_wait_alu 0xfffe
	s_add_co_i32 s60, s1, s2
	s_mul_hi_u32 s1, s0, s61
	s_ashr_i32 s61, s67, 31
	s_wait_alu 0xfffe
	s_add_co_i32 s62, s0, s1
	s_sub_co_i32 s65, 0, s65
	s_sub_co_i32 s66, 0, s66
	s_sub_co_i32 s67, 0, s67
	s_branch .LBB5_3
.LBB5_2:                                ;   in Loop: Header=BB5_3 Depth=1
	s_wait_alu 0xfffe
	s_or_b32 exec_lo, exec_lo, s0
	v_add_f32_e32 v19, v19, v20
	v_mul_hi_u32 v20, v7, s56
	v_mul_hi_u32 v24, v10, s56
	;; [unrolled: 1-line block ×4, first 2 shown]
	v_add_f32_e32 v19, v19, v23
	v_mul_hi_u32 v23, v8, s56
	v_xor_b32_e32 v14, s55, v14
	v_xor_b32_e32 v12, s55, v12
	s_delay_alu instid0(VALU_DEP_4)
	v_dual_add_f32 v19, v22, v19 :: v_dual_add_nc_u32 v30, 1, v20
	v_add_nc_u32_e32 v36, 1, v24
	v_mul_hi_u32 v22, v9, s56
	v_mul_lo_u32 v29, v20, s47
	v_mul_lo_u32 v31, v23, s47
	v_mul_f32_e32 v27, 0xbfb8aa3b, v19
	v_mul_lo_u32 v35, v24, s47
	v_cmp_ngt_f32_e64 s2, 0xc2b17218, v19
	v_add_nc_u32_e32 v34, 1, v23
	v_mul_lo_u32 v39, v26, s53
	v_add_nc_u32_e32 v38, 1, v22
	v_fma_f32 v32, 0xbfb8aa3b, v19, -v27
	v_rndne_f32_e32 v33, v27
	v_sub_nc_u32_e32 v7, v7, v29
	v_mul_lo_u32 v37, v22, s47
	v_sub_nc_u32_e32 v8, v8, v31
	s_delay_alu instid0(VALU_DEP_4)
	v_dual_fmac_f32 v32, 0xb2a5705f, v19 :: v_dual_sub_f32 v27, v27, v33
	v_add_nc_u32_e32 v40, 1, v26
	v_cmp_le_u32_e32 vcc_lo, s47, v7
	v_subrev_nc_u32_e32 v31, s47, v7
	v_sub_nc_u32_e32 v10, v10, v35
	v_add_f32_e32 v27, v27, v32
	v_sub_nc_u32_e32 v9, v9, v37
	s_wait_alu 0xfffd
	v_dual_cndmask_b32 v20, v20, v30 :: v_dual_cndmask_b32 v7, v7, v31
	v_cvt_i32_f32_e32 v30, v33
	v_exp_f32_e32 v27, v27
	v_cmp_nlt_f32_e32 vcc_lo, 0x42ce8ed0, v19
	v_cmp_le_u32_e64 s0, s47, v8
	v_subrev_nc_u32_e32 v33, s47, v8
	v_add_nc_u32_e32 v31, 1, v20
	v_mul_lo_u32 v32, v28, s54
	v_cmp_le_u32_e64 s1, s47, v10
	s_wait_alu 0xf1ff
	v_cndmask_b32_e64 v23, v23, v34, s0
	v_cndmask_b32_e64 v8, v8, v33, s0
	v_sub_nc_u32_e32 v29, v4, v39
	v_ldexp_f32 v27, v27, v30
	v_subrev_nc_u32_e32 v30, s47, v10
	v_cndmask_b32_e64 v24, v24, v36, s1
	v_cmp_le_u32_e64 s0, s47, v8
	v_sub_nc_u32_e32 v4, v4, v32
	s_wait_alu 0xfffd
	v_cndmask_b32_e32 v27, 0, v27, vcc_lo
	v_cmp_le_u32_e32 vcc_lo, s47, v9
	v_cndmask_b32_e64 v10, v10, v30, s1
	v_xor_b32_e32 v13, s55, v13
	v_xor_b32_e32 v11, s55, v11
	;; [unrolled: 1-line block ×3, first 2 shown]
	s_wait_alu 0xfffd
	v_cndmask_b32_e32 v22, v22, v38, vcc_lo
	v_cndmask_b32_e64 v19, 0x7f800000, v27, s2
	v_cmp_le_u32_e64 s2, s47, v7
	v_add_nc_u32_e32 v27, 1, v23
	s_delay_alu instid0(VALU_DEP_3) | instskip(SKIP_1) | instid1(VALU_DEP_3)
	v_add_f32_e32 v19, 1.0, v19
	s_wait_alu 0xf1ff
	v_cndmask_b32_e64 v7, v20, v31, s2
	v_subrev_nc_u32_e32 v20, s47, v9
	v_add_nc_u32_e32 v31, 1, v24
	v_cndmask_b32_e64 v8, v23, v27, s0
	v_cmp_le_u32_e64 s0, s47, v10
	v_xor_b32_e32 v7, v7, v14
	v_dual_cndmask_b32 v9, v9, v20 :: v_dual_add_nc_u32 v20, 1, v22
	v_div_scale_f32 v30, null, v19, v19, 1.0
	s_delay_alu instid0(VALU_DEP_3)
	v_sub_nc_u32_e32 v7, v7, v14
	s_wait_alu 0xf1ff
	v_cndmask_b32_e64 v10, v24, v31, s0
	v_cmp_le_u32_e64 s0, s53, v29
	v_rcp_f32_e32 v14, v30
	v_xor_b32_e32 v8, v8, v12
	v_mul_lo_u32 v23, v7, s38
	v_cmp_le_u32_e64 s1, s47, v9
	s_wait_alu 0xf1ff
	v_cndmask_b32_e64 v24, v26, v40, s0
	v_xor_b32_e32 v10, v10, v13
	v_sub_nc_u32_e32 v12, v8, v12
	v_div_scale_f32 v8, vcc_lo, 1.0, v19, 1.0
	v_cndmask_b32_e64 v9, v22, v20, s1
	v_fma_f32 v26, -v30, v14, 1.0
	v_sub_nc_u32_e32 v5, v5, v23
	v_sub_nc_u32_e32 v10, v10, v13
	v_mul_lo_u32 v13, v12, s38
	v_subrev_nc_u32_e32 v22, s53, v29
	s_delay_alu instid0(VALU_DEP_4) | instskip(NEXT) | instid1(VALU_DEP_4)
	v_dual_fmac_f32 v14, v26, v14 :: v_dual_add_nc_u32 v5, v0, v5
	v_mul_lo_u32 v23, v10, s38
	v_xor_b32_e32 v9, v9, v11
	s_delay_alu instid0(VALU_DEP_3) | instskip(NEXT) | instid1(VALU_DEP_4)
	v_mul_f32_e32 v20, v8, v14
	v_mul_lo_u32 v5, v5, s35
	v_sub_nc_u32_e32 v1, v1, v13
	v_cndmask_b32_e64 v13, v29, v22, s0
	v_sub_nc_u32_e32 v22, v9, v11
	v_fma_f32 v26, -v30, v20, v8
	v_sub_nc_u32_e32 v9, v6, v23
	v_add_nc_u32_e32 v1, v0, v1
	v_cmp_le_u32_e64 s0, s53, v13
	v_mad_co_u64_u32 v[5:6], null, v7, s34, v[5:6]
	v_fmac_f32_e32 v20, v26, v14
	s_delay_alu instid0(VALU_DEP_4) | instskip(SKIP_2) | instid1(VALU_DEP_4)
	v_mul_lo_u32 v1, v1, s35
	v_mul_lo_u32 v13, v22, s38
	v_add_nc_u32_e32 v9, v0, v9
	v_fma_f32 v6, -v30, v20, v8
	v_add_nc_u32_e32 v8, 1, v28
	s_wait_alu 0xfffd
	s_delay_alu instid0(VALU_DEP_2)
	v_div_fmas_f32 v11, v6, v14, v20
	v_subrev_nc_u32_e32 v6, s54, v4
	v_cmp_le_u32_e32 vcc_lo, s54, v4
	v_xor_b32_e32 v14, s61, v3
	v_mul_lo_u32 v3, v9, s35
	s_wait_alu 0xfffd
	v_cndmask_b32_e32 v8, v28, v8, vcc_lo
	v_cndmask_b32_e32 v4, v4, v6, vcc_lo
	s_delay_alu instid0(VALU_DEP_2) | instskip(NEXT) | instid1(VALU_DEP_2)
	v_add_nc_u32_e32 v6, 1, v8
	v_cmp_le_u32_e32 vcc_lo, s54, v4
	s_wait_alu 0xfffd
	s_delay_alu instid0(VALU_DEP_2) | instskip(SKIP_1) | instid1(VALU_DEP_1)
	v_dual_cndmask_b32 v4, v8, v6 :: v_dual_add_nc_u32 v7, 1, v24
	s_wait_alu 0xf1ff
	v_cndmask_b32_e64 v7, v24, v7, s0
	v_ashrrev_i32_e32 v6, 31, v5
	s_delay_alu instid0(VALU_DEP_3) | instskip(NEXT) | instid1(VALU_DEP_3)
	v_xor_b32_e32 v4, v4, v14
	v_xor_b32_e32 v7, v7, v25
	s_delay_alu instid0(VALU_DEP_3) | instskip(NEXT) | instid1(VALU_DEP_2)
	v_lshlrev_b64_e32 v[5:6], 2, v[5:6]
	v_sub_nc_u32_e32 v20, v7, v25
	s_delay_alu instid0(VALU_DEP_2) | instskip(SKIP_1) | instid1(VALU_DEP_3)
	v_add_co_u32 v5, vcc_lo, s30, v5
	s_wait_alu 0xfffd
	v_add_co_ci_u32_e64 v6, null, s31, v6, vcc_lo
	s_delay_alu instid0(VALU_DEP_3) | instskip(SKIP_4) | instid1(VALU_DEP_4)
	v_mad_co_u64_u32 v[7:8], null, s66, v20, v[0:1]
	v_sub_nc_u32_e32 v8, v2, v13
	v_mad_co_u64_u32 v[1:2], null, v12, s34, v[1:2]
	v_sub_nc_u32_e32 v12, v4, v14
	v_mad_co_u64_u32 v[3:4], null, v10, s34, v[3:4]
	v_add_nc_u32_e32 v10, v0, v8
	v_mul_lo_u32 v7, v7, s25
	v_div_fixup_f32 v14, v11, v19, 1.0
	v_mad_co_u64_u32 v[8:9], null, s67, v12, v[0:1]
	s_delay_alu instid0(VALU_DEP_4)
	v_mul_lo_u32 v9, v10, s35
	v_ashrrev_i32_e32 v2, 31, v1
	v_ashrrev_i32_e32 v4, 31, v3
	v_add_nc_u32_e32 v0, s44, v0
	v_bfi_b32 v19, 0x7fffffff, v21, v18
	v_mad_co_u64_u32 v[10:11], null, v20, s24, v[7:8]
	v_mul_lo_u32 v7, v8, s29
	v_lshlrev_b64_e32 v[1:2], 2, v[1:2]
	v_lshlrev_b64_e32 v[3:4], 2, v[3:4]
	s_delay_alu instid0(VALU_DEP_4) | instskip(SKIP_1) | instid1(VALU_DEP_4)
	v_mad_co_u64_u32 v[8:9], null, v22, s34, v[9:10]
	v_ashrrev_i32_e32 v11, 31, v10
	v_add_co_u32 v1, vcc_lo, s30, v1
	s_wait_alu 0xfffd
	v_add_co_ci_u32_e64 v2, null, s31, v2, vcc_lo
	s_delay_alu instid0(VALU_DEP_3)
	v_lshlrev_b64_e32 v[10:11], 2, v[10:11]
	v_mad_co_u64_u32 v[12:13], null, v12, s28, v[7:8]
	v_ashrrev_i32_e32 v9, 31, v8
	v_add_co_u32 v3, vcc_lo, s30, v3
	s_wait_alu 0xfffd
	v_add_co_ci_u32_e64 v4, null, s31, v4, vcc_lo
	s_delay_alu instid0(VALU_DEP_3) | instskip(SKIP_4) | instid1(VALU_DEP_3)
	v_lshlrev_b64_e32 v[7:8], 2, v[8:9]
	v_ashrrev_i32_e32 v13, 31, v12
	v_add_co_u32 v9, vcc_lo, s22, v10
	s_wait_alu 0xfffd
	v_add_co_ci_u32_e64 v10, null, s23, v11, vcc_lo
	v_lshlrev_b64_e32 v[12:13], 2, v[12:13]
	s_delay_alu instid0(VALU_DEP_1) | instskip(SKIP_1) | instid1(VALU_DEP_2)
	v_add_co_u32 v11, vcc_lo, s26, v12
	s_wait_alu 0xfffd
	v_add_co_ci_u32_e64 v12, null, s27, v13, vcc_lo
	v_add_co_u32 v7, vcc_lo, s30, v7
	s_wait_alu 0xfffd
	v_add_co_ci_u32_e64 v8, null, s31, v8, vcc_lo
	v_cmp_le_i32_e32 vcc_lo, s5, v0
	v_mul_f32_e32 v13, v14, v19
	global_store_b32 v[9:10], v13, off
	global_store_b32 v[11:12], v18, off
	s_clause 0x1
	global_store_b32 v[5:6], v16, off
	global_store_b32 v[1:2], v17, off
	s_or_b32 s43, vcc_lo, s43
	s_clause 0x1
	global_store_b32 v[3:4], v15, off
	global_store_b32 v[7:8], v14, off
	s_wait_alu 0xfffe
	s_and_not1_b32 exec_lo, exec_lo, s43
	s_cbranch_execz .LBB5_13
.LBB5_3:                                ; =>This Inner Loop Header: Depth=1
	v_sub_nc_u32_e32 v1, 0, v0
	s_delay_alu instid0(VALU_DEP_1) | instskip(NEXT) | instid1(VALU_DEP_1)
	v_max_i32_e32 v4, v0, v1
	v_mul_hi_u32 v1, v4, s48
	s_delay_alu instid0(VALU_DEP_1) | instskip(SKIP_1) | instid1(VALU_DEP_2)
	v_mul_lo_u32 v2, v1, s40
	v_add_nc_u32_e32 v3, 1, v1
	v_sub_nc_u32_e32 v2, v4, v2
	s_delay_alu instid0(VALU_DEP_1) | instskip(SKIP_2) | instid1(VALU_DEP_2)
	v_subrev_nc_u32_e32 v5, s40, v2
	v_cmp_le_u32_e32 vcc_lo, s40, v2
	s_wait_alu 0xfffd
	v_dual_cndmask_b32 v1, v1, v3 :: v_dual_cndmask_b32 v2, v2, v5
	v_ashrrev_i32_e32 v3, 31, v0
	s_delay_alu instid0(VALU_DEP_2) | instskip(NEXT) | instid1(VALU_DEP_3)
	v_add_nc_u32_e32 v5, 1, v1
	v_cmp_le_u32_e32 vcc_lo, s40, v2
	s_delay_alu instid0(VALU_DEP_3) | instskip(SKIP_1) | instid1(VALU_DEP_3)
	v_xor_b32_e32 v15, s45, v3
	s_wait_alu 0xfffd
	v_cndmask_b32_e32 v1, v1, v5, vcc_lo
	s_delay_alu instid0(VALU_DEP_1) | instskip(SKIP_1) | instid1(VALU_DEP_2)
	v_xor_b32_e32 v16, v1, v15
	v_mul_i32_i24_e32 v1, 3, v15
	v_lshl_add_u32 v2, v16, 1, v16
	v_sub_nc_u32_e32 v17, v16, v15
	s_delay_alu instid0(VALU_DEP_2) | instskip(NEXT) | instid1(VALU_DEP_2)
	v_sub_nc_u32_e32 v6, v2, v1
	v_mul_lo_u32 v5, s63, v17
	s_delay_alu instid0(VALU_DEP_2) | instskip(SKIP_2) | instid1(VALU_DEP_2)
	v_mad_co_u64_u32 v[1:2], null, s4, v6, s[4:5]
	v_add_nc_u32_e32 v2, 2, v6
	v_add_nc_u32_e32 v8, 3, v6
	v_mul_lo_u32 v6, s4, v2
	s_delay_alu instid0(VALU_DEP_2) | instskip(NEXT) | instid1(VALU_DEP_2)
	v_mul_lo_u32 v2, s4, v8
	v_add_nc_u32_e32 v9, v0, v6
	s_delay_alu instid0(VALU_DEP_2) | instskip(NEXT) | instid1(VALU_DEP_2)
	v_add_nc_u32_e32 v10, v0, v2
	v_ashrrev_i32_e32 v13, 31, v9
	s_delay_alu instid0(VALU_DEP_2) | instskip(NEXT) | instid1(VALU_DEP_2)
	v_ashrrev_i32_e32 v11, 31, v10
	v_add3_u32 v9, v13, v6, v0
	s_delay_alu instid0(VALU_DEP_2)
	v_add3_u32 v24, v11, v2, v0
	v_xor_b32_e32 v22, s46, v13
	v_xor_b32_e32 v23, s46, v11
	;; [unrolled: 1-line block ×5, first 2 shown]
	s_delay_alu instid0(VALU_DEP_2) | instskip(NEXT) | instid1(VALU_DEP_2)
	v_mul_hi_u32 v35, v10, s52
	v_mul_hi_u32 v36, v9, s52
	;; [unrolled: 1-line block ×4, first 2 shown]
	s_delay_alu instid0(VALU_DEP_4) | instskip(NEXT) | instid1(VALU_DEP_4)
	v_mul_lo_u32 v45, v35, s42
	v_mul_lo_u32 v47, v36, s42
	v_add_nc_u32_e32 v48, 1, v36
	v_mul_lo_u32 v41, v33, s41
	v_mul_lo_u32 v43, v34, s41
	v_add_nc_u32_e32 v44, 1, v34
	v_sub_nc_u32_e32 v45, v10, v45
	v_add_nc_u32_e32 v42, 1, v33
	v_add_nc_u32_e32 v46, 1, v35
	;; [unrolled: 1-line block ×3, first 2 shown]
	v_sub_nc_u32_e32 v47, v9, v47
	v_sub_nc_u32_e32 v41, v10, v41
	;; [unrolled: 1-line block ×3, first 2 shown]
	s_delay_alu instid0(VALU_DEP_4) | instskip(SKIP_1) | instid1(VALU_DEP_2)
	v_ashrrev_i32_e32 v14, 31, v7
	v_add_nc_u32_e32 v7, v0, v1
	v_add3_u32 v8, v14, v5, v0
	s_delay_alu instid0(VALU_DEP_2) | instskip(SKIP_2) | instid1(VALU_DEP_4)
	v_ashrrev_i32_e32 v12, 31, v7
	v_xor_b32_e32 v18, s46, v14
	v_xor_b32_e32 v20, s51, v14
	;; [unrolled: 1-line block ×3, first 2 shown]
	s_delay_alu instid0(VALU_DEP_4) | instskip(SKIP_2) | instid1(VALU_DEP_4)
	v_add3_u32 v8, v12, v1, v0
	v_xor_b32_e32 v19, s46, v12
	v_xor_b32_e32 v28, s51, v12
	v_mul_hi_u32 v21, v7, s50
	s_delay_alu instid0(VALU_DEP_4) | instskip(SKIP_1) | instid1(VALU_DEP_2)
	v_xor_b32_e32 v8, v8, v12
	v_mul_hi_u32 v25, v7, s52
	v_mul_hi_u32 v26, v8, s50
	;; [unrolled: 1-line block ×3, first 2 shown]
	v_mul_lo_u32 v27, v21, s41
	s_delay_alu instid0(VALU_DEP_4) | instskip(NEXT) | instid1(VALU_DEP_4)
	v_mul_lo_u32 v31, v25, s42
	v_mul_lo_u32 v37, v26, s41
	v_add_nc_u32_e32 v38, 1, v26
	s_delay_alu instid0(VALU_DEP_4) | instskip(SKIP_2) | instid1(VALU_DEP_3)
	v_sub_nc_u32_e32 v27, v7, v27
	v_mul_lo_u32 v39, v24, s42
	v_sub_nc_u32_e32 v31, v7, v31
	v_cmp_le_u32_e32 vcc_lo, s41, v27
	v_sub_nc_u32_e32 v37, v8, v37
	v_add_nc_u32_e32 v30, 1, v21
	v_add_nc_u32_e32 v32, 1, v25
	v_cmp_le_u32_e64 s0, s42, v31
	v_sub_nc_u32_e32 v39, v8, v39
	s_wait_alu 0xfffd
	v_cndmask_b32_e32 v21, v21, v30, vcc_lo
	v_subrev_nc_u32_e32 v30, s41, v27
	v_add_nc_u32_e32 v40, 1, v24
	s_wait_alu 0xf1ff
	v_cndmask_b32_e64 v25, v25, v32, s0
	v_subrev_nc_u32_e32 v32, s42, v31
	v_cndmask_b32_e32 v27, v27, v30, vcc_lo
	v_cmp_le_u32_e32 vcc_lo, s41, v37
	v_add_nc_u32_e32 v30, 1, v21
	s_delay_alu instid0(VALU_DEP_4)
	v_cndmask_b32_e64 v31, v31, v32, s0
	v_add_nc_u32_e32 v32, 1, v25
	v_cmp_le_u32_e64 s1, s41, v27
	s_wait_alu 0xfffd
	v_cndmask_b32_e32 v26, v26, v38, vcc_lo
	v_subrev_nc_u32_e32 v38, s41, v37
	v_cmp_le_u32_e64 s2, s42, v31
	v_cmp_le_u32_e64 s0, s42, v39
	s_wait_alu 0xf1ff
	v_cndmask_b32_e64 v21, v21, v30, s1
	v_add_nc_u32_e32 v30, 1, v26
	v_cndmask_b32_e32 v27, v37, v38, vcc_lo
	v_cmp_le_u32_e32 vcc_lo, s41, v41
	v_subrev_nc_u32_e32 v37, s41, v41
	v_cndmask_b32_e64 v25, v25, v32, s2
	v_cmp_le_u32_e64 s1, s41, v43
	v_cmp_le_u32_e64 s2, s41, v27
	s_wait_alu 0xfffd
	v_cndmask_b32_e32 v33, v33, v42, vcc_lo
	v_subrev_nc_u32_e32 v38, s41, v43
	v_xor_b32_e32 v21, v21, v18
	v_cndmask_b32_e32 v27, v41, v37, vcc_lo
	s_wait_alu 0xf1ff
	v_cndmask_b32_e64 v26, v26, v30, s2
	v_cndmask_b32_e64 v34, v34, v44, s1
	v_add_nc_u32_e32 v30, 1, v33
	v_cndmask_b32_e64 v31, v43, v38, s1
	v_sub_nc_u32_e32 v21, v21, v18
	v_xor_b32_e32 v18, v26, v19
	v_cmp_le_u32_e32 vcc_lo, s41, v27
	v_add_nc_u32_e32 v32, 1, v34
	v_cndmask_b32_e64 v24, v24, v40, s0
	v_subrev_nc_u32_e32 v40, s42, v39
	v_xor_b32_e32 v25, v25, v20
	s_wait_alu 0xfffd
	v_cndmask_b32_e32 v26, v33, v30, vcc_lo
	v_cmp_le_u32_e32 vcc_lo, s41, v31
	v_sub_nc_u32_e32 v31, v18, v19
	v_mul_lo_u32 v30, v21, s3
	v_cndmask_b32_e64 v19, v39, v40, s0
	v_xor_b32_e32 v18, v26, v22
	s_wait_alu 0xfffd
	v_cndmask_b32_e32 v27, v34, v32, vcc_lo
	v_mul_lo_u32 v32, v31, s3
	v_cmp_le_u32_e32 vcc_lo, s42, v45
	v_cmp_le_u32_e64 s0, s42, v19
	v_sub_nc_u32_e32 v33, v18, v22
	v_xor_b32_e32 v27, v27, v23
	v_sub_nc_u32_e32 v18, v5, v30
	s_wait_alu 0xfffd
	v_cndmask_b32_e32 v30, v35, v46, vcc_lo
	v_subrev_nc_u32_e32 v22, s42, v45
	v_sub_nc_u32_e32 v32, v1, v32
	v_sub_nc_u32_e32 v27, v27, v23
	v_add_nc_u32_e32 v18, v0, v18
	v_mul_lo_u32 v23, v33, s3
	s_delay_alu instid0(VALU_DEP_4) | instskip(NEXT) | instid1(VALU_DEP_4)
	v_dual_cndmask_b32 v37, v45, v22 :: v_dual_add_nc_u32 v32, v0, v32
	v_mul_lo_u32 v35, v27, s3
	s_delay_alu instid0(VALU_DEP_4)
	v_mul_lo_u32 v18, v18, s11
	v_add_nc_u32_e32 v26, 1, v24
	v_subrev_nc_u32_e32 v34, s42, v47
	v_mul_lo_u32 v19, v32, s11
	v_sub_nc_u32_e32 v23, v6, v23
	v_sub_nc_u32_e32 v32, v25, v20
	s_wait_alu 0xf1ff
	v_cndmask_b32_e64 v26, v24, v26, s0
	v_sub_nc_u32_e32 v22, v2, v35
	v_add_nc_u32_e32 v35, 1, v30
	v_add_nc_u32_e32 v23, v0, v23
	v_cmp_le_u32_e64 s0, s42, v37
	v_mad_co_u64_u32 v[20:21], null, v21, s10, v[18:19]
	v_add_nc_u32_e32 v21, v0, v22
	s_delay_alu instid0(VALU_DEP_4) | instskip(NEXT) | instid1(VALU_DEP_3)
	v_mul_lo_u32 v18, v23, s11
	v_mad_co_u64_u32 v[22:23], null, v31, s10, v[19:20]
	s_delay_alu instid0(VALU_DEP_3) | instskip(SKIP_2) | instid1(VALU_DEP_4)
	v_mul_lo_u32 v19, v21, s11
	v_ashrrev_i32_e32 v21, 31, v20
	v_mul_lo_u32 v31, v32, s33
	v_ashrrev_i32_e32 v23, 31, v22
	s_delay_alu instid0(VALU_DEP_3) | instskip(SKIP_2) | instid1(VALU_DEP_4)
	v_lshlrev_b64_e32 v[20:21], 2, v[20:21]
	v_mad_co_u64_u32 v[24:25], null, v33, s10, v[18:19]
	v_xor_b32_e32 v33, v26, v28
	v_lshlrev_b64_e32 v[22:23], 2, v[22:23]
	v_sub_nc_u32_e32 v31, v5, v31
	v_mad_co_u64_u32 v[18:19], null, v27, s10, v[19:20]
	v_add_co_u32 v20, vcc_lo, s8, v20
	v_ashrrev_i32_e32 v25, 31, v24
	s_wait_alu 0xfffd
	v_add_co_ci_u32_e64 v21, null, s9, v21, vcc_lo
	v_add_co_u32 v22, vcc_lo, s8, v22
	s_delay_alu instid0(VALU_DEP_3) | instskip(SKIP_2) | instid1(VALU_DEP_2)
	v_lshlrev_b64_e32 v[24:25], 2, v[24:25]
	s_wait_alu 0xfffd
	v_add_co_ci_u32_e64 v23, null, s9, v23, vcc_lo
	v_add_co_u32 v26, vcc_lo, s8, v24
	s_wait_alu 0xfffd
	s_delay_alu instid0(VALU_DEP_3)
	v_add_co_ci_u32_e64 v27, null, s9, v25, vcc_lo
	v_cmp_le_u32_e32 vcc_lo, s42, v47
	s_wait_alu 0xf1ff
	v_cndmask_b32_e64 v24, v30, v35, s0
	v_sub_nc_u32_e32 v25, v33, v28
	v_mul_hi_u32 v33, v4, s58
	v_xor_b32_e32 v35, s51, v11
	s_wait_alu 0xfffd
	v_dual_cndmask_b32 v19, v36, v48 :: v_dual_cndmask_b32 v28, v47, v34
	v_xor_b32_e32 v24, v24, v29
	v_mul_lo_u32 v34, v25, s33
	s_delay_alu instid0(VALU_DEP_3) | instskip(NEXT) | instid1(VALU_DEP_4)
	v_add_nc_u32_e32 v30, 1, v19
	v_cmp_le_u32_e32 vcc_lo, s42, v28
	s_delay_alu instid0(VALU_DEP_4)
	v_sub_nc_u32_e32 v36, v24, v29
	v_mul_lo_u32 v29, v33, s49
	v_add_nc_u32_e32 v24, v0, v31
	s_wait_alu 0xfffd
	v_cndmask_b32_e32 v28, v19, v30, vcc_lo
	v_sub_nc_u32_e32 v31, v1, v34
	v_mul_lo_u32 v30, v36, s33
	v_mul_lo_u32 v24, v24, s15
	v_ashrrev_i32_e32 v19, 31, v18
	v_xor_b32_e32 v28, v28, v35
	v_sub_nc_u32_e32 v34, v4, v29
	v_add_nc_u32_e32 v31, v0, v31
	s_delay_alu instid0(VALU_DEP_4) | instskip(NEXT) | instid1(VALU_DEP_4)
	v_lshlrev_b64_e32 v[18:19], 2, v[18:19]
	v_sub_nc_u32_e32 v38, v28, v35
	v_add_nc_u32_e32 v28, 1, v33
	v_cmp_le_u32_e32 vcc_lo, s49, v34
	v_subrev_nc_u32_e32 v37, s49, v34
	v_sub_nc_u32_e32 v30, v6, v30
	v_mul_lo_u32 v35, v38, s33
	s_wait_alu 0xfffd
	v_cndmask_b32_e32 v33, v33, v28, vcc_lo
	v_mad_co_u64_u32 v[28:29], null, v32, s14, v[24:25]
	v_cndmask_b32_e32 v29, v34, v37, vcc_lo
	v_mul_lo_u32 v24, v31, s15
	s_delay_alu instid0(VALU_DEP_4) | instskip(SKIP_4) | instid1(VALU_DEP_3)
	v_add_nc_u32_e32 v31, 1, v33
	v_add_nc_u32_e32 v32, v0, v30
	v_sub_nc_u32_e32 v34, v2, v35
	v_cmp_le_u32_e32 vcc_lo, s49, v29
	v_xor_b32_e32 v35, s57, v3
	v_add_nc_u32_e32 v37, v0, v34
	s_wait_alu 0xfffd
	v_cndmask_b32_e32 v29, v33, v31, vcc_lo
	v_add_co_u32 v30, vcc_lo, s8, v18
	v_mul_lo_u32 v18, v32, s15
	s_wait_alu 0xfffd
	v_add_co_ci_u32_e64 v31, null, s9, v19, vcc_lo
	v_xor_b32_e32 v19, v29, v35
	v_mad_co_u64_u32 v[32:33], null, v25, s14, v[24:25]
	v_mul_lo_u32 v24, v37, s15
	v_ashrrev_i32_e32 v29, 31, v28
	s_delay_alu instid0(VALU_DEP_4)
	v_sub_nc_u32_e32 v39, v19, v35
	v_mad_co_u64_u32 v[34:35], null, v36, s14, v[18:19]
	s_clause 0x3
	global_load_b32 v25, v[20:21], off
	global_load_b32 v18, v[22:23], off
	;; [unrolled: 1-line block ×4, first 2 shown]
	v_ashrrev_i32_e32 v33, 31, v32
	v_mad_co_u64_u32 v[36:37], null, s65, v39, v[0:1]
	v_lshlrev_b64_e32 v[20:21], 2, v[28:29]
	v_ashrrev_i32_e32 v35, 31, v34
	s_delay_alu instid0(VALU_DEP_4) | instskip(NEXT) | instid1(VALU_DEP_4)
	v_lshlrev_b64_e32 v[28:29], 2, v[32:33]
	v_mul_lo_u32 v22, v36, s21
	s_delay_alu instid0(VALU_DEP_3)
	v_lshlrev_b64_e32 v[32:33], 2, v[34:35]
	v_add_co_u32 v20, vcc_lo, s12, v20
	s_wait_alu 0xfffd
	v_add_co_ci_u32_e64 v21, null, s13, v21, vcc_lo
	v_add_co_u32 v28, vcc_lo, s12, v28
	s_wait_alu 0xfffd
	v_add_co_ci_u32_e64 v29, null, s13, v29, vcc_lo
	;; [unrolled: 3-line block ×3, first 2 shown]
	v_mov_b32_e32 v34, 0
	s_wait_loadcnt 0x3
	v_mad_co_u64_u32 v[23:24], null, v38, s14, v[24:25]
	s_delay_alu instid0(VALU_DEP_1) | instskip(SKIP_1) | instid1(VALU_DEP_1)
	v_mad_co_u64_u32 v[30:31], null, v39, s20, v[22:23]
	v_ashrrev_i32_e32 v24, 31, v23
	v_lshlrev_b64_e32 v[22:23], 2, v[23:24]
	s_delay_alu instid0(VALU_DEP_3) | instskip(NEXT) | instid1(VALU_DEP_1)
	v_ashrrev_i32_e32 v31, 31, v30
	v_lshlrev_b64_e32 v[30:31], 2, v[30:31]
	s_delay_alu instid0(VALU_DEP_3) | instskip(SKIP_1) | instid1(VALU_DEP_4)
	v_add_co_u32 v22, vcc_lo, s12, v22
	s_wait_alu 0xfffd
	v_add_co_ci_u32_e64 v23, null, s13, v23, vcc_lo
	s_delay_alu instid0(VALU_DEP_3)
	v_add_co_u32 v30, vcc_lo, s18, v30
	s_wait_alu 0xfffd
	v_add_co_ci_u32_e64 v31, null, s19, v31, vcc_lo
	s_clause 0x3
	global_load_b32 v26, v[20:21], off
	global_load_b32 v24, v[28:29], off
	;; [unrolled: 1-line block ×5, first 2 shown]
	v_mov_b32_e32 v29, 0
	v_dual_mov_b32 v33, 0 :: v_dual_mov_b32 v22, 0
	v_dual_mov_b32 v30, 0 :: v_dual_mov_b32 v23, 0
	;; [unrolled: 1-line block ×3, first 2 shown]
	s_and_not1_b32 vcc_lo, exec_lo, s39
	s_wait_alu 0xfffe
	s_cbranch_vccnz .LBB5_5
; %bb.4:                                ;   in Loop: Header=BB5_3 Depth=1
	v_sub_nc_u32_e32 v22, v15, v16
	v_mad_co_u64_u32 v[15:16], null, s64, v17, v[0:1]
	s_delay_alu instid0(VALU_DEP_2) | instskip(SKIP_2) | instid1(VALU_DEP_4)
	v_mul_lo_u32 v17, s4, v22
	v_add_nc_u32_e32 v23, 2, v22
	v_add_nc_u32_e32 v29, 3, v22
	v_mul_lo_u32 v16, v15, s36
	s_delay_alu instid0(VALU_DEP_3) | instskip(SKIP_1) | instid1(VALU_DEP_4)
	v_mad_co_u64_u32 v[22:23], null, s4, v23, v[0:1]
	v_add3_u32 v23, v17, s4, v0
	v_mad_co_u64_u32 v[29:30], null, s4, v29, v[0:1]
	v_mul_lo_u32 v30, v15, s37
	v_ashrrev_i32_e32 v17, 31, v16
	s_delay_alu instid0(VALU_DEP_4)
	v_mul_lo_u32 v32, v23, s36
	v_mul_lo_u32 v15, v22, s36
	v_mul_lo_u32 v38, v23, s37
	v_mul_lo_u32 v22, v22, s37
	v_mul_lo_u32 v34, v29, s36
	v_lshlrev_b64_e32 v[36:37], 2, v[16:17]
	v_ashrrev_i32_e32 v31, 31, v30
	v_mul_lo_u32 v29, v29, s37
	v_ashrrev_i32_e32 v33, 31, v32
	v_ashrrev_i32_e32 v16, 31, v15
	;; [unrolled: 1-line block ×3, first 2 shown]
	v_add_co_u32 v36, vcc_lo, s6, v36
	v_ashrrev_i32_e32 v35, 31, v34
	v_lshlrev_b64_e32 v[32:33], 2, v[32:33]
	v_lshlrev_b64_e32 v[15:16], 2, v[15:16]
	s_wait_alu 0xfffd
	v_add_co_ci_u32_e64 v37, null, s7, v37, vcc_lo
	v_lshlrev_b64_e32 v[34:35], 2, v[34:35]
	v_lshlrev_b64_e32 v[30:31], 2, v[30:31]
	v_add_co_u32 v40, vcc_lo, s6, v32
	s_wait_alu 0xfffd
	v_add_co_ci_u32_e64 v41, null, s7, v33, vcc_lo
	v_add_co_u32 v15, vcc_lo, s6, v15
	s_wait_alu 0xfffd
	v_add_co_ci_u32_e64 v16, null, s7, v16, vcc_lo
	v_add_co_u32 v42, vcc_lo, s6, v34
	v_ashrrev_i32_e32 v23, 31, v22
	s_wait_alu 0xfffd
	v_add_co_ci_u32_e64 v43, null, s7, v35, vcc_lo
	v_lshlrev_b64_e32 v[32:33], 2, v[38:39]
	v_add_co_u32 v38, vcc_lo, s16, v30
	v_ashrrev_i32_e32 v30, 31, v29
	v_lshlrev_b64_e32 v[22:23], 2, v[22:23]
	s_wait_alu 0xfffd
	v_add_co_ci_u32_e64 v39, null, s17, v31, vcc_lo
	v_add_co_u32 v44, vcc_lo, s16, v32
	v_lshlrev_b64_e32 v[29:30], 2, v[29:30]
	s_wait_alu 0xfffd
	v_add_co_ci_u32_e64 v45, null, s17, v33, vcc_lo
	v_add_co_u32 v46, vcc_lo, s16, v22
	s_wait_alu 0xfffd
	v_add_co_ci_u32_e64 v47, null, s17, v23, vcc_lo
	v_add_co_u32 v48, vcc_lo, s16, v29
	s_wait_alu 0xfffd
	v_add_co_ci_u32_e64 v49, null, s17, v30, vcc_lo
	s_clause 0x3
	global_load_b32 v32, v[36:37], off
	global_load_b32 v31, v[40:41], off
	;; [unrolled: 1-line block ×4, first 2 shown]
	s_clause 0x3
	global_load_b32 v30, v[38:39], off
	global_load_b32 v29, v[44:45], off
	;; [unrolled: 1-line block ×4, first 2 shown]
.LBB5_5:                                ;   in Loop: Header=BB5_3 Depth=1
	s_wait_loadcnt 0x2
	v_add_f32_e32 v15, v27, v28
                                        ; implicit-def: $vgpr17
	s_delay_alu instid0(VALU_DEP_1) | instskip(SKIP_1) | instid1(VALU_DEP_1)
	v_add_f32_e32 v15, v15, v34
	s_wait_loadcnt 0x1
	v_add_f32_e32 v15, v33, v15
	s_delay_alu instid0(VALU_DEP_1)
	v_cmp_ngt_f32_e64 s0, 0x3f200000, |v15|
	s_and_saveexec_b32 s1, s0
	s_wait_alu 0xfffe
	s_xor_b32 s0, exec_lo, s1
	s_cbranch_execz .LBB5_7
; %bb.6:                                ;   in Loop: Header=BB5_3 Depth=1
	v_add_f32_e64 v16, |v15|, |v15|
	s_delay_alu instid0(VALU_DEP_1) | instskip(SKIP_1) | instid1(VALU_DEP_2)
	v_mul_f32_e32 v17, 0x3fb8aa3b, v16
	v_cmp_ngt_f32_e32 vcc_lo, 0xc2ce8ed0, v16
	v_rndne_f32_e32 v27, v17
	v_fma_f32 v28, 0x3fb8aa3b, v16, -v17
	s_delay_alu instid0(VALU_DEP_1) | instskip(SKIP_1) | instid1(VALU_DEP_2)
	v_dual_sub_f32 v17, v17, v27 :: v_dual_fmac_f32 v28, 0x32a5705f, v16
	v_cvt_i32_f32_e32 v27, v27
	v_add_f32_e32 v17, v17, v28
	s_delay_alu instid0(VALU_DEP_1) | instskip(NEXT) | instid1(TRANS32_DEP_1)
	v_exp_f32_e32 v17, v17
	v_ldexp_f32 v17, v17, v27
	s_wait_alu 0xfffd
	s_delay_alu instid0(VALU_DEP_1) | instskip(SKIP_2) | instid1(VALU_DEP_2)
	v_cndmask_b32_e32 v17, 0, v17, vcc_lo
	v_cmp_nlt_f32_e32 vcc_lo, 0x42b17218, v16
	s_wait_alu 0xfffd
	v_cndmask_b32_e32 v16, 0x7f800000, v17, vcc_lo
	s_delay_alu instid0(VALU_DEP_1) | instskip(NEXT) | instid1(VALU_DEP_1)
	v_add_f32_e32 v16, 1.0, v16
	v_rcp_f32_e32 v16, v16
	s_delay_alu instid0(TRANS32_DEP_1)
	v_fma_f32 v17, v16, -2.0, 1.0
.LBB5_7:                                ;   in Loop: Header=BB5_3 Depth=1
	s_wait_alu 0xfffe
	s_and_not1_saveexec_b32 s0, s0
	s_cbranch_execz .LBB5_9
; %bb.8:                                ;   in Loop: Header=BB5_3 Depth=1
	v_mul_f32_e32 v16, v15, v15
	s_delay_alu instid0(VALU_DEP_1) | instskip(NEXT) | instid1(VALU_DEP_1)
	v_fmaak_f32 v17, s68, v16, 0x3ca908c9
	v_fmaak_f32 v17, v16, v17, 0xbd5c1c4e
	s_delay_alu instid0(VALU_DEP_1) | instskip(NEXT) | instid1(VALU_DEP_1)
	v_fmaak_f32 v17, v16, v17, 0x3e088382
	v_fmaak_f32 v17, v16, v17, 0xbeaaaa99
	s_delay_alu instid0(VALU_DEP_1) | instskip(NEXT) | instid1(VALU_DEP_1)
	v_mul_f32_e64 v17, |v15|, v17
	v_fma_f32 v17, v16, v17, |v15|
.LBB5_9:                                ;   in Loop: Header=BB5_3 Depth=1
	s_wait_alu 0xfffe
	s_or_b32 exec_lo, exec_lo, s0
	v_add_f32_e32 v18, v18, v24
	v_add_f32_e32 v16, v25, v26
	v_bfi_b32 v15, 0x7fffffff, v17, v15
	s_delay_alu instid0(VALU_DEP_3) | instskip(NEXT) | instid1(VALU_DEP_1)
	v_add_f32_e32 v18, v18, v31
	v_add_f32_e32 v18, v29, v18
	s_delay_alu instid0(VALU_DEP_1) | instskip(NEXT) | instid1(VALU_DEP_1)
	v_dual_add_f32 v16, v16, v32 :: v_dual_mul_f32 v25, 0xbfb8aa3b, v18
	v_add_f32_e32 v16, v30, v16
	s_delay_alu instid0(VALU_DEP_2) | instskip(NEXT) | instid1(VALU_DEP_2)
	v_fma_f32 v28, 0xbfb8aa3b, v18, -v25
	v_mul_f32_e32 v24, 0xbfb8aa3b, v16
	v_rndne_f32_e32 v29, v25
	v_cmp_nlt_f32_e32 vcc_lo, 0x42ce8ed0, v16
	s_delay_alu instid0(VALU_DEP_4) | instskip(NEXT) | instid1(VALU_DEP_4)
	v_fmac_f32_e32 v28, 0xb2a5705f, v18
	v_fma_f32 v26, 0xbfb8aa3b, v16, -v24
	v_rndne_f32_e32 v27, v24
	s_delay_alu instid0(VALU_DEP_2) | instskip(NEXT) | instid1(VALU_DEP_1)
	v_dual_sub_f32 v25, v25, v29 :: v_dual_fmac_f32 v26, 0xb2a5705f, v16
	v_dual_sub_f32 v24, v24, v27 :: v_dual_add_f32 v25, v25, v28
	s_delay_alu instid0(VALU_DEP_1) | instskip(NEXT) | instid1(VALU_DEP_2)
	v_add_f32_e32 v24, v24, v26
	v_exp_f32_e32 v25, v25
	v_cvt_i32_f32_e32 v26, v27
	v_cvt_i32_f32_e32 v27, v29
	s_delay_alu instid0(VALU_DEP_3)
	v_exp_f32_e32 v24, v24
	s_delay_alu instid0(TRANS32_DEP_2) | instid1(VALU_DEP_1)
	v_ldexp_f32 v25, v25, v27
	s_delay_alu instid0(TRANS32_DEP_1) | instskip(SKIP_1) | instid1(VALU_DEP_1)
	v_ldexp_f32 v24, v24, v26
	s_wait_alu 0xfffd
	v_cndmask_b32_e32 v24, 0, v24, vcc_lo
	v_cmp_nlt_f32_e32 vcc_lo, 0x42ce8ed0, v18
	s_wait_alu 0xfffd
	v_cndmask_b32_e32 v25, 0, v25, vcc_lo
	v_cmp_ngt_f32_e32 vcc_lo, 0xc2b17218, v16
	s_wait_alu 0xfffd
	v_cndmask_b32_e32 v16, 0x7f800000, v24, vcc_lo
	v_cmp_ngt_f32_e32 vcc_lo, 0xc2b17218, v18
	s_delay_alu instid0(VALU_DEP_2) | instskip(SKIP_2) | instid1(VALU_DEP_2)
	v_add_f32_e32 v16, 1.0, v16
	s_wait_alu 0xfffd
	v_cndmask_b32_e32 v18, 0x7f800000, v25, vcc_lo
	v_div_scale_f32 v24, null, v16, v16, 1.0
	s_delay_alu instid0(VALU_DEP_2) | instskip(SKIP_1) | instid1(VALU_DEP_3)
	v_add_f32_e32 v18, 1.0, v18
	v_div_scale_f32 v30, vcc_lo, 1.0, v16, 1.0
	v_rcp_f32_e32 v26, v24
	s_delay_alu instid0(VALU_DEP_2) | instskip(NEXT) | instid1(VALU_DEP_1)
	v_div_scale_f32 v25, null, v18, v18, 1.0
	v_rcp_f32_e32 v27, v25
	s_delay_alu instid0(TRANS32_DEP_2) | instskip(NEXT) | instid1(VALU_DEP_1)
	v_fma_f32 v28, -v24, v26, 1.0
	v_fmac_f32_e32 v26, v28, v26
	v_div_scale_f32 v28, s0, 1.0, v18, 1.0
	s_delay_alu instid0(TRANS32_DEP_1) | instskip(NEXT) | instid1(VALU_DEP_1)
	v_fma_f32 v29, -v25, v27, 1.0
	v_fmac_f32_e32 v27, v29, v27
	s_delay_alu instid0(VALU_DEP_4) | instskip(NEXT) | instid1(VALU_DEP_2)
	v_mul_f32_e32 v29, v30, v26
	v_mul_f32_e32 v31, v28, v27
	s_delay_alu instid0(VALU_DEP_2) | instskip(NEXT) | instid1(VALU_DEP_2)
	v_fma_f32 v32, -v24, v29, v30
	v_fma_f32 v33, -v25, v31, v28
	s_delay_alu instid0(VALU_DEP_2) | instskip(NEXT) | instid1(VALU_DEP_2)
	v_fmac_f32_e32 v29, v32, v26
	v_fmac_f32_e32 v31, v33, v27
	s_delay_alu instid0(VALU_DEP_2) | instskip(NEXT) | instid1(VALU_DEP_2)
	v_fma_f32 v24, -v24, v29, v30
	v_fma_f32 v25, -v25, v31, v28
	s_wait_alu 0xfffd
	s_delay_alu instid0(VALU_DEP_2) | instskip(SKIP_3) | instid1(VALU_DEP_2)
	v_div_fmas_f32 v24, v24, v26, v29
	s_mov_b32 vcc_lo, s0
	s_wait_alu 0xfffe
	v_div_fmas_f32 v25, v25, v27, v31
	v_div_fixup_f32 v16, v24, v16, 1.0
	s_delay_alu instid0(VALU_DEP_2) | instskip(NEXT) | instid1(VALU_DEP_2)
	v_div_fixup_f32 v17, v25, v18, 1.0
	v_mul_f32_e32 v18, v16, v15
	s_wait_loadcnt 0x0
	s_delay_alu instid0(VALU_DEP_1) | instskip(NEXT) | instid1(VALU_DEP_1)
	v_fmac_f32_e32 v18, v21, v17
                                        ; implicit-def: $vgpr21
	v_cmp_ngt_f32_e64 s0, 0x3f200000, |v18|
	s_and_saveexec_b32 s1, s0
	s_wait_alu 0xfffe
	s_xor_b32 s0, exec_lo, s1
	s_cbranch_execz .LBB5_11
; %bb.10:                               ;   in Loop: Header=BB5_3 Depth=1
	v_add_f32_e64 v21, |v18|, |v18|
	s_delay_alu instid0(VALU_DEP_1) | instskip(SKIP_1) | instid1(VALU_DEP_2)
	v_mul_f32_e32 v24, 0x3fb8aa3b, v21
	v_cmp_ngt_f32_e32 vcc_lo, 0xc2ce8ed0, v21
	v_rndne_f32_e32 v25, v24
	v_fma_f32 v26, 0x3fb8aa3b, v21, -v24
	s_delay_alu instid0(VALU_DEP_2) | instskip(NEXT) | instid1(VALU_DEP_2)
	v_sub_f32_e32 v24, v24, v25
	v_fmac_f32_e32 v26, 0x32a5705f, v21
	v_cvt_i32_f32_e32 v25, v25
	s_delay_alu instid0(VALU_DEP_2) | instskip(NEXT) | instid1(VALU_DEP_1)
	v_add_f32_e32 v24, v24, v26
	v_exp_f32_e32 v24, v24
	s_delay_alu instid0(TRANS32_DEP_1) | instskip(SKIP_1) | instid1(VALU_DEP_1)
	v_ldexp_f32 v24, v24, v25
	s_wait_alu 0xfffd
	v_cndmask_b32_e32 v24, 0, v24, vcc_lo
	v_cmp_nlt_f32_e32 vcc_lo, 0x42b17218, v21
	s_wait_alu 0xfffd
	s_delay_alu instid0(VALU_DEP_2) | instskip(NEXT) | instid1(VALU_DEP_1)
	v_cndmask_b32_e32 v21, 0x7f800000, v24, vcc_lo
	v_add_f32_e32 v21, 1.0, v21
	s_delay_alu instid0(VALU_DEP_1) | instskip(NEXT) | instid1(TRANS32_DEP_1)
	v_rcp_f32_e32 v21, v21
	v_fma_f32 v21, v21, -2.0, 1.0
.LBB5_11:                               ;   in Loop: Header=BB5_3 Depth=1
	s_wait_alu 0xfffe
	s_and_not1_saveexec_b32 s0, s0
	s_cbranch_execz .LBB5_2
; %bb.12:                               ;   in Loop: Header=BB5_3 Depth=1
	v_mul_f32_e32 v21, v18, v18
	s_delay_alu instid0(VALU_DEP_1) | instskip(NEXT) | instid1(VALU_DEP_1)
	v_fmaak_f32 v24, s68, v21, 0x3ca908c9
	v_fmaak_f32 v24, v21, v24, 0xbd5c1c4e
	s_delay_alu instid0(VALU_DEP_1) | instskip(NEXT) | instid1(VALU_DEP_1)
	v_fmaak_f32 v24, v21, v24, 0x3e088382
	v_fmaak_f32 v24, v21, v24, 0xbeaaaa99
	s_delay_alu instid0(VALU_DEP_1) | instskip(NEXT) | instid1(VALU_DEP_1)
	v_mul_f32_e64 v24, |v18|, v24
	v_fma_f32 v21, v21, v24, |v18|
	s_branch .LBB5_2
.LBB5_13:
	s_endpgm
	.section	.rodata,"a",@progbits
	.p2align	6, 0x0
	.amdhsa_kernel _ZN2at6native12_GLOBAL__N_16kernel17lstm_cell_forwardIffiLi2EEEvNS_4cuda6detail10TensorInfoIT_T1_EES9_S9_S9_S9_S9_S9_S9_S8_S8_
		.amdhsa_group_segment_fixed_size 0
		.amdhsa_private_segment_fixed_size 0
		.amdhsa_kernarg_size 1992
		.amdhsa_user_sgpr_count 2
		.amdhsa_user_sgpr_dispatch_ptr 0
		.amdhsa_user_sgpr_queue_ptr 0
		.amdhsa_user_sgpr_kernarg_segment_ptr 1
		.amdhsa_user_sgpr_dispatch_id 0
		.amdhsa_user_sgpr_private_segment_size 0
		.amdhsa_wavefront_size32 1
		.amdhsa_uses_dynamic_stack 0
		.amdhsa_enable_private_segment 0
		.amdhsa_system_sgpr_workgroup_id_x 1
		.amdhsa_system_sgpr_workgroup_id_y 0
		.amdhsa_system_sgpr_workgroup_id_z 0
		.amdhsa_system_sgpr_workgroup_info 0
		.amdhsa_system_vgpr_workitem_id 0
		.amdhsa_next_free_vgpr 50
		.amdhsa_next_free_sgpr 69
		.amdhsa_reserve_vcc 1
		.amdhsa_float_round_mode_32 0
		.amdhsa_float_round_mode_16_64 0
		.amdhsa_float_denorm_mode_32 3
		.amdhsa_float_denorm_mode_16_64 3
		.amdhsa_fp16_overflow 0
		.amdhsa_workgroup_processor_mode 1
		.amdhsa_memory_ordered 1
		.amdhsa_forward_progress 1
		.amdhsa_inst_pref_size 41
		.amdhsa_round_robin_scheduling 0
		.amdhsa_exception_fp_ieee_invalid_op 0
		.amdhsa_exception_fp_denorm_src 0
		.amdhsa_exception_fp_ieee_div_zero 0
		.amdhsa_exception_fp_ieee_overflow 0
		.amdhsa_exception_fp_ieee_underflow 0
		.amdhsa_exception_fp_ieee_inexact 0
		.amdhsa_exception_int_div_zero 0
	.end_amdhsa_kernel
	.section	.text._ZN2at6native12_GLOBAL__N_16kernel17lstm_cell_forwardIffiLi2EEEvNS_4cuda6detail10TensorInfoIT_T1_EES9_S9_S9_S9_S9_S9_S9_S8_S8_,"axG",@progbits,_ZN2at6native12_GLOBAL__N_16kernel17lstm_cell_forwardIffiLi2EEEvNS_4cuda6detail10TensorInfoIT_T1_EES9_S9_S9_S9_S9_S9_S9_S8_S8_,comdat
.Lfunc_end5:
	.size	_ZN2at6native12_GLOBAL__N_16kernel17lstm_cell_forwardIffiLi2EEEvNS_4cuda6detail10TensorInfoIT_T1_EES9_S9_S9_S9_S9_S9_S9_S8_S8_, .Lfunc_end5-_ZN2at6native12_GLOBAL__N_16kernel17lstm_cell_forwardIffiLi2EEEvNS_4cuda6detail10TensorInfoIT_T1_EES9_S9_S9_S9_S9_S9_S9_S8_S8_
                                        ; -- End function
	.set _ZN2at6native12_GLOBAL__N_16kernel17lstm_cell_forwardIffiLi2EEEvNS_4cuda6detail10TensorInfoIT_T1_EES9_S9_S9_S9_S9_S9_S9_S8_S8_.num_vgpr, 50
	.set _ZN2at6native12_GLOBAL__N_16kernel17lstm_cell_forwardIffiLi2EEEvNS_4cuda6detail10TensorInfoIT_T1_EES9_S9_S9_S9_S9_S9_S9_S8_S8_.num_agpr, 0
	.set _ZN2at6native12_GLOBAL__N_16kernel17lstm_cell_forwardIffiLi2EEEvNS_4cuda6detail10TensorInfoIT_T1_EES9_S9_S9_S9_S9_S9_S9_S8_S8_.numbered_sgpr, 69
	.set _ZN2at6native12_GLOBAL__N_16kernel17lstm_cell_forwardIffiLi2EEEvNS_4cuda6detail10TensorInfoIT_T1_EES9_S9_S9_S9_S9_S9_S9_S8_S8_.num_named_barrier, 0
	.set _ZN2at6native12_GLOBAL__N_16kernel17lstm_cell_forwardIffiLi2EEEvNS_4cuda6detail10TensorInfoIT_T1_EES9_S9_S9_S9_S9_S9_S9_S8_S8_.private_seg_size, 0
	.set _ZN2at6native12_GLOBAL__N_16kernel17lstm_cell_forwardIffiLi2EEEvNS_4cuda6detail10TensorInfoIT_T1_EES9_S9_S9_S9_S9_S9_S9_S8_S8_.uses_vcc, 1
	.set _ZN2at6native12_GLOBAL__N_16kernel17lstm_cell_forwardIffiLi2EEEvNS_4cuda6detail10TensorInfoIT_T1_EES9_S9_S9_S9_S9_S9_S9_S8_S8_.uses_flat_scratch, 0
	.set _ZN2at6native12_GLOBAL__N_16kernel17lstm_cell_forwardIffiLi2EEEvNS_4cuda6detail10TensorInfoIT_T1_EES9_S9_S9_S9_S9_S9_S9_S8_S8_.has_dyn_sized_stack, 0
	.set _ZN2at6native12_GLOBAL__N_16kernel17lstm_cell_forwardIffiLi2EEEvNS_4cuda6detail10TensorInfoIT_T1_EES9_S9_S9_S9_S9_S9_S9_S8_S8_.has_recursion, 0
	.set _ZN2at6native12_GLOBAL__N_16kernel17lstm_cell_forwardIffiLi2EEEvNS_4cuda6detail10TensorInfoIT_T1_EES9_S9_S9_S9_S9_S9_S9_S8_S8_.has_indirect_call, 0
	.section	.AMDGPU.csdata,"",@progbits
; Kernel info:
; codeLenInByte = 5208
; TotalNumSgprs: 71
; NumVgprs: 50
; ScratchSize: 0
; MemoryBound: 0
; FloatMode: 240
; IeeeMode: 1
; LDSByteSize: 0 bytes/workgroup (compile time only)
; SGPRBlocks: 0
; VGPRBlocks: 6
; NumSGPRsForWavesPerEU: 71
; NumVGPRsForWavesPerEU: 50
; Occupancy: 16
; WaveLimiterHint : 1
; COMPUTE_PGM_RSRC2:SCRATCH_EN: 0
; COMPUTE_PGM_RSRC2:USER_SGPR: 2
; COMPUTE_PGM_RSRC2:TRAP_HANDLER: 0
; COMPUTE_PGM_RSRC2:TGID_X_EN: 1
; COMPUTE_PGM_RSRC2:TGID_Y_EN: 0
; COMPUTE_PGM_RSRC2:TGID_Z_EN: 0
; COMPUTE_PGM_RSRC2:TIDIG_COMP_CNT: 0
	.section	.text._ZN2at6native12_GLOBAL__N_16kernel17lstm_cell_forwardIfflLi1EEEvNS_4cuda6detail10TensorInfoIT_T1_EES9_S9_S9_S9_S9_S9_S9_S8_S8_,"axG",@progbits,_ZN2at6native12_GLOBAL__N_16kernel17lstm_cell_forwardIfflLi1EEEvNS_4cuda6detail10TensorInfoIT_T1_EES9_S9_S9_S9_S9_S9_S9_S8_S8_,comdat
	.globl	_ZN2at6native12_GLOBAL__N_16kernel17lstm_cell_forwardIfflLi1EEEvNS_4cuda6detail10TensorInfoIT_T1_EES9_S9_S9_S9_S9_S9_S9_S8_S8_ ; -- Begin function _ZN2at6native12_GLOBAL__N_16kernel17lstm_cell_forwardIfflLi1EEEvNS_4cuda6detail10TensorInfoIT_T1_EES9_S9_S9_S9_S9_S9_S9_S8_S8_
	.p2align	8
	.type	_ZN2at6native12_GLOBAL__N_16kernel17lstm_cell_forwardIfflLi1EEEvNS_4cuda6detail10TensorInfoIT_T1_EES9_S9_S9_S9_S9_S9_S9_S8_S8_,@function
_ZN2at6native12_GLOBAL__N_16kernel17lstm_cell_forwardIfflLi1EEEvNS_4cuda6detail10TensorInfoIT_T1_EES9_S9_S9_S9_S9_S9_S9_S8_S8_: ; @_ZN2at6native12_GLOBAL__N_16kernel17lstm_cell_forwardIfflLi1EEEvNS_4cuda6detail10TensorInfoIT_T1_EES9_S9_S9_S9_S9_S9_S9_S8_S8_
; %bb.0:
	s_clause 0x1
	s_load_b32 s2, s[0:1], 0xd1c
	s_load_b128 s[4:7], s[0:1], 0xd00
	v_mov_b32_e32 v1, 0
	s_wait_kmcnt 0x0
	s_and_b32 s22, s2, 0xffff
	s_mov_b32 s2, exec_lo
	s_delay_alu instid0(VALU_DEP_1) | instskip(SKIP_1) | instid1(VALU_DEP_1)
	v_mad_co_u64_u32 v[3:4], null, ttmp9, s22, v[0:1]
	v_mov_b32_e32 v4, v1
	v_cmpx_gt_i64_e64 s[6:7], v[3:4]
	s_cbranch_execz .LBB6_18
; %bb.1:
	s_load_b64 s[36:37], s[0:1], 0x750
	s_add_nc_u64 s[8:9], s[0:1], 0xd10
	s_clause 0x3
	s_load_b64 s[2:3], s[0:1], 0x340
	s_load_b64 s[38:39], s[0:1], 0x680
	;; [unrolled: 1-line block ×4, first 2 shown]
	s_load_b32 s28, s[8:9], 0x0
	s_clause 0xa
	s_load_b64 s[8:9], s[0:1], 0x0
	s_load_b64 s[10:11], s[0:1], 0xd0
	;; [unrolled: 1-line block ×11, first 2 shown]
	s_mov_b32 s23, 0
	s_mul_u64 s[30:31], s[4:5], 3
	s_wait_alu 0xfffe
	s_mov_b32 s29, s23
	s_sub_nc_u64 s[34:35], 0, s[4:5]
	s_wait_kmcnt 0x0
	s_cmp_lg_u64 s[2:3], 0
	s_cselect_b32 s33, -1, 0
	v_mul_lo_u32 v11, 0, s42
	v_mad_co_u64_u32 v[7:8], null, v3, s42, 0
	s_mul_i32 s28, s28, s22
	v_mul_lo_u32 v0, 0, s36
	v_mul_lo_u32 v2, v3, s37
	v_mad_co_u64_u32 v[5:6], null, v3, s36, 0
	v_mul_lo_u32 v12, v3, s45
	v_mad_co_u64_u32 v[9:10], null, v3, s44, 0
	s_mul_u64 s[0:1], s[28:29], s[36:37]
	s_wait_alu 0xfffe
	s_lshl_b64 s[36:37], s[0:1], 2
	v_add3_u32 v6, v6, v2, v0
	v_mul_lo_u32 v0, v3, s43
	v_mul_lo_u32 v2, 0, s44
	s_mul_u64 s[0:1], s[28:29], s[42:43]
	s_ashr_i32 s42, s5, 31
	v_lshlrev_b64_e32 v[5:6], 2, v[5:6]
	s_delay_alu instid0(VALU_DEP_3) | instskip(SKIP_1) | instid1(VALU_DEP_4)
	v_add3_u32 v8, v8, v0, v11
	v_cvt_f32_u32_e32 v0, s4
	v_add3_u32 v10, v10, v12, v2
	s_delay_alu instid0(VALU_DEP_4) | instskip(NEXT) | instid1(VALU_DEP_4)
	v_add_co_u32 v5, vcc_lo, s38, v5
	v_lshlrev_b64_e32 v[7:8], 2, v[7:8]
	s_delay_alu instid0(VALU_DEP_4) | instskip(NEXT) | instid1(VALU_DEP_3)
	v_rcp_iflag_f32_e32 v0, v0
	v_lshlrev_b64_e32 v[9:10], 2, v[9:10]
	v_add_co_ci_u32_e64 v6, null, s39, v6, vcc_lo
	s_wait_alu 0xfffe
	s_lshl_b64 s[38:39], s[0:1], 2
	v_add_co_u32 v7, vcc_lo, s40, v7
	s_wait_alu 0xfffd
	v_add_co_ci_u32_e64 v8, null, s41, v8, vcc_lo
	v_add_co_u32 v9, vcc_lo, s46, v9
	s_delay_alu instid0(TRANS32_DEP_1)
	v_mul_f32_e32 v0, 0x4f7ffffe, v0
	s_wait_alu 0xfffd
	v_add_co_ci_u32_e64 v10, null, s47, v10, vcc_lo
	s_mul_u64 s[0:1], s[28:29], s[44:45]
	s_mov_b32 s29, 0xbbbac73d
	v_cvt_u32_f32_e32 v0, v0
	s_wait_alu 0xfffe
	s_lshl_b64 s[40:41], s[0:1], 2
	s_mov_b32 s46, 0
	s_branch .LBB6_3
.LBB6_2:                                ;   in Loop: Header=BB6_3 Depth=1
	s_wait_alu 0xfffe
	s_or_b32 exec_lo, exec_lo, s0
	v_add_f32_e32 v16, v16, v21
	v_mul_lo_u32 v29, v20, s26
	v_mul_lo_u32 v31, v14, s27
	;; [unrolled: 1-line block ×4, first 2 shown]
	v_add_f32_e32 v16, v16, v17
	v_mul_lo_u32 v2, v2, s26
	v_mul_lo_u32 v19, v19, s26
	;; [unrolled: 1-line block ×3, first 2 shown]
	v_bfi_b32 v22, 0x7fffffff, v22, v26
	v_add_f32_e32 v16, v18, v16
	v_add_co_u32 v3, s0, v3, s28
	s_wait_alu 0xf1ff
	v_add_co_ci_u32_e64 v4, null, 0, v4, s0
	s_delay_alu instid0(VALU_DEP_3) | instskip(SKIP_3) | instid1(VALU_DEP_3)
	v_mul_f32_e32 v17, 0xbfb8aa3b, v16
	v_add_co_u32 v5, s0, v5, s36
	s_wait_alu 0xf1ff
	v_add_co_ci_u32_e64 v6, null, s37, v6, s0
	v_fma_f32 v18, 0xbfb8aa3b, v16, -v17
	v_rndne_f32_e32 v21, v17
	v_cmp_le_i64_e64 s0, s[6:7], v[3:4]
	s_delay_alu instid0(VALU_DEP_2) | instskip(SKIP_3) | instid1(VALU_DEP_1)
	v_sub_f32_e32 v17, v17, v21
	v_cmp_nlt_f32_e32 vcc_lo, 0x42ce8ed0, v16
	v_fmac_f32_e32 v18, 0xb2a5705f, v16
	s_or_b32 s46, s0, s46
	v_add_f32_e32 v17, v17, v18
	v_cvt_i32_f32_e32 v18, v21
	v_mad_co_u64_u32 v[20:21], null, v14, s26, 0
	v_mad_co_u64_u32 v[13:14], null, v15, s26, 0
	s_delay_alu instid0(VALU_DEP_4) | instskip(NEXT) | instid1(VALU_DEP_2)
	v_exp_f32_e32 v17, v17
	v_add3_u32 v21, v21, v31, v29
	s_delay_alu instid0(VALU_DEP_2) | instskip(NEXT) | instid1(TRANS32_DEP_1)
	v_add3_u32 v14, v14, v34, v33
	v_ldexp_f32 v17, v17, v18
	v_mul_lo_u32 v18, v11, s27
	s_delay_alu instid0(VALU_DEP_3) | instskip(SKIP_1) | instid1(VALU_DEP_3)
	v_lshlrev_b64_e32 v[13:14], 2, v[13:14]
	s_wait_alu 0xfffd
	v_cndmask_b32_e32 v17, 0, v17, vcc_lo
	v_cmp_ngt_f32_e32 vcc_lo, 0xc2b17218, v16
	s_wait_alu 0xfffd
	s_delay_alu instid0(VALU_DEP_2) | instskip(NEXT) | instid1(VALU_DEP_1)
	v_cndmask_b32_e32 v16, 0x7f800000, v17, vcc_lo
	v_add_f32_e32 v27, 1.0, v16
	v_mad_co_u64_u32 v[16:17], null, v11, s26, 0
	v_mad_co_u64_u32 v[11:12], null, v12, s26, 0
	s_delay_alu instid0(VALU_DEP_3) | instskip(SKIP_1) | instid1(VALU_DEP_4)
	v_div_scale_f32 v28, null, v27, v27, 1.0
	v_div_scale_f32 v36, vcc_lo, 1.0, v27, 1.0
	v_add3_u32 v17, v17, v18, v2
	s_delay_alu instid0(VALU_DEP_3) | instskip(NEXT) | instid1(VALU_DEP_4)
	v_rcp_f32_e32 v30, v28
	v_add3_u32 v12, v12, v32, v19
	s_delay_alu instid0(VALU_DEP_1) | instskip(NEXT) | instid1(TRANS32_DEP_1)
	v_lshlrev_b64_e32 v[11:12], 2, v[11:12]
	v_fma_f32 v35, -v28, v30, 1.0
	s_delay_alu instid0(VALU_DEP_1) | instskip(NEXT) | instid1(VALU_DEP_1)
	v_fmac_f32_e32 v30, v35, v30
	v_mul_f32_e32 v35, v36, v30
	s_delay_alu instid0(VALU_DEP_1) | instskip(NEXT) | instid1(VALU_DEP_1)
	v_fma_f32 v15, -v28, v35, v36
	v_fmac_f32_e32 v35, v15, v30
	v_lshlrev_b64_e32 v[15:16], 2, v[16:17]
	v_lshlrev_b64_e32 v[17:18], 2, v[20:21]
	s_delay_alu instid0(VALU_DEP_3) | instskip(NEXT) | instid1(VALU_DEP_3)
	v_fma_f32 v2, -v28, v35, v36
	v_add_co_u32 v15, s1, s24, v15
	s_wait_alu 0xf1ff
	s_delay_alu instid0(VALU_DEP_4)
	v_add_co_ci_u32_e64 v16, null, s25, v16, s1
	s_wait_alu 0xfffd
	v_div_fmas_f32 v2, v2, v30, v35
	v_add_co_u32 v17, vcc_lo, s24, v17
	s_wait_alu 0xfffd
	v_add_co_ci_u32_e64 v18, null, s25, v18, vcc_lo
	s_delay_alu instid0(VALU_DEP_3) | instskip(SKIP_3) | instid1(VALU_DEP_3)
	v_div_fixup_f32 v2, v2, v27, 1.0
	v_add_co_u32 v11, vcc_lo, s24, v11
	s_wait_alu 0xfffd
	v_add_co_ci_u32_e64 v12, null, s25, v12, vcc_lo
	v_mul_f32_e32 v19, v2, v22
	v_add_co_u32 v13, vcc_lo, s24, v13
	s_wait_alu 0xfffd
	v_add_co_ci_u32_e64 v14, null, s25, v14, vcc_lo
	global_store_b32 v[7:8], v19, off
	global_store_b32 v[9:10], v26, off
	;; [unrolled: 1-line block ×3, first 2 shown]
	v_add_co_u32 v7, vcc_lo, v7, s38
	s_wait_alu 0xfffd
	v_add_co_ci_u32_e64 v8, null, s39, v8, vcc_lo
	v_add_co_u32 v9, vcc_lo, v9, s40
	s_wait_alu 0xfffd
	v_add_co_ci_u32_e64 v10, null, s41, v10, vcc_lo
	s_clause 0x2
	global_store_b32 v[17:18], v24, off
	global_store_b32 v[11:12], v23, off
	;; [unrolled: 1-line block ×3, first 2 shown]
	s_wait_alu 0xfffe
	s_and_not1_b32 exec_lo, exec_lo, s46
	s_cbranch_execz .LBB6_18
.LBB6_3:                                ; =>This Inner Loop Header: Depth=1
	v_or_b32_e32 v2, s5, v4
                                        ; implicit-def: $vgpr17_vgpr18
	s_mov_b32 s0, exec_lo
	s_delay_alu instid0(VALU_DEP_1)
	v_cmpx_ne_u64_e32 0, v[1:2]
	s_wait_alu 0xfffe
	s_xor_b32 s1, exec_lo, s0
	s_cbranch_execz .LBB6_5
; %bb.4:                                ;   in Loop: Header=BB6_3 Depth=1
	s_mov_b32 s43, s42
	v_ashrrev_i32_e32 v2, 31, v4
	s_wait_alu 0xfffe
	s_add_nc_u64 s[44:45], s[4:5], s[42:43]
	s_wait_alu 0xfffe
	s_xor_b64 s[44:45], s[44:45], s[42:43]
	v_add_co_u32 v11, vcc_lo, v3, v2
	s_wait_alu 0xfffe
	s_cvt_f32_u32 s0, s44
	s_cvt_f32_u32 s22, s45
	s_sub_nc_u64 s[50:51], 0, s[44:45]
	s_wait_alu 0xfffd
	v_add_co_ci_u32_e64 v12, null, v4, v2, vcc_lo
	s_wait_alu 0xfffe
	s_fmamk_f32 s0, s22, 0x4f800000, s0
	v_xor_b32_e32 v17, v11, v2
	s_delay_alu instid0(VALU_DEP_2) | instskip(SKIP_3) | instid1(TRANS32_DEP_1)
	v_xor_b32_e32 v18, v12, v2
	s_wait_alu 0xfffe
	v_s_rcp_f32 s0, s0
	v_xor_b32_e32 v2, s42, v2
	s_mul_f32 s0, s0, 0x5f7ffffc
	s_wait_alu 0xfffe
	s_delay_alu instid0(SALU_CYCLE_2) | instskip(SKIP_1) | instid1(SALU_CYCLE_2)
	s_mul_f32 s22, s0, 0x2f800000
	s_wait_alu 0xfffe
	s_trunc_f32 s22, s22
	s_wait_alu 0xfffe
	s_delay_alu instid0(SALU_CYCLE_2) | instskip(SKIP_2) | instid1(SALU_CYCLE_1)
	s_fmamk_f32 s0, s22, 0xcf800000, s0
	s_cvt_u32_f32 s49, s22
	s_wait_alu 0xfffe
	s_cvt_u32_f32 s48, s0
	s_delay_alu instid0(SALU_CYCLE_3) | instskip(NEXT) | instid1(SALU_CYCLE_1)
	s_mul_u64 s[52:53], s[50:51], s[48:49]
	s_mul_hi_u32 s55, s48, s53
	s_mul_i32 s54, s48, s53
	s_mul_hi_u32 s22, s48, s52
	s_mul_i32 s43, s49, s52
	s_wait_alu 0xfffe
	s_add_nc_u64 s[54:55], s[22:23], s[54:55]
	s_mul_hi_u32 s0, s49, s52
	s_mul_hi_u32 s47, s49, s53
	s_add_co_u32 s22, s54, s43
	s_wait_alu 0xfffe
	s_add_co_ci_u32 s22, s55, s0
	s_mul_i32 s52, s49, s53
	s_add_co_ci_u32 s53, s47, 0
	s_wait_alu 0xfffe
	s_add_nc_u64 s[52:53], s[22:23], s[52:53]
	s_delay_alu instid0(SALU_CYCLE_1) | instskip(SKIP_4) | instid1(SALU_CYCLE_1)
	s_add_co_u32 s48, s48, s52
	s_cselect_b32 s0, -1, 0
	s_wait_alu 0xfffe
	s_cmp_lg_u32 s0, 0
	s_add_co_ci_u32 s49, s49, s53
	s_mul_u64 s[50:51], s[50:51], s[48:49]
	s_delay_alu instid0(SALU_CYCLE_1)
	s_mul_hi_u32 s53, s48, s51
	s_mul_i32 s52, s48, s51
	s_mul_hi_u32 s22, s48, s50
	s_mul_i32 s43, s49, s50
	s_wait_alu 0xfffe
	s_add_nc_u64 s[52:53], s[22:23], s[52:53]
	s_mul_hi_u32 s0, s49, s50
	s_mul_hi_u32 s47, s49, s51
	s_add_co_u32 s22, s52, s43
	s_wait_alu 0xfffe
	s_add_co_ci_u32 s22, s53, s0
	s_mul_i32 s50, s49, s51
	s_add_co_ci_u32 s51, s47, 0
	s_wait_alu 0xfffe
	s_add_nc_u64 s[50:51], s[22:23], s[50:51]
	s_delay_alu instid0(SALU_CYCLE_1)
	s_add_co_u32 s0, s48, s50
	s_cselect_b32 s22, -1, 0
	s_wait_alu 0xfffe
	v_mul_hi_u32 v19, v17, s0
	s_cmp_lg_u32 s22, 0
	v_mad_co_u64_u32 v[13:14], null, v18, s0, 0
	s_add_co_ci_u32 s22, s49, s51
	s_wait_alu 0xfffe
	v_mad_co_u64_u32 v[11:12], null, v17, s22, 0
	v_mad_co_u64_u32 v[15:16], null, v18, s22, 0
	s_delay_alu instid0(VALU_DEP_2) | instskip(SKIP_1) | instid1(VALU_DEP_3)
	v_add_co_u32 v11, vcc_lo, v19, v11
	s_wait_alu 0xfffd
	v_add_co_ci_u32_e64 v12, null, 0, v12, vcc_lo
	s_delay_alu instid0(VALU_DEP_2) | instskip(SKIP_1) | instid1(VALU_DEP_2)
	v_add_co_u32 v11, vcc_lo, v11, v13
	s_wait_alu 0xfffd
	v_add_co_ci_u32_e32 v11, vcc_lo, v12, v14, vcc_lo
	s_wait_alu 0xfffd
	v_add_co_ci_u32_e32 v12, vcc_lo, 0, v16, vcc_lo
	s_delay_alu instid0(VALU_DEP_2) | instskip(SKIP_1) | instid1(VALU_DEP_2)
	v_add_co_u32 v13, vcc_lo, v11, v15
	s_wait_alu 0xfffd
	v_add_co_ci_u32_e64 v14, null, 0, v12, vcc_lo
	s_delay_alu instid0(VALU_DEP_2) | instskip(SKIP_1) | instid1(VALU_DEP_3)
	v_mul_lo_u32 v15, s45, v13
	v_mad_co_u64_u32 v[11:12], null, s44, v13, 0
	v_mul_lo_u32 v16, s44, v14
	s_delay_alu instid0(VALU_DEP_2) | instskip(NEXT) | instid1(VALU_DEP_2)
	v_sub_co_u32 v11, vcc_lo, v17, v11
	v_add3_u32 v12, v12, v16, v15
	v_add_co_u32 v16, s0, v13, 2
	s_wait_alu 0xf1ff
	v_add_co_ci_u32_e64 v17, null, 0, v14, s0
	s_delay_alu instid0(VALU_DEP_3) | instskip(SKIP_3) | instid1(VALU_DEP_3)
	v_sub_nc_u32_e32 v15, v18, v12
	v_sub_co_u32 v19, s0, v11, s44
	s_wait_alu 0xfffd
	v_sub_co_ci_u32_e64 v12, null, v18, v12, vcc_lo
	v_subrev_co_ci_u32_e64 v15, null, s45, v15, vcc_lo
	s_delay_alu instid0(VALU_DEP_3) | instskip(SKIP_1) | instid1(VALU_DEP_2)
	v_cmp_le_u32_e32 vcc_lo, s44, v19
	s_wait_alu 0xf1ff
	v_subrev_co_ci_u32_e64 v15, null, 0, v15, s0
	s_wait_alu 0xfffd
	v_cndmask_b32_e64 v18, 0, -1, vcc_lo
	s_delay_alu instid0(VALU_DEP_2)
	v_cmp_le_u32_e32 vcc_lo, s45, v15
	s_wait_alu 0xfffd
	v_cndmask_b32_e64 v19, 0, -1, vcc_lo
	v_cmp_le_u32_e32 vcc_lo, s44, v11
	s_wait_alu 0xfffd
	v_cndmask_b32_e64 v11, 0, -1, vcc_lo
	;; [unrolled: 3-line block ×3, first 2 shown]
	v_cmp_eq_u32_e32 vcc_lo, s45, v15
	s_wait_alu 0xfffd
	v_cndmask_b32_e32 v15, v19, v18, vcc_lo
	v_add_co_u32 v18, vcc_lo, v13, 1
	s_wait_alu 0xfffd
	v_add_co_ci_u32_e64 v19, null, 0, v14, vcc_lo
	v_cmp_eq_u32_e32 vcc_lo, s45, v12
	s_wait_alu 0xfffd
	v_cndmask_b32_e32 v11, v20, v11, vcc_lo
	v_cmp_ne_u32_e32 vcc_lo, 0, v15
	s_wait_alu 0xfffd
	v_cndmask_b32_e32 v12, v19, v17, vcc_lo
	s_delay_alu instid0(VALU_DEP_3) | instskip(SKIP_2) | instid1(VALU_DEP_2)
	v_cmp_ne_u32_e64 s0, 0, v11
	v_cndmask_b32_e32 v11, v18, v16, vcc_lo
	s_wait_alu 0xf1ff
	v_cndmask_b32_e64 v12, v14, v12, s0
	s_delay_alu instid0(VALU_DEP_2) | instskip(NEXT) | instid1(VALU_DEP_2)
	v_cndmask_b32_e64 v11, v13, v11, s0
	v_xor_b32_e32 v12, v12, v2
	s_delay_alu instid0(VALU_DEP_2) | instskip(NEXT) | instid1(VALU_DEP_1)
	v_xor_b32_e32 v11, v11, v2
	v_sub_co_u32 v17, vcc_lo, v11, v2
	s_wait_alu 0xfffd
	s_delay_alu instid0(VALU_DEP_3)
	v_sub_co_ci_u32_e64 v18, null, v12, v2, vcc_lo
.LBB6_5:                                ;   in Loop: Header=BB6_3 Depth=1
	s_wait_alu 0xfffe
	s_and_not1_saveexec_b32 s0, s1
	s_cbranch_execz .LBB6_7
; %bb.6:                                ;   in Loop: Header=BB6_3 Depth=1
	s_sub_co_i32 s1, 0, s4
	v_mov_b32_e32 v18, v1
	s_wait_alu 0xfffe
	v_mul_lo_u32 v2, s1, v0
	s_delay_alu instid0(VALU_DEP_1) | instskip(NEXT) | instid1(VALU_DEP_1)
	v_mul_hi_u32 v2, v0, v2
	v_add_nc_u32_e32 v2, v0, v2
	s_delay_alu instid0(VALU_DEP_1) | instskip(NEXT) | instid1(VALU_DEP_1)
	v_mul_hi_u32 v2, v3, v2
	v_mul_lo_u32 v11, v2, s4
	v_add_nc_u32_e32 v12, 1, v2
	s_delay_alu instid0(VALU_DEP_2) | instskip(NEXT) | instid1(VALU_DEP_1)
	v_sub_nc_u32_e32 v11, v3, v11
	v_subrev_nc_u32_e32 v13, s4, v11
	v_cmp_le_u32_e32 vcc_lo, s4, v11
	s_wait_alu 0xfffd
	s_delay_alu instid0(VALU_DEP_2) | instskip(NEXT) | instid1(VALU_DEP_1)
	v_dual_cndmask_b32 v11, v11, v13 :: v_dual_cndmask_b32 v2, v2, v12
	v_cmp_le_u32_e32 vcc_lo, s4, v11
	s_delay_alu instid0(VALU_DEP_2) | instskip(SKIP_1) | instid1(VALU_DEP_1)
	v_add_nc_u32_e32 v12, 1, v2
	s_wait_alu 0xfffd
	v_cndmask_b32_e32 v17, v2, v12, vcc_lo
.LBB6_7:                                ;   in Loop: Header=BB6_3 Depth=1
	s_wait_alu 0xfffe
	s_or_b32 exec_lo, exec_lo, s0
	s_delay_alu instid0(VALU_DEP_1) | instskip(SKIP_3) | instid1(VALU_DEP_4)
	v_mad_co_u64_u32 v[19:20], null, v17, 3, 0
	v_mul_lo_u32 v14, s31, v17
	v_mad_co_u64_u32 v[11:12], null, s30, v17, v[3:4]
	v_mul_lo_u32 v2, s30, v18
	v_mov_b32_e32 v13, v20
	s_delay_alu instid0(VALU_DEP_3) | instskip(NEXT) | instid1(VALU_DEP_3)
	v_mul_lo_u32 v27, v11, s11
	v_add3_u32 v2, v14, v12, v2
	s_delay_alu instid0(VALU_DEP_3) | instskip(SKIP_4) | instid1(VALU_DEP_4)
	v_mad_co_u64_u32 v[20:21], null, v18, 3, v[13:14]
	v_add_co_u32 v12, vcc_lo, v19, 1
	v_add_co_u32 v13, s0, v19, 2
	v_mad_co_u64_u32 v[21:22], null, v11, s10, 0
	s_wait_alu 0xfffd
	v_add_co_ci_u32_e64 v16, null, 0, v20, vcc_lo
	v_mul_lo_u32 v23, s5, v12
	v_mad_co_u64_u32 v[14:15], null, s4, v12, v[3:4]
	s_wait_alu 0xf1ff
	v_add_co_ci_u32_e64 v24, null, 0, v20, s0
	v_mul_lo_u32 v16, s4, v16
	v_mul_lo_u32 v25, s5, v13
	v_mad_co_u64_u32 v[12:13], null, s4, v13, v[3:4]
	s_delay_alu instid0(VALU_DEP_4)
	v_mul_lo_u32 v26, s4, v24
	v_add_co_u32 v29, vcc_lo, v19, 3
	s_wait_alu 0xfffd
	v_add_co_ci_u32_e64 v30, null, 0, v20, vcc_lo
	v_add3_u32 v20, v23, v15, v16
	v_mul_lo_u32 v31, v14, s11
	v_mad_co_u64_u32 v[23:24], null, v14, s10, 0
	v_add3_u32 v19, v25, v13, v26
	s_delay_alu instid0(VALU_DEP_4)
	v_mul_lo_u32 v13, v20, s10
	v_mul_lo_u32 v30, s4, v30
	;; [unrolled: 1-line block ×3, first 2 shown]
	v_mad_co_u64_u32 v[15:16], null, s4, v29, v[3:4]
	v_mul_lo_u32 v28, v2, s10
	v_mul_lo_u32 v29, v19, s10
	;; [unrolled: 1-line block ×3, first 2 shown]
	v_mad_co_u64_u32 v[25:26], null, v12, s10, 0
	v_add3_u32 v24, v24, v31, v13
	v_add3_u32 v13, v32, v16, v30
	v_mul_lo_u32 v35, v2, s14
	v_add3_u32 v22, v22, v27, v28
	v_mad_co_u64_u32 v[27:28], null, v15, s10, 0
	v_add3_u32 v26, v26, v33, v29
	v_mul_lo_u32 v16, v13, s10
	v_mul_lo_u32 v29, v15, s11
	v_lshlrev_b64_e32 v[21:22], 2, v[21:22]
	v_lshlrev_b64_e32 v[23:24], 2, v[23:24]
	;; [unrolled: 1-line block ×3, first 2 shown]
	v_mul_lo_u32 v36, v20, s14
	v_mul_lo_u32 v37, v14, s15
	v_mad_co_u64_u32 v[31:32], null, v14, s14, 0
	v_add_co_u32 v21, vcc_lo, s8, v21
	v_add3_u32 v28, v28, v29, v16
	s_wait_alu 0xfffd
	v_add_co_ci_u32_e64 v22, null, s9, v22, vcc_lo
	v_add_co_u32 v23, vcc_lo, s8, v23
	s_wait_alu 0xfffd
	v_add_co_ci_u32_e64 v24, null, s9, v24, vcc_lo
	v_add_co_u32 v29, vcc_lo, s8, v25
	s_wait_alu 0xfffd
	v_add_co_ci_u32_e64 v30, null, s9, v26, vcc_lo
	v_lshlrev_b64_e32 v[25:26], 2, v[27:28]
	v_mul_lo_u32 v16, v11, s15
	v_mad_co_u64_u32 v[27:28], null, v11, s14, 0
	v_mul_lo_u32 v38, v12, s15
	v_add3_u32 v32, v32, v37, v36
	v_add_co_u32 v33, vcc_lo, s8, v25
	s_wait_alu 0xfffd
	v_add_co_ci_u32_e64 v34, null, s9, v26, vcc_lo
	v_add3_u32 v28, v28, v16, v35
	v_mul_lo_u32 v16, v19, s14
	v_mad_co_u64_u32 v[25:26], null, v12, s14, 0
	v_mul_lo_u32 v39, v13, s14
	v_mul_lo_u32 v40, v15, s15
	v_mad_co_u64_u32 v[35:36], null, v15, s14, 0
	v_lshlrev_b64_e32 v[27:28], 2, v[27:28]
	v_lshlrev_b64_e32 v[31:32], 2, v[31:32]
	v_add3_u32 v26, v26, v38, v16
	s_delay_alu instid0(VALU_DEP_4) | instskip(NEXT) | instid1(VALU_DEP_4)
	v_add3_u32 v36, v36, v40, v39
	v_add_co_u32 v37, vcc_lo, s12, v27
	s_delay_alu instid0(VALU_DEP_3)
	v_lshlrev_b64_e32 v[25:26], 2, v[25:26]
	s_wait_alu 0xfffd
	v_add_co_ci_u32_e64 v38, null, s13, v28, vcc_lo
	v_lshlrev_b64_e32 v[27:28], 2, v[35:36]
	v_add_co_u32 v31, vcc_lo, s12, v31
	s_wait_alu 0xfffd
	v_add_co_ci_u32_e64 v32, null, s13, v32, vcc_lo
	v_add_co_u32 v35, vcc_lo, s12, v25
	s_wait_alu 0xfffd
	v_add_co_ci_u32_e64 v36, null, s13, v26, vcc_lo
	;; [unrolled: 3-line block ×3, first 2 shown]
	s_clause 0x3
	global_load_b32 v25, v[21:22], off
	global_load_b32 v23, v[23:24], off
	;; [unrolled: 1-line block ×4, first 2 shown]
	s_clause 0x3
	global_load_b32 v26, v[37:38], off
	global_load_b32 v24, v[31:32], off
	;; [unrolled: 1-line block ×5, first 2 shown]
	s_and_not1_b32 vcc_lo, exec_lo, s33
	s_wait_alu 0xfffe
	s_cbranch_vccnz .LBB6_9
; %bb.8:                                ;   in Loop: Header=BB6_3 Depth=1
	v_sub_co_u32 v31, vcc_lo, 1, v17
	s_wait_alu 0xfffd
	v_sub_co_ci_u32_e64 v32, null, 0, v18, vcc_lo
	v_mad_co_u64_u32 v[29:30], null, s34, v17, v[3:4]
	v_mul_lo_u32 v33, s34, v18
	v_mul_lo_u32 v34, s35, v17
	s_delay_alu instid0(VALU_DEP_4)
	v_mul_lo_u32 v35, s4, v32
	v_mul_lo_u32 v36, s5, v31
	v_mad_co_u64_u32 v[31:32], null, s4, v31, v[3:4]
	v_mul_lo_u32 v39, v29, s17
	v_add3_u32 v30, v34, v30, v33
	v_sub_co_u32 v34, vcc_lo, 2, v17
	s_delay_alu instid0(VALU_DEP_4) | instskip(SKIP_2) | instid1(VALU_DEP_3)
	v_add3_u32 v41, v36, v32, v35
	s_wait_alu 0xfffd
	v_sub_co_ci_u32_e64 v35, null, 0, v18, vcc_lo
	v_mul_lo_u32 v37, s5, v34
	v_sub_co_u32 v38, vcc_lo, 3, v17
	s_delay_alu instid0(VALU_DEP_3)
	v_mul_lo_u32 v36, s4, v35
	v_mad_co_u64_u32 v[34:35], null, s4, v34, v[3:4]
	s_wait_alu 0xfffd
	v_sub_co_ci_u32_e64 v43, null, 0, v18, vcc_lo
	v_mul_lo_u32 v42, v41, s16
	v_mul_lo_u32 v44, v31, s17
	v_mad_co_u64_u32 v[17:18], null, v31, s16, 0
	v_add3_u32 v45, v37, v35, v36
	v_mul_lo_u32 v43, s4, v43
	v_mul_lo_u32 v46, s5, v38
	v_mad_co_u64_u32 v[35:36], null, s4, v38, v[3:4]
	v_mul_lo_u32 v40, v30, s16
	v_mad_co_u64_u32 v[32:33], null, v29, s16, 0
	v_add3_u32 v18, v18, v44, v42
	v_mul_lo_u32 v47, v45, s16
	v_mul_lo_u32 v48, v34, s17
	v_add3_u32 v44, v46, v36, v43
	v_mad_co_u64_u32 v[37:38], null, v34, s16, 0
	v_add3_u32 v33, v33, v39, v40
	v_mul_lo_u32 v43, v35, s17
	s_delay_alu instid0(VALU_DEP_4)
	v_mul_lo_u32 v42, v44, s16
	v_mad_co_u64_u32 v[39:40], null, v35, s16, 0
	v_mul_lo_u32 v46, v41, s20
	v_add3_u32 v38, v38, v48, v47
	v_mul_lo_u32 v47, v31, s21
	v_lshlrev_b64_e32 v[32:33], 2, v[32:33]
	v_mul_lo_u32 v44, v44, s20
	v_lshlrev_b64_e32 v[17:18], 2, v[17:18]
	v_add3_u32 v40, v40, v43, v42
	v_mul_lo_u32 v42, v29, s21
	v_mul_lo_u32 v43, v30, s20
	v_mad_co_u64_u32 v[29:30], null, v29, s20, 0
	v_lshlrev_b64_e32 v[36:37], 2, v[37:38]
	v_lshlrev_b64_e32 v[38:39], 2, v[39:40]
	v_mad_co_u64_u32 v[40:41], null, v31, s20, 0
	v_mul_lo_u32 v31, v45, s20
	v_mul_lo_u32 v45, v34, s21
	v_add3_u32 v30, v30, v42, v43
	v_mad_co_u64_u32 v[42:43], null, v34, s20, 0
	v_add_co_u32 v32, vcc_lo, s2, v32
	v_add3_u32 v41, v41, v47, v46
	v_mul_lo_u32 v46, v35, s21
	v_mad_co_u64_u32 v[34:35], null, v35, s20, 0
	v_add3_u32 v43, v43, v45, v31
	s_wait_alu 0xfffd
	v_add_co_ci_u32_e64 v33, null, s3, v33, vcc_lo
	v_add_co_u32 v17, vcc_lo, s2, v17
	v_lshlrev_b64_e32 v[29:30], 2, v[29:30]
	v_add3_u32 v35, v35, v46, v44
	s_wait_alu 0xfffd
	v_add_co_ci_u32_e64 v18, null, s3, v18, vcc_lo
	v_add_co_u32 v36, vcc_lo, s2, v36
	v_lshlrev_b64_e32 v[40:41], 2, v[40:41]
	s_wait_alu 0xfffd
	v_add_co_ci_u32_e64 v37, null, s3, v37, vcc_lo
	v_add_co_u32 v38, vcc_lo, s2, v38
	v_lshlrev_b64_e32 v[42:43], 2, v[42:43]
	;; [unrolled: 4-line block ×3, first 2 shown]
	s_wait_alu 0xfffd
	v_add_co_ci_u32_e64 v30, null, s19, v30, vcc_lo
	v_add_co_u32 v40, vcc_lo, s18, v40
	s_wait_alu 0xfffd
	v_add_co_ci_u32_e64 v41, null, s19, v41, vcc_lo
	v_add_co_u32 v42, vcc_lo, s18, v42
	;; [unrolled: 3-line block ×3, first 2 shown]
	s_wait_alu 0xfffd
	v_add_co_ci_u32_e64 v45, null, s19, v35, vcc_lo
	s_clause 0x3
	global_load_b32 v32, v[32:33], off
	global_load_b32 v31, v[17:18], off
	;; [unrolled: 1-line block ×4, first 2 shown]
	s_clause 0x3
	global_load_b32 v30, v[29:30], off
	global_load_b32 v29, v[40:41], off
	;; [unrolled: 1-line block ×4, first 2 shown]
	s_branch .LBB6_10
.LBB6_9:                                ;   in Loop: Header=BB6_3 Depth=1
	v_dual_mov_b32 v29, 0 :: v_dual_mov_b32 v18, 0
	v_dual_mov_b32 v33, 0 :: v_dual_mov_b32 v30, 0
	;; [unrolled: 1-line block ×4, first 2 shown]
.LBB6_10:                               ;   in Loop: Header=BB6_3 Depth=1
	s_wait_loadcnt 0x2
	v_add_f32_e32 v27, v27, v28
                                        ; implicit-def: $vgpr28
	s_delay_alu instid0(VALU_DEP_1) | instskip(SKIP_1) | instid1(VALU_DEP_1)
	v_add_f32_e32 v27, v27, v34
	s_wait_loadcnt 0x1
	v_add_f32_e32 v27, v33, v27
	s_delay_alu instid0(VALU_DEP_1)
	v_cmp_ngt_f32_e64 s0, 0x3f200000, |v27|
	s_and_saveexec_b32 s1, s0
	s_wait_alu 0xfffe
	s_xor_b32 s0, exec_lo, s1
	s_cbranch_execz .LBB6_12
; %bb.11:                               ;   in Loop: Header=BB6_3 Depth=1
	v_add_f32_e64 v28, |v27|, |v27|
	s_delay_alu instid0(VALU_DEP_1) | instskip(SKIP_1) | instid1(VALU_DEP_2)
	v_mul_f32_e32 v33, 0x3fb8aa3b, v28
	v_cmp_ngt_f32_e32 vcc_lo, 0xc2ce8ed0, v28
	v_rndne_f32_e32 v34, v33
	v_fma_f32 v35, 0x3fb8aa3b, v28, -v33
	s_delay_alu instid0(VALU_DEP_2) | instskip(NEXT) | instid1(VALU_DEP_2)
	v_sub_f32_e32 v33, v33, v34
	v_fmac_f32_e32 v35, 0x32a5705f, v28
	v_cvt_i32_f32_e32 v34, v34
	s_delay_alu instid0(VALU_DEP_2) | instskip(NEXT) | instid1(VALU_DEP_1)
	v_add_f32_e32 v33, v33, v35
	v_exp_f32_e32 v33, v33
	s_delay_alu instid0(TRANS32_DEP_1) | instskip(SKIP_1) | instid1(VALU_DEP_1)
	v_ldexp_f32 v33, v33, v34
	s_wait_alu 0xfffd
	v_cndmask_b32_e32 v33, 0, v33, vcc_lo
	v_cmp_nlt_f32_e32 vcc_lo, 0x42b17218, v28
	s_wait_alu 0xfffd
	s_delay_alu instid0(VALU_DEP_2) | instskip(NEXT) | instid1(VALU_DEP_1)
	v_cndmask_b32_e32 v28, 0x7f800000, v33, vcc_lo
	v_add_f32_e32 v28, 1.0, v28
	s_delay_alu instid0(VALU_DEP_1) | instskip(NEXT) | instid1(TRANS32_DEP_1)
	v_rcp_f32_e32 v28, v28
	v_fma_f32 v28, v28, -2.0, 1.0
.LBB6_12:                               ;   in Loop: Header=BB6_3 Depth=1
	s_wait_alu 0xfffe
	s_and_not1_saveexec_b32 s0, s0
	s_cbranch_execz .LBB6_14
; %bb.13:                               ;   in Loop: Header=BB6_3 Depth=1
	v_mul_f32_e32 v28, v27, v27
	s_delay_alu instid0(VALU_DEP_1) | instskip(NEXT) | instid1(VALU_DEP_1)
	v_fmaak_f32 v33, s29, v28, 0x3ca908c9
	v_fmaak_f32 v33, v28, v33, 0xbd5c1c4e
	s_delay_alu instid0(VALU_DEP_1) | instskip(NEXT) | instid1(VALU_DEP_1)
	v_fmaak_f32 v33, v28, v33, 0x3e088382
	v_fmaak_f32 v33, v28, v33, 0xbeaaaa99
	s_delay_alu instid0(VALU_DEP_1) | instskip(NEXT) | instid1(VALU_DEP_1)
	v_mul_f32_e64 v33, |v27|, v33
	v_fma_f32 v28, v28, v33, |v27|
.LBB6_14:                               ;   in Loop: Header=BB6_3 Depth=1
	s_wait_alu 0xfffe
	s_or_b32 exec_lo, exec_lo, s0
	v_add_f32_e32 v25, v25, v26
	v_add_f32_e32 v23, v23, v24
	s_delay_alu instid0(VALU_DEP_1) | instskip(NEXT) | instid1(VALU_DEP_1)
	v_dual_add_f32 v24, v25, v32 :: v_dual_add_f32 v23, v23, v31
	v_dual_add_f32 v24, v30, v24 :: v_dual_add_f32 v23, v29, v23
	s_delay_alu instid0(VALU_DEP_1) | instskip(SKIP_1) | instid1(VALU_DEP_2)
	v_dual_mul_f32 v25, 0xbfb8aa3b, v24 :: v_dual_mul_f32 v26, 0xbfb8aa3b, v23
	v_cmp_nlt_f32_e32 vcc_lo, 0x42ce8ed0, v24
	v_fma_f32 v29, 0xbfb8aa3b, v24, -v25
	v_rndne_f32_e32 v30, v25
	s_delay_alu instid0(VALU_DEP_4) | instskip(SKIP_1) | instid1(VALU_DEP_4)
	v_fma_f32 v31, 0xbfb8aa3b, v23, -v26
	v_rndne_f32_e32 v32, v26
	v_fmac_f32_e32 v29, 0xb2a5705f, v24
	s_delay_alu instid0(VALU_DEP_2) | instskip(NEXT) | instid1(VALU_DEP_4)
	v_dual_sub_f32 v25, v25, v30 :: v_dual_sub_f32 v26, v26, v32
	v_fmac_f32_e32 v31, 0xb2a5705f, v23
	s_delay_alu instid0(VALU_DEP_2) | instskip(SKIP_2) | instid1(VALU_DEP_4)
	v_add_f32_e32 v25, v25, v29
	v_cvt_i32_f32_e32 v29, v30
	v_cvt_i32_f32_e32 v30, v32
	v_add_f32_e32 v26, v26, v31
	s_delay_alu instid0(VALU_DEP_4) | instskip(NEXT) | instid1(VALU_DEP_1)
	v_exp_f32_e32 v25, v25
	v_exp_f32_e32 v26, v26
	s_delay_alu instid0(TRANS32_DEP_2) | instskip(NEXT) | instid1(TRANS32_DEP_1)
	v_ldexp_f32 v25, v25, v29
	v_ldexp_f32 v26, v26, v30
	s_wait_alu 0xfffd
	s_delay_alu instid0(VALU_DEP_2)
	v_cndmask_b32_e32 v25, 0, v25, vcc_lo
	v_cmp_nlt_f32_e32 vcc_lo, 0x42ce8ed0, v23
	s_wait_alu 0xfffd
	v_cndmask_b32_e32 v26, 0, v26, vcc_lo
	v_cmp_ngt_f32_e32 vcc_lo, 0xc2b17218, v24
	s_wait_alu 0xfffd
	v_cndmask_b32_e32 v24, 0x7f800000, v25, vcc_lo
	v_cmp_ngt_f32_e32 vcc_lo, 0xc2b17218, v23
	s_wait_alu 0xfffd
	s_delay_alu instid0(VALU_DEP_2) | instskip(NEXT) | instid1(VALU_DEP_1)
	v_dual_add_f32 v24, 1.0, v24 :: v_dual_cndmask_b32 v23, 0x7f800000, v26
	v_div_scale_f32 v33, vcc_lo, 1.0, v24, 1.0
	s_delay_alu instid0(VALU_DEP_2) | instskip(SKIP_1) | instid1(VALU_DEP_2)
	v_add_f32_e32 v26, 1.0, v23
	v_div_scale_f32 v23, null, v24, v24, 1.0
	v_div_scale_f32 v25, null, v26, v26, 1.0
	s_delay_alu instid0(VALU_DEP_2) | instskip(NEXT) | instid1(VALU_DEP_1)
	v_rcp_f32_e32 v29, v23
	v_rcp_f32_e32 v30, v25
	s_delay_alu instid0(TRANS32_DEP_2) | instskip(NEXT) | instid1(TRANS32_DEP_1)
	v_fma_f32 v31, -v23, v29, 1.0
	v_fma_f32 v32, -v25, v30, 1.0
	s_delay_alu instid0(VALU_DEP_1) | instskip(SKIP_1) | instid1(VALU_DEP_1)
	v_dual_fmac_f32 v30, v32, v30 :: v_dual_fmac_f32 v29, v31, v29
	v_div_scale_f32 v31, s0, 1.0, v26, 1.0
	v_mul_f32_e32 v34, v31, v30
	s_delay_alu instid0(VALU_DEP_1) | instskip(NEXT) | instid1(VALU_DEP_1)
	v_fma_f32 v36, -v25, v34, v31
	v_fmac_f32_e32 v34, v36, v30
	v_mul_f32_e32 v32, v33, v29
	s_delay_alu instid0(VALU_DEP_2) | instskip(NEXT) | instid1(VALU_DEP_2)
	v_fma_f32 v25, -v25, v34, v31
	v_fma_f32 v35, -v23, v32, v33
	s_delay_alu instid0(VALU_DEP_1) | instskip(NEXT) | instid1(VALU_DEP_1)
	v_fmac_f32_e32 v32, v35, v29
	v_fma_f32 v23, -v23, v32, v33
	s_wait_alu 0xfffd
	s_delay_alu instid0(VALU_DEP_1) | instskip(SKIP_3) | instid1(VALU_DEP_2)
	v_div_fmas_f32 v23, v23, v29, v32
	s_mov_b32 vcc_lo, s0
	s_wait_alu 0xfffe
	v_div_fmas_f32 v29, v25, v30, v34
	v_div_fixup_f32 v25, v23, v24, 1.0
	v_bfi_b32 v23, 0x7fffffff, v28, v27
	s_delay_alu instid0(VALU_DEP_3) | instskip(NEXT) | instid1(VALU_DEP_2)
	v_div_fixup_f32 v24, v29, v26, 1.0
	v_mul_f32_e32 v26, v25, v23
	s_wait_loadcnt 0x0
	s_delay_alu instid0(VALU_DEP_1) | instskip(NEXT) | instid1(VALU_DEP_1)
	v_fmac_f32_e32 v26, v22, v24
                                        ; implicit-def: $vgpr22
	v_cmp_ngt_f32_e64 s0, 0x3f200000, |v26|
	s_and_saveexec_b32 s1, s0
	s_wait_alu 0xfffe
	s_xor_b32 s0, exec_lo, s1
	s_cbranch_execz .LBB6_16
; %bb.15:                               ;   in Loop: Header=BB6_3 Depth=1
	v_add_f32_e64 v22, |v26|, |v26|
	s_delay_alu instid0(VALU_DEP_1) | instskip(SKIP_1) | instid1(VALU_DEP_2)
	v_mul_f32_e32 v27, 0x3fb8aa3b, v22
	v_cmp_ngt_f32_e32 vcc_lo, 0xc2ce8ed0, v22
	v_rndne_f32_e32 v28, v27
	v_fma_f32 v29, 0x3fb8aa3b, v22, -v27
	s_delay_alu instid0(VALU_DEP_2) | instskip(NEXT) | instid1(VALU_DEP_2)
	v_sub_f32_e32 v27, v27, v28
	v_fmac_f32_e32 v29, 0x32a5705f, v22
	v_cvt_i32_f32_e32 v28, v28
	s_delay_alu instid0(VALU_DEP_2) | instskip(NEXT) | instid1(VALU_DEP_1)
	v_add_f32_e32 v27, v27, v29
	v_exp_f32_e32 v27, v27
	s_delay_alu instid0(TRANS32_DEP_1) | instskip(SKIP_1) | instid1(VALU_DEP_1)
	v_ldexp_f32 v27, v27, v28
	s_wait_alu 0xfffd
	v_cndmask_b32_e32 v27, 0, v27, vcc_lo
	v_cmp_nlt_f32_e32 vcc_lo, 0x42b17218, v22
	s_wait_alu 0xfffd
	s_delay_alu instid0(VALU_DEP_2) | instskip(NEXT) | instid1(VALU_DEP_1)
	v_cndmask_b32_e32 v22, 0x7f800000, v27, vcc_lo
	v_add_f32_e32 v22, 1.0, v22
	s_delay_alu instid0(VALU_DEP_1) | instskip(NEXT) | instid1(TRANS32_DEP_1)
	v_rcp_f32_e32 v22, v22
	v_fma_f32 v22, v22, -2.0, 1.0
.LBB6_16:                               ;   in Loop: Header=BB6_3 Depth=1
	s_wait_alu 0xfffe
	s_and_not1_saveexec_b32 s0, s0
	s_cbranch_execz .LBB6_2
; %bb.17:                               ;   in Loop: Header=BB6_3 Depth=1
	v_mul_f32_e32 v22, v26, v26
	s_delay_alu instid0(VALU_DEP_1) | instskip(NEXT) | instid1(VALU_DEP_1)
	v_fmaak_f32 v27, s29, v22, 0x3ca908c9
	v_fmaak_f32 v27, v22, v27, 0xbd5c1c4e
	s_delay_alu instid0(VALU_DEP_1) | instskip(NEXT) | instid1(VALU_DEP_1)
	v_fmaak_f32 v27, v22, v27, 0x3e088382
	v_fmaak_f32 v27, v22, v27, 0xbeaaaa99
	s_delay_alu instid0(VALU_DEP_1) | instskip(NEXT) | instid1(VALU_DEP_1)
	v_mul_f32_e64 v27, |v26|, v27
	v_fma_f32 v22, v22, v27, |v26|
	s_branch .LBB6_2
.LBB6_18:
	s_endpgm
	.section	.rodata,"a",@progbits
	.p2align	6, 0x0
	.amdhsa_kernel _ZN2at6native12_GLOBAL__N_16kernel17lstm_cell_forwardIfflLi1EEEvNS_4cuda6detail10TensorInfoIT_T1_EES9_S9_S9_S9_S9_S9_S9_S8_S8_
		.amdhsa_group_segment_fixed_size 0
		.amdhsa_private_segment_fixed_size 0
		.amdhsa_kernarg_size 3600
		.amdhsa_user_sgpr_count 2
		.amdhsa_user_sgpr_dispatch_ptr 0
		.amdhsa_user_sgpr_queue_ptr 0
		.amdhsa_user_sgpr_kernarg_segment_ptr 1
		.amdhsa_user_sgpr_dispatch_id 0
		.amdhsa_user_sgpr_private_segment_size 0
		.amdhsa_wavefront_size32 1
		.amdhsa_uses_dynamic_stack 0
		.amdhsa_enable_private_segment 0
		.amdhsa_system_sgpr_workgroup_id_x 1
		.amdhsa_system_sgpr_workgroup_id_y 0
		.amdhsa_system_sgpr_workgroup_id_z 0
		.amdhsa_system_sgpr_workgroup_info 0
		.amdhsa_system_vgpr_workitem_id 0
		.amdhsa_next_free_vgpr 49
		.amdhsa_next_free_sgpr 56
		.amdhsa_reserve_vcc 1
		.amdhsa_float_round_mode_32 0
		.amdhsa_float_round_mode_16_64 0
		.amdhsa_float_denorm_mode_32 3
		.amdhsa_float_denorm_mode_16_64 3
		.amdhsa_fp16_overflow 0
		.amdhsa_workgroup_processor_mode 1
		.amdhsa_memory_ordered 1
		.amdhsa_forward_progress 1
		.amdhsa_inst_pref_size 37
		.amdhsa_round_robin_scheduling 0
		.amdhsa_exception_fp_ieee_invalid_op 0
		.amdhsa_exception_fp_denorm_src 0
		.amdhsa_exception_fp_ieee_div_zero 0
		.amdhsa_exception_fp_ieee_overflow 0
		.amdhsa_exception_fp_ieee_underflow 0
		.amdhsa_exception_fp_ieee_inexact 0
		.amdhsa_exception_int_div_zero 0
	.end_amdhsa_kernel
	.section	.text._ZN2at6native12_GLOBAL__N_16kernel17lstm_cell_forwardIfflLi1EEEvNS_4cuda6detail10TensorInfoIT_T1_EES9_S9_S9_S9_S9_S9_S9_S8_S8_,"axG",@progbits,_ZN2at6native12_GLOBAL__N_16kernel17lstm_cell_forwardIfflLi1EEEvNS_4cuda6detail10TensorInfoIT_T1_EES9_S9_S9_S9_S9_S9_S9_S8_S8_,comdat
.Lfunc_end6:
	.size	_ZN2at6native12_GLOBAL__N_16kernel17lstm_cell_forwardIfflLi1EEEvNS_4cuda6detail10TensorInfoIT_T1_EES9_S9_S9_S9_S9_S9_S9_S8_S8_, .Lfunc_end6-_ZN2at6native12_GLOBAL__N_16kernel17lstm_cell_forwardIfflLi1EEEvNS_4cuda6detail10TensorInfoIT_T1_EES9_S9_S9_S9_S9_S9_S9_S8_S8_
                                        ; -- End function
	.set _ZN2at6native12_GLOBAL__N_16kernel17lstm_cell_forwardIfflLi1EEEvNS_4cuda6detail10TensorInfoIT_T1_EES9_S9_S9_S9_S9_S9_S9_S8_S8_.num_vgpr, 49
	.set _ZN2at6native12_GLOBAL__N_16kernel17lstm_cell_forwardIfflLi1EEEvNS_4cuda6detail10TensorInfoIT_T1_EES9_S9_S9_S9_S9_S9_S9_S8_S8_.num_agpr, 0
	.set _ZN2at6native12_GLOBAL__N_16kernel17lstm_cell_forwardIfflLi1EEEvNS_4cuda6detail10TensorInfoIT_T1_EES9_S9_S9_S9_S9_S9_S9_S8_S8_.numbered_sgpr, 56
	.set _ZN2at6native12_GLOBAL__N_16kernel17lstm_cell_forwardIfflLi1EEEvNS_4cuda6detail10TensorInfoIT_T1_EES9_S9_S9_S9_S9_S9_S9_S8_S8_.num_named_barrier, 0
	.set _ZN2at6native12_GLOBAL__N_16kernel17lstm_cell_forwardIfflLi1EEEvNS_4cuda6detail10TensorInfoIT_T1_EES9_S9_S9_S9_S9_S9_S9_S8_S8_.private_seg_size, 0
	.set _ZN2at6native12_GLOBAL__N_16kernel17lstm_cell_forwardIfflLi1EEEvNS_4cuda6detail10TensorInfoIT_T1_EES9_S9_S9_S9_S9_S9_S9_S8_S8_.uses_vcc, 1
	.set _ZN2at6native12_GLOBAL__N_16kernel17lstm_cell_forwardIfflLi1EEEvNS_4cuda6detail10TensorInfoIT_T1_EES9_S9_S9_S9_S9_S9_S9_S8_S8_.uses_flat_scratch, 0
	.set _ZN2at6native12_GLOBAL__N_16kernel17lstm_cell_forwardIfflLi1EEEvNS_4cuda6detail10TensorInfoIT_T1_EES9_S9_S9_S9_S9_S9_S9_S8_S8_.has_dyn_sized_stack, 0
	.set _ZN2at6native12_GLOBAL__N_16kernel17lstm_cell_forwardIfflLi1EEEvNS_4cuda6detail10TensorInfoIT_T1_EES9_S9_S9_S9_S9_S9_S9_S8_S8_.has_recursion, 0
	.set _ZN2at6native12_GLOBAL__N_16kernel17lstm_cell_forwardIfflLi1EEEvNS_4cuda6detail10TensorInfoIT_T1_EES9_S9_S9_S9_S9_S9_S9_S8_S8_.has_indirect_call, 0
	.section	.AMDGPU.csdata,"",@progbits
; Kernel info:
; codeLenInByte = 4720
; TotalNumSgprs: 58
; NumVgprs: 49
; ScratchSize: 0
; MemoryBound: 0
; FloatMode: 240
; IeeeMode: 1
; LDSByteSize: 0 bytes/workgroup (compile time only)
; SGPRBlocks: 0
; VGPRBlocks: 6
; NumSGPRsForWavesPerEU: 58
; NumVGPRsForWavesPerEU: 49
; Occupancy: 16
; WaveLimiterHint : 1
; COMPUTE_PGM_RSRC2:SCRATCH_EN: 0
; COMPUTE_PGM_RSRC2:USER_SGPR: 2
; COMPUTE_PGM_RSRC2:TRAP_HANDLER: 0
; COMPUTE_PGM_RSRC2:TGID_X_EN: 1
; COMPUTE_PGM_RSRC2:TGID_Y_EN: 0
; COMPUTE_PGM_RSRC2:TGID_Z_EN: 0
; COMPUTE_PGM_RSRC2:TIDIG_COMP_CNT: 0
	.section	.text._ZN2at6native12_GLOBAL__N_16kernel17lstm_cell_forwardIfflLi2EEEvNS_4cuda6detail10TensorInfoIT_T1_EES9_S9_S9_S9_S9_S9_S9_S8_S8_,"axG",@progbits,_ZN2at6native12_GLOBAL__N_16kernel17lstm_cell_forwardIfflLi2EEEvNS_4cuda6detail10TensorInfoIT_T1_EES9_S9_S9_S9_S9_S9_S9_S8_S8_,comdat
	.globl	_ZN2at6native12_GLOBAL__N_16kernel17lstm_cell_forwardIfflLi2EEEvNS_4cuda6detail10TensorInfoIT_T1_EES9_S9_S9_S9_S9_S9_S9_S8_S8_ ; -- Begin function _ZN2at6native12_GLOBAL__N_16kernel17lstm_cell_forwardIfflLi2EEEvNS_4cuda6detail10TensorInfoIT_T1_EES9_S9_S9_S9_S9_S9_S9_S8_S8_
	.p2align	8
	.type	_ZN2at6native12_GLOBAL__N_16kernel17lstm_cell_forwardIfflLi2EEEvNS_4cuda6detail10TensorInfoIT_T1_EES9_S9_S9_S9_S9_S9_S9_S8_S8_,@function
_ZN2at6native12_GLOBAL__N_16kernel17lstm_cell_forwardIfflLi2EEEvNS_4cuda6detail10TensorInfoIT_T1_EES9_S9_S9_S9_S9_S9_S9_S8_S8_: ; @_ZN2at6native12_GLOBAL__N_16kernel17lstm_cell_forwardIfflLi2EEEvNS_4cuda6detail10TensorInfoIT_T1_EES9_S9_S9_S9_S9_S9_S9_S8_S8_
; %bb.0:
	s_clause 0x1
	s_load_b32 s2, s[0:1], 0xd1c
	s_load_b128 s[4:7], s[0:1], 0xd00
	v_mov_b32_e32 v1, 0
	s_wait_kmcnt 0x0
	s_and_b32 s64, s2, 0xffff
	s_mov_b32 s2, exec_lo
	s_delay_alu instid0(VALU_DEP_1) | instskip(SKIP_1) | instid1(VALU_DEP_1)
	v_mad_co_u64_u32 v[3:4], null, ttmp9, s64, v[0:1]
	v_mov_b32_e32 v4, v1
	v_cmpx_gt_i64_e64 s[6:7], v[3:4]
	s_cbranch_execz .LBB7_78
; %bb.1:
	s_clause 0x1
	s_load_b64 s[2:3], s[0:1], 0x0
	s_load_b64 s[34:35], s[0:1], 0x10
	v_cvt_f32_u32_e32 v0, s4
	s_add_nc_u64 s[16:17], s[0:1], 0xd10
	s_clause 0x9
	s_load_b128 s[8:11], s[0:1], 0xd0
	s_load_b64 s[36:37], s[0:1], 0x1a0
	s_load_b64 s[38:39], s[0:1], 0x1b0
	s_load_b128 s[12:15], s[0:1], 0x270
	s_load_b64 s[40:41], s[0:1], 0x340
	s_load_b64 s[42:43], s[0:1], 0x410
	s_load_b64 s[44:45], s[0:1], 0x4e0
	s_load_b64 s[46:47], s[0:1], 0x5b0
	s_load_b64 s[48:49], s[0:1], 0x680
	s_load_b64 s[50:51], s[0:1], 0x690
	s_load_b32 s65, s[16:17], 0x0
	s_clause 0x9
	s_load_b128 s[16:19], s[0:1], 0x750
	s_load_b64 s[52:53], s[0:1], 0x820
	s_load_b64 s[54:55], s[0:1], 0x830
	s_load_b128 s[20:23], s[0:1], 0x8f0
	s_load_b64 s[56:57], s[0:1], 0x9c0
	s_load_b64 s[58:59], s[0:1], 0x9d0
	s_load_b128 s[24:27], s[0:1], 0xa90
	s_load_b64 s[60:61], s[0:1], 0xb60
	s_load_b64 s[62:63], s[0:1], 0xb70
	s_load_b128 s[28:31], s[0:1], 0xc30
	s_mul_u64 s[66:67], s[4:5], 3
	v_rcp_iflag_f32_e32 v0, v0
	s_sub_nc_u64 s[68:69], 0, s[4:5]
	s_mov_b32 s81, 0xbbbac73d
	s_mov_b32 s82, 0
	s_wait_kmcnt 0x0
	s_cmp_lg_u64 s[40:41], 0
	s_cselect_b32 s33, -1, 0
	s_sub_nc_u64 s[70:71], 0, s[50:51]
	s_delay_alu instid0(TRANS32_DEP_1)
	v_mul_f32_e32 v0, 0x4f7ffffe, v0
	s_mul_i32 s80, s65, s64
	s_mov_b32 s65, 0
	v_cvt_f32_u32_e32 v2, s34
	s_sub_nc_u64 s[72:73], 0, s[54:55]
	v_cvt_u32_f32_e32 v0, v0
	s_sub_nc_u64 s[74:75], 0, s[58:59]
	s_delay_alu instid0(VALU_DEP_2) | instskip(NEXT) | instid1(TRANS32_DEP_1)
	v_rcp_iflag_f32_e32 v2, v2
	v_mul_f32_e32 v2, 0x4f7ffffe, v2
	s_delay_alu instid0(VALU_DEP_1)
	v_cvt_u32_f32_e32 v27, v2
	s_branch .LBB7_3
.LBB7_2:                                ;   in Loop: Header=BB7_3 Depth=1
	s_wait_alu 0xfffe
	s_or_b32 exec_lo, exec_lo, s0
	v_add_f32_e32 v30, v32, v38
	v_mul_lo_u32 v40, s75, v25
	v_mul_lo_u32 v41, v26, s24
	;; [unrolled: 1-line block ×4, first 2 shown]
	v_add_f32_e32 v30, v30, v36
	v_mul_lo_u32 v44, s73, v23
	v_mul_lo_u32 v47, v22, s62
	;; [unrolled: 1-line block ×4, first 2 shown]
	v_add_f32_e32 v38, v39, v30
	v_mad_co_u64_u32 v[30:31], null, s74, v25, v[3:4]
	v_mul_lo_u32 v39, s74, v26
	v_mad_co_u64_u32 v[25:26], null, v25, s24, 0
	s_delay_alu instid0(VALU_DEP_4)
	v_mul_f32_e32 v32, 0xbfb8aa3b, v38
	v_cmp_nlt_f32_e32 vcc_lo, 0x42ce8ed0, v38
	v_mul_lo_u32 v46, v23, s21
	v_mul_lo_u32 v49, v22, s28
	;; [unrolled: 1-line block ×3, first 2 shown]
	v_fma_f32 v34, 0xbfb8aa3b, v38, -v32
	v_rndne_f32_e32 v35, v32
	v_add3_u32 v26, v26, v42, v41
	v_add3_u32 v39, v40, v31, v39
	v_mul_lo_u32 v40, v30, s27
	v_fmac_f32_e32 v34, 0xb2a5705f, v38
	v_sub_f32_e32 v36, v32, v35
	v_cvt_i32_f32_e32 v37, v35
	v_mad_co_u64_u32 v[32:33], null, s72, v23, v[3:4]
	v_mad_co_u64_u32 v[23:24], null, v23, s20, 0
	s_delay_alu instid0(VALU_DEP_4) | instskip(SKIP_3) | instid1(VALU_DEP_4)
	v_add_f32_e32 v34, v36, v34
	v_mad_co_u64_u32 v[30:31], null, v30, s26, 0
	v_mul_lo_u32 v39, v39, s26
	v_add3_u32 v41, v44, v33, v43
	v_exp_f32_e32 v36, v34
	v_mad_co_u64_u32 v[34:35], null, v21, s62, 0
	v_mad_co_u64_u32 v[21:22], null, v21, s28, 0
	v_add3_u32 v24, v24, v46, v45
	v_mul_lo_u32 v42, v32, s23
	v_mad_co_u64_u32 v[32:33], null, v32, s22, 0
	v_add3_u32 v35, v35, v48, v47
	s_delay_alu instid0(TRANS32_DEP_1)
	v_ldexp_f32 v36, v36, v37
	v_add3_u32 v22, v22, v50, v49
	v_mul_lo_u32 v41, v41, s22
	v_lshlrev_b64_e32 v[25:26], 2, v[25:26]
	v_add3_u32 v31, v31, v40, v39
	s_wait_alu 0xfffd
	v_cndmask_b32_e32 v52, 0, v36, vcc_lo
	v_cmp_ngt_f32_e32 vcc_lo, 0xc2b17218, v38
	v_lshlrev_b64_e32 v[23:24], 2, v[23:24]
	v_mul_lo_u32 v51, v20, s62
	v_mul_lo_u32 v53, v19, s63
	v_add3_u32 v33, v33, v42, v41
	s_wait_alu 0xfffd
	v_cndmask_b32_e32 v38, 0x7f800000, v52, vcc_lo
	v_sub_co_u32 v13, vcc_lo, v13, v34
	s_wait_alu 0xfffd
	v_sub_co_ci_u32_e64 v34, null, v14, v35, vcc_lo
	s_delay_alu instid0(VALU_DEP_3) | instskip(NEXT) | instid1(VALU_DEP_3)
	v_add_f32_e32 v38, 1.0, v38
	v_add_co_u32 v45, vcc_lo, v3, v13
	v_lshlrev_b64_e32 v[13:14], 2, v[21:22]
	s_wait_alu 0xfffd
	v_add_co_ci_u32_e64 v21, null, v4, v34, vcc_lo
	v_div_scale_f32 v43, null, v38, v38, 1.0
	v_div_scale_f32 v46, s0, 1.0, v38, 1.0
	v_mad_co_u64_u32 v[36:37], null, v19, s62, 0
	s_delay_alu instid0(VALU_DEP_3)
	v_rcp_f32_e32 v44, v43
	v_add_co_u32 v25, vcc_lo, s56, v25
	v_mul_lo_u32 v40, v21, s30
	v_lshlrev_b64_e32 v[21:22], 2, v[30:31]
	s_wait_alu 0xfffd
	v_add_co_ci_u32_e64 v26, null, s57, v26, vcc_lo
	v_add_co_u32 v30, vcc_lo, s52, v23
	s_wait_alu 0xfffd
	v_add_co_ci_u32_e64 v31, null, s53, v24, vcc_lo
	s_delay_alu instid0(TRANS32_DEP_1) | instskip(SKIP_3) | instid1(VALU_DEP_4)
	v_fma_f32 v35, -v43, v44, 1.0
	v_lshlrev_b64_e32 v[23:24], 2, v[32:33]
	v_add_co_u32 v21, vcc_lo, v25, v21
	v_add3_u32 v37, v37, v53, v51
	v_fmac_f32_e32 v44, v35, v44
	s_wait_alu 0xfffd
	v_add_co_ci_u32_e64 v22, null, v26, v22, vcc_lo
	s_mov_b32 vcc_lo, s0
	v_sub_co_u32 v35, s1, v11, v36
	v_mul_f32_e32 v34, v46, v44
	s_wait_alu 0xf1ff
	v_sub_co_ci_u32_e64 v36, null, v12, v37, s1
	v_mul_lo_u32 v37, v45, s31
	v_mad_co_u64_u32 v[11:12], null, v45, s30, 0
	v_fma_f32 v39, -v43, v34, v46
	v_mul_lo_u32 v33, v18, s62
	s_delay_alu instid0(VALU_DEP_2) | instskip(NEXT) | instid1(VALU_DEP_4)
	v_fmac_f32_e32 v34, v39, v44
	v_add3_u32 v12, v12, v37, v40
	v_mul_lo_u32 v37, v20, s28
	s_delay_alu instid0(VALU_DEP_3) | instskip(NEXT) | instid1(VALU_DEP_3)
	v_fma_f32 v32, -v43, v34, v46
	v_lshlrev_b64_e32 v[11:12], 2, v[11:12]
	s_wait_alu 0xfffe
	s_delay_alu instid0(VALU_DEP_2)
	v_div_fmas_f32 v25, v32, v44, v34
	v_add_co_u32 v23, vcc_lo, v30, v23
	s_wait_alu 0xfffd
	v_add_co_ci_u32_e64 v24, null, v31, v24, vcc_lo
	v_add_co_u32 v30, vcc_lo, s60, v13
	s_wait_alu 0xfffd
	v_add_co_ci_u32_e64 v31, null, s61, v14, vcc_lo
	v_mul_lo_u32 v34, v17, s63
	v_mad_co_u64_u32 v[13:14], null, v17, s62, 0
	v_div_fixup_f32 v32, v25, v38, 1.0
	v_add_co_u32 v25, vcc_lo, v3, v35
	s_wait_alu 0xfffd
	v_add_co_ci_u32_e64 v26, null, v4, v36, vcc_lo
	v_mul_lo_u32 v38, v19, s29
	v_mad_co_u64_u32 v[19:20], null, v19, s28, 0
	v_add3_u32 v14, v14, v34, v33
	v_sub_co_u32 v7, vcc_lo, v7, v13
	v_mul_lo_u32 v35, v26, s30
	v_mul_lo_u32 v36, v25, s31
	v_mad_co_u64_u32 v[25:26], null, v25, s30, 0
	s_wait_alu 0xfffd
	v_sub_co_ci_u32_e64 v8, null, v8, v14, vcc_lo
	v_add3_u32 v20, v20, v38, v37
	v_add_co_u32 v13, vcc_lo, v3, v7
	s_wait_alu 0xfffd
	s_delay_alu instid0(VALU_DEP_3)
	v_add_co_ci_u32_e64 v14, null, v4, v8, vcc_lo
	v_add_co_u32 v7, vcc_lo, v30, v11
	s_wait_alu 0xfffd
	v_add_co_ci_u32_e64 v8, null, v31, v12, vcc_lo
	v_add3_u32 v26, v26, v36, v35
	v_lshlrev_b64_e32 v[11:12], 2, v[19:20]
	v_mul_lo_u32 v34, v18, s28
	v_mul_lo_u32 v35, v16, s62
	;; [unrolled: 1-line block ×3, first 2 shown]
	v_mad_co_u64_u32 v[18:19], null, v15, s62, 0
	v_add_co_u32 v38, vcc_lo, s60, v11
	v_mul_lo_u32 v20, v14, s30
	v_mul_lo_u32 v33, v13, s31
	v_mad_co_u64_u32 v[13:14], null, v13, s30, 0
	v_add3_u32 v11, v19, v36, v35
	v_mul_lo_u32 v37, v17, s29
	v_mad_co_u64_u32 v[30:31], null, v17, s28, 0
	s_wait_alu 0xfffd
	v_add_co_ci_u32_e64 v39, null, s61, v12, vcc_lo
	v_sub_co_u32 v5, vcc_lo, v5, v18
	s_wait_alu 0xfffd
	v_sub_co_ci_u32_e64 v6, null, v6, v11, vcc_lo
	v_add3_u32 v14, v14, v33, v20
	s_delay_alu instid0(VALU_DEP_3) | instskip(SKIP_1) | instid1(VALU_DEP_3)
	v_add_co_u32 v17, vcc_lo, v3, v5
	s_wait_alu 0xfffd
	v_add_co_ci_u32_e64 v18, null, v4, v6, vcc_lo
	v_mul_lo_u32 v19, v16, s28
	v_mul_lo_u32 v20, v15, s29
	v_mad_co_u64_u32 v[5:6], null, v15, s28, 0
	v_add3_u32 v31, v31, v37, v34
	v_lshlrev_b64_e32 v[11:12], 2, v[25:26]
	v_mul_lo_u32 v25, v18, s30
	v_mul_lo_u32 v26, v17, s31
	v_mad_co_u64_u32 v[17:18], null, v17, s30, 0
	v_lshlrev_b64_e32 v[15:16], 2, v[30:31]
	v_add3_u32 v6, v6, v20, v19
	v_lshlrev_b64_e32 v[13:14], 2, v[13:14]
	v_add_co_u32 v11, s0, v38, v11
	s_wait_alu 0xf1ff
	v_add_co_ci_u32_e64 v12, null, v39, v12, s0
	v_add_co_u32 v15, vcc_lo, s60, v15
	v_lshlrev_b64_e32 v[5:6], 2, v[5:6]
	s_wait_alu 0xfffd
	v_add_co_ci_u32_e64 v16, null, s61, v16, vcc_lo
	v_add3_u32 v18, v18, v26, v25
	v_add_co_u32 v13, vcc_lo, v15, v13
	s_wait_alu 0xfffd
	s_delay_alu instid0(VALU_DEP_3)
	v_add_co_ci_u32_e64 v14, null, v16, v14, vcc_lo
	v_add_co_u32 v15, vcc_lo, s60, v5
	s_wait_alu 0xfffd
	v_add_co_ci_u32_e64 v16, null, s61, v6, vcc_lo
	v_lshlrev_b64_e32 v[5:6], 2, v[17:18]
	v_add_co_u32 v3, vcc_lo, v3, s80
	s_wait_alu 0xfffd
	v_add_co_ci_u32_e64 v4, null, 0, v4, vcc_lo
	v_bfi_b32 v17, 0x7fffffff, v29, v28
	s_delay_alu instid0(VALU_DEP_4)
	v_add_co_u32 v5, vcc_lo, v15, v5
	s_wait_alu 0xfffd
	v_add_co_ci_u32_e64 v6, null, v16, v6, vcc_lo
	v_cmp_le_i64_e32 vcc_lo, s[6:7], v[3:4]
	v_mul_f32_e32 v15, v32, v17
	global_store_b32 v[23:24], v15, off
	global_store_b32 v[21:22], v28, off
	s_clause 0x1
	global_store_b32 v[5:6], v9, off
	global_store_b32 v[13:14], v10, off
	s_or_b32 s82, vcc_lo, s82
	s_clause 0x1
	global_store_b32 v[11:12], v2, off
	global_store_b32 v[7:8], v32, off
	s_and_not1_b32 exec_lo, exec_lo, s82
	s_cbranch_execz .LBB7_78
.LBB7_3:                                ; =>This Inner Loop Header: Depth=1
	v_or_b32_e32 v2, s5, v4
	v_ashrrev_i32_e32 v28, 31, v4
                                        ; implicit-def: $vgpr9_vgpr10
	s_mov_b32 s0, exec_lo
	s_delay_alu instid0(VALU_DEP_2)
	v_cmpx_ne_u64_e32 0, v[1:2]
	s_wait_alu 0xfffe
	s_xor_b32 s1, exec_lo, s0
	s_cbranch_execz .LBB7_5
; %bb.4:                                ;   in Loop: Header=BB7_3 Depth=1
	s_ashr_i32 s76, s5, 31
	v_add_co_u32 v2, vcc_lo, v3, v28
	s_wait_alu 0xfffe
	s_mov_b32 s77, s76
	s_wait_alu 0xfffd
	v_add_co_ci_u32_e64 v5, null, v4, v28, vcc_lo
	s_wait_alu 0xfffe
	s_add_nc_u64 s[78:79], s[4:5], s[76:77]
	v_xor_b32_e32 v2, v2, v28
	s_wait_alu 0xfffe
	s_xor_b64 s[78:79], s[78:79], s[76:77]
	v_xor_b32_e32 v11, v5, v28
	s_wait_alu 0xfffe
	s_cvt_f32_u32 s0, s78
	s_cvt_f32_u32 s64, s79
	s_sub_nc_u64 s[86:87], 0, s[78:79]
	s_wait_alu 0xfffe
	s_delay_alu instid0(SALU_CYCLE_1) | instskip(SKIP_1) | instid1(SALU_CYCLE_2)
	s_fmamk_f32 s0, s64, 0x4f800000, s0
	s_wait_alu 0xfffe
	v_s_rcp_f32 s0, s0
	s_delay_alu instid0(TRANS32_DEP_1) | instskip(SKIP_1) | instid1(SALU_CYCLE_2)
	s_mul_f32 s0, s0, 0x5f7ffffc
	s_wait_alu 0xfffe
	s_mul_f32 s64, s0, 0x2f800000
	s_wait_alu 0xfffe
	s_delay_alu instid0(SALU_CYCLE_2) | instskip(SKIP_1) | instid1(SALU_CYCLE_2)
	s_trunc_f32 s64, s64
	s_wait_alu 0xfffe
	s_fmamk_f32 s0, s64, 0xcf800000, s0
	s_cvt_u32_f32 s85, s64
	s_wait_alu 0xfffe
	s_delay_alu instid0(SALU_CYCLE_1) | instskip(NEXT) | instid1(SALU_CYCLE_3)
	s_cvt_u32_f32 s84, s0
	s_mul_u64 s[88:89], s[86:87], s[84:85]
	s_delay_alu instid0(SALU_CYCLE_1)
	s_mul_hi_u32 s91, s84, s89
	s_mul_i32 s90, s84, s89
	s_mul_hi_u32 s64, s84, s88
	s_mul_i32 s77, s85, s88
	s_wait_alu 0xfffe
	s_add_nc_u64 s[90:91], s[64:65], s[90:91]
	s_mul_hi_u32 s0, s85, s88
	s_mul_hi_u32 s83, s85, s89
	s_add_co_u32 s64, s90, s77
	s_wait_alu 0xfffe
	s_add_co_ci_u32 s64, s91, s0
	s_mul_i32 s88, s85, s89
	s_add_co_ci_u32 s89, s83, 0
	s_wait_alu 0xfffe
	s_add_nc_u64 s[88:89], s[64:65], s[88:89]
	s_delay_alu instid0(SALU_CYCLE_1) | instskip(SKIP_4) | instid1(SALU_CYCLE_1)
	s_add_co_u32 s84, s84, s88
	s_cselect_b32 s0, -1, 0
	s_wait_alu 0xfffe
	s_cmp_lg_u32 s0, 0
	s_add_co_ci_u32 s85, s85, s89
	s_mul_u64 s[86:87], s[86:87], s[84:85]
	s_delay_alu instid0(SALU_CYCLE_1)
	s_mul_hi_u32 s89, s84, s87
	s_mul_i32 s88, s84, s87
	s_mul_hi_u32 s64, s84, s86
	s_mul_i32 s77, s85, s86
	s_wait_alu 0xfffe
	s_add_nc_u64 s[88:89], s[64:65], s[88:89]
	s_mul_hi_u32 s0, s85, s86
	s_mul_hi_u32 s83, s85, s87
	s_add_co_u32 s64, s88, s77
	s_wait_alu 0xfffe
	s_add_co_ci_u32 s64, s89, s0
	s_mul_i32 s86, s85, s87
	s_add_co_ci_u32 s87, s83, 0
	s_wait_alu 0xfffe
	s_add_nc_u64 s[86:87], s[64:65], s[86:87]
	s_delay_alu instid0(SALU_CYCLE_1)
	s_add_co_u32 s0, s84, s86
	s_cselect_b32 s64, -1, 0
	s_wait_alu 0xfffe
	v_mul_hi_u32 v12, v2, s0
	s_cmp_lg_u32 s64, 0
	v_mad_co_u64_u32 v[7:8], null, v11, s0, 0
	s_add_co_ci_u32 s64, s85, s87
	s_wait_alu 0xfffe
	v_mad_co_u64_u32 v[5:6], null, v2, s64, 0
	v_mad_co_u64_u32 v[9:10], null, v11, s64, 0
	s_delay_alu instid0(VALU_DEP_2) | instskip(SKIP_1) | instid1(VALU_DEP_3)
	v_add_co_u32 v5, vcc_lo, v12, v5
	s_wait_alu 0xfffd
	v_add_co_ci_u32_e64 v6, null, 0, v6, vcc_lo
	s_delay_alu instid0(VALU_DEP_2) | instskip(SKIP_1) | instid1(VALU_DEP_2)
	v_add_co_u32 v5, vcc_lo, v5, v7
	s_wait_alu 0xfffd
	v_add_co_ci_u32_e32 v5, vcc_lo, v6, v8, vcc_lo
	s_wait_alu 0xfffd
	v_add_co_ci_u32_e32 v6, vcc_lo, 0, v10, vcc_lo
	s_delay_alu instid0(VALU_DEP_2) | instskip(SKIP_1) | instid1(VALU_DEP_2)
	v_add_co_u32 v7, vcc_lo, v5, v9
	s_wait_alu 0xfffd
	v_add_co_ci_u32_e64 v8, null, 0, v6, vcc_lo
	s_delay_alu instid0(VALU_DEP_2) | instskip(SKIP_1) | instid1(VALU_DEP_3)
	v_mul_lo_u32 v9, s79, v7
	v_mad_co_u64_u32 v[5:6], null, s78, v7, 0
	v_mul_lo_u32 v10, s78, v8
	s_delay_alu instid0(VALU_DEP_2) | instskip(NEXT) | instid1(VALU_DEP_2)
	v_sub_co_u32 v2, vcc_lo, v2, v5
	v_add3_u32 v6, v6, v10, v9
	s_delay_alu instid0(VALU_DEP_1) | instskip(SKIP_2) | instid1(VALU_DEP_2)
	v_sub_nc_u32_e32 v9, v11, v6
	s_wait_alu 0xfffd
	v_sub_co_ci_u32_e64 v6, null, v11, v6, vcc_lo
	v_subrev_co_ci_u32_e64 v5, null, s79, v9, vcc_lo
	v_add_co_u32 v9, s0, v7, 2
	s_wait_alu 0xf1ff
	v_add_co_ci_u32_e64 v10, null, 0, v8, s0
	v_sub_co_u32 v12, s0, v2, s78
	s_wait_alu 0xf1ff
	v_subrev_co_ci_u32_e64 v5, null, 0, v5, s0
	s_delay_alu instid0(VALU_DEP_2) | instskip(SKIP_2) | instid1(VALU_DEP_3)
	v_cmp_le_u32_e32 vcc_lo, s78, v12
	s_wait_alu 0xfffd
	v_cndmask_b32_e64 v11, 0, -1, vcc_lo
	v_cmp_le_u32_e32 vcc_lo, s79, v5
	s_wait_alu 0xfffd
	v_cndmask_b32_e64 v12, 0, -1, vcc_lo
	;; [unrolled: 3-line block ×4, first 2 shown]
	v_cmp_eq_u32_e32 vcc_lo, s79, v5
	s_wait_alu 0xfffd
	v_cndmask_b32_e32 v5, v12, v11, vcc_lo
	v_add_co_u32 v11, vcc_lo, v7, 1
	s_wait_alu 0xfffd
	v_add_co_ci_u32_e64 v12, null, 0, v8, vcc_lo
	v_cmp_eq_u32_e32 vcc_lo, s79, v6
	v_xor_b32_e32 v6, s76, v28
	s_wait_alu 0xfffd
	v_cndmask_b32_e32 v2, v13, v2, vcc_lo
	v_cmp_ne_u32_e32 vcc_lo, 0, v5
	s_delay_alu instid0(VALU_DEP_2) | instskip(SKIP_3) | instid1(VALU_DEP_1)
	v_cmp_ne_u32_e64 s0, 0, v2
	s_wait_alu 0xfffd
	v_dual_cndmask_b32 v5, v12, v10 :: v_dual_cndmask_b32 v2, v11, v9
	s_wait_alu 0xf1ff
	v_cndmask_b32_e64 v5, v8, v5, s0
	s_delay_alu instid0(VALU_DEP_2) | instskip(NEXT) | instid1(VALU_DEP_2)
	v_cndmask_b32_e64 v2, v7, v2, s0
	v_xor_b32_e32 v5, v5, v6
	s_delay_alu instid0(VALU_DEP_2) | instskip(NEXT) | instid1(VALU_DEP_1)
	v_xor_b32_e32 v2, v2, v6
	v_sub_co_u32 v9, vcc_lo, v2, v6
	s_wait_alu 0xfffd
	s_delay_alu instid0(VALU_DEP_3)
	v_sub_co_ci_u32_e64 v10, null, v5, v6, vcc_lo
.LBB7_5:                                ;   in Loop: Header=BB7_3 Depth=1
	s_wait_alu 0xfffe
	s_and_not1_saveexec_b32 s0, s1
	s_cbranch_execz .LBB7_7
; %bb.6:                                ;   in Loop: Header=BB7_3 Depth=1
	s_sub_co_i32 s1, 0, s4
	v_mov_b32_e32 v10, v1
	s_wait_alu 0xfffe
	v_mul_lo_u32 v2, s1, v0
	s_delay_alu instid0(VALU_DEP_1) | instskip(NEXT) | instid1(VALU_DEP_1)
	v_mul_hi_u32 v2, v0, v2
	v_add_nc_u32_e32 v2, v0, v2
	s_delay_alu instid0(VALU_DEP_1) | instskip(NEXT) | instid1(VALU_DEP_1)
	v_mul_hi_u32 v2, v3, v2
	v_mul_lo_u32 v5, v2, s4
	v_add_nc_u32_e32 v6, 1, v2
	s_delay_alu instid0(VALU_DEP_2) | instskip(NEXT) | instid1(VALU_DEP_1)
	v_sub_nc_u32_e32 v5, v3, v5
	v_subrev_nc_u32_e32 v7, s4, v5
	v_cmp_le_u32_e32 vcc_lo, s4, v5
	s_wait_alu 0xfffd
	s_delay_alu instid0(VALU_DEP_2) | instskip(NEXT) | instid1(VALU_DEP_1)
	v_dual_cndmask_b32 v5, v5, v7 :: v_dual_cndmask_b32 v2, v2, v6
	v_cmp_le_u32_e32 vcc_lo, s4, v5
	s_delay_alu instid0(VALU_DEP_2) | instskip(SKIP_1) | instid1(VALU_DEP_1)
	v_add_nc_u32_e32 v6, 1, v2
	s_wait_alu 0xfffd
	v_cndmask_b32_e32 v9, v2, v6, vcc_lo
.LBB7_7:                                ;   in Loop: Header=BB7_3 Depth=1
	s_wait_alu 0xfffe
	s_or_b32 exec_lo, exec_lo, s0
	s_delay_alu instid0(VALU_DEP_1)
	v_mul_lo_u32 v2, s67, v9
	v_mul_lo_u32 v7, s66, v10
	v_mad_co_u64_u32 v[5:6], null, s66, v9, 0
	s_mov_b32 s0, exec_lo
	v_add3_u32 v6, v6, v7, v2
	v_add_co_u32 v18, vcc_lo, v3, v5
                                        ; implicit-def: $vgpr7_vgpr8
	s_wait_alu 0xfffd
	s_delay_alu instid0(VALU_DEP_2) | instskip(NEXT) | instid1(VALU_DEP_1)
	v_add_co_ci_u32_e64 v20, null, v4, v6, vcc_lo
	v_or_b32_e32 v2, s35, v20
	v_ashrrev_i32_e32 v17, 31, v20
	s_delay_alu instid0(VALU_DEP_2)
	v_cmpx_ne_u64_e32 0, v[1:2]
	s_wait_alu 0xfffe
	s_xor_b32 s1, exec_lo, s0
	s_cbranch_execz .LBB7_9
; %bb.8:                                ;   in Loop: Header=BB7_3 Depth=1
	s_ashr_i32 s76, s35, 31
	v_add_co_u32 v2, vcc_lo, v18, v17
	s_wait_alu 0xfffe
	s_mov_b32 s77, s76
	s_wait_alu 0xfffd
	v_add_co_ci_u32_e64 v7, null, v20, v17, vcc_lo
	s_wait_alu 0xfffe
	s_add_nc_u64 s[78:79], s[34:35], s[76:77]
	v_xor_b32_e32 v2, v2, v17
	s_wait_alu 0xfffe
	s_xor_b64 s[78:79], s[78:79], s[76:77]
	v_xor_b32_e32 v15, v7, v17
	s_wait_alu 0xfffe
	s_cvt_f32_u32 s0, s78
	s_cvt_f32_u32 s64, s79
	s_sub_nc_u64 s[86:87], 0, s[78:79]
	s_wait_alu 0xfffe
	s_delay_alu instid0(SALU_CYCLE_1) | instskip(SKIP_1) | instid1(SALU_CYCLE_2)
	s_fmamk_f32 s0, s64, 0x4f800000, s0
	s_wait_alu 0xfffe
	v_s_rcp_f32 s0, s0
	s_delay_alu instid0(TRANS32_DEP_1) | instskip(SKIP_1) | instid1(SALU_CYCLE_2)
	s_mul_f32 s0, s0, 0x5f7ffffc
	s_wait_alu 0xfffe
	s_mul_f32 s64, s0, 0x2f800000
	s_wait_alu 0xfffe
	s_delay_alu instid0(SALU_CYCLE_2) | instskip(SKIP_1) | instid1(SALU_CYCLE_2)
	s_trunc_f32 s64, s64
	s_wait_alu 0xfffe
	s_fmamk_f32 s0, s64, 0xcf800000, s0
	s_cvt_u32_f32 s85, s64
	s_wait_alu 0xfffe
	s_delay_alu instid0(SALU_CYCLE_1) | instskip(NEXT) | instid1(SALU_CYCLE_3)
	s_cvt_u32_f32 s84, s0
	s_mul_u64 s[88:89], s[86:87], s[84:85]
	s_delay_alu instid0(SALU_CYCLE_1)
	s_mul_hi_u32 s91, s84, s89
	s_mul_i32 s90, s84, s89
	s_mul_hi_u32 s64, s84, s88
	s_mul_i32 s77, s85, s88
	s_wait_alu 0xfffe
	s_add_nc_u64 s[90:91], s[64:65], s[90:91]
	s_mul_hi_u32 s0, s85, s88
	s_mul_hi_u32 s83, s85, s89
	s_add_co_u32 s64, s90, s77
	s_wait_alu 0xfffe
	s_add_co_ci_u32 s64, s91, s0
	s_mul_i32 s88, s85, s89
	s_add_co_ci_u32 s89, s83, 0
	s_wait_alu 0xfffe
	s_add_nc_u64 s[88:89], s[64:65], s[88:89]
	s_delay_alu instid0(SALU_CYCLE_1) | instskip(SKIP_4) | instid1(SALU_CYCLE_1)
	s_add_co_u32 s84, s84, s88
	s_cselect_b32 s0, -1, 0
	s_wait_alu 0xfffe
	s_cmp_lg_u32 s0, 0
	s_add_co_ci_u32 s85, s85, s89
	s_mul_u64 s[86:87], s[86:87], s[84:85]
	s_delay_alu instid0(SALU_CYCLE_1)
	s_mul_hi_u32 s89, s84, s87
	s_mul_i32 s88, s84, s87
	s_mul_hi_u32 s64, s84, s86
	s_mul_i32 s77, s85, s86
	s_wait_alu 0xfffe
	s_add_nc_u64 s[88:89], s[64:65], s[88:89]
	s_mul_hi_u32 s0, s85, s86
	s_mul_hi_u32 s83, s85, s87
	s_add_co_u32 s64, s88, s77
	s_wait_alu 0xfffe
	s_add_co_ci_u32 s64, s89, s0
	s_mul_i32 s86, s85, s87
	s_add_co_ci_u32 s87, s83, 0
	s_wait_alu 0xfffe
	s_add_nc_u64 s[86:87], s[64:65], s[86:87]
	s_delay_alu instid0(SALU_CYCLE_1)
	s_add_co_u32 s0, s84, s86
	s_cselect_b32 s64, -1, 0
	s_wait_alu 0xfffe
	v_mul_hi_u32 v16, v2, s0
	s_cmp_lg_u32 s64, 0
	v_mad_co_u64_u32 v[11:12], null, v15, s0, 0
	s_add_co_ci_u32 s64, s85, s87
	s_wait_alu 0xfffe
	v_mad_co_u64_u32 v[7:8], null, v2, s64, 0
	v_mad_co_u64_u32 v[13:14], null, v15, s64, 0
	s_delay_alu instid0(VALU_DEP_2) | instskip(SKIP_1) | instid1(VALU_DEP_3)
	v_add_co_u32 v7, vcc_lo, v16, v7
	s_wait_alu 0xfffd
	v_add_co_ci_u32_e64 v8, null, 0, v8, vcc_lo
	s_delay_alu instid0(VALU_DEP_2) | instskip(SKIP_1) | instid1(VALU_DEP_2)
	v_add_co_u32 v7, vcc_lo, v7, v11
	s_wait_alu 0xfffd
	v_add_co_ci_u32_e32 v7, vcc_lo, v8, v12, vcc_lo
	s_wait_alu 0xfffd
	v_add_co_ci_u32_e32 v8, vcc_lo, 0, v14, vcc_lo
	s_delay_alu instid0(VALU_DEP_2) | instskip(SKIP_1) | instid1(VALU_DEP_2)
	v_add_co_u32 v11, vcc_lo, v7, v13
	s_wait_alu 0xfffd
	v_add_co_ci_u32_e64 v12, null, 0, v8, vcc_lo
	s_delay_alu instid0(VALU_DEP_2) | instskip(SKIP_1) | instid1(VALU_DEP_3)
	v_mul_lo_u32 v13, s79, v11
	v_mad_co_u64_u32 v[7:8], null, s78, v11, 0
	v_mul_lo_u32 v14, s78, v12
	s_delay_alu instid0(VALU_DEP_2) | instskip(NEXT) | instid1(VALU_DEP_2)
	v_sub_co_u32 v2, vcc_lo, v2, v7
	v_add3_u32 v8, v8, v14, v13
	s_delay_alu instid0(VALU_DEP_1) | instskip(SKIP_2) | instid1(VALU_DEP_2)
	v_sub_nc_u32_e32 v13, v15, v8
	s_wait_alu 0xfffd
	v_sub_co_ci_u32_e64 v8, null, v15, v8, vcc_lo
	v_subrev_co_ci_u32_e64 v7, null, s79, v13, vcc_lo
	v_add_co_u32 v13, s0, v11, 2
	s_wait_alu 0xf1ff
	v_add_co_ci_u32_e64 v14, null, 0, v12, s0
	v_sub_co_u32 v16, s0, v2, s78
	s_wait_alu 0xf1ff
	v_subrev_co_ci_u32_e64 v7, null, 0, v7, s0
	s_delay_alu instid0(VALU_DEP_2) | instskip(SKIP_2) | instid1(VALU_DEP_3)
	v_cmp_le_u32_e32 vcc_lo, s78, v16
	s_wait_alu 0xfffd
	v_cndmask_b32_e64 v15, 0, -1, vcc_lo
	v_cmp_le_u32_e32 vcc_lo, s79, v7
	s_wait_alu 0xfffd
	v_cndmask_b32_e64 v16, 0, -1, vcc_lo
	;; [unrolled: 3-line block ×4, first 2 shown]
	v_cmp_eq_u32_e32 vcc_lo, s79, v7
	s_wait_alu 0xfffd
	v_cndmask_b32_e32 v7, v16, v15, vcc_lo
	v_add_co_u32 v15, vcc_lo, v11, 1
	s_wait_alu 0xfffd
	v_add_co_ci_u32_e64 v16, null, 0, v12, vcc_lo
	v_cmp_eq_u32_e32 vcc_lo, s79, v8
	v_xor_b32_e32 v8, s76, v17
	s_wait_alu 0xfffd
	v_cndmask_b32_e32 v2, v19, v2, vcc_lo
	v_cmp_ne_u32_e32 vcc_lo, 0, v7
	s_delay_alu instid0(VALU_DEP_2) | instskip(SKIP_3) | instid1(VALU_DEP_1)
	v_cmp_ne_u32_e64 s0, 0, v2
	s_wait_alu 0xfffd
	v_dual_cndmask_b32 v7, v16, v14 :: v_dual_cndmask_b32 v2, v15, v13
	s_wait_alu 0xf1ff
	v_cndmask_b32_e64 v7, v12, v7, s0
	s_delay_alu instid0(VALU_DEP_2) | instskip(NEXT) | instid1(VALU_DEP_2)
	v_cndmask_b32_e64 v2, v11, v2, s0
	v_xor_b32_e32 v11, v7, v8
	s_delay_alu instid0(VALU_DEP_2) | instskip(NEXT) | instid1(VALU_DEP_1)
	v_xor_b32_e32 v2, v2, v8
	v_sub_co_u32 v7, vcc_lo, v2, v8
	s_wait_alu 0xfffd
	s_delay_alu instid0(VALU_DEP_3)
	v_sub_co_ci_u32_e64 v8, null, v11, v8, vcc_lo
.LBB7_9:                                ;   in Loop: Header=BB7_3 Depth=1
	s_wait_alu 0xfffe
	s_and_not1_saveexec_b32 s0, s1
	s_cbranch_execz .LBB7_11
; %bb.10:                               ;   in Loop: Header=BB7_3 Depth=1
	s_sub_co_i32 s1, 0, s34
	s_wait_alu 0xfffe
	v_mul_lo_u32 v2, s1, v27
	s_delay_alu instid0(VALU_DEP_1) | instskip(NEXT) | instid1(VALU_DEP_1)
	v_mul_hi_u32 v2, v27, v2
	v_add_nc_u32_e32 v2, v27, v2
	s_delay_alu instid0(VALU_DEP_1) | instskip(NEXT) | instid1(VALU_DEP_1)
	v_mul_hi_u32 v2, v18, v2
	v_mul_lo_u32 v7, v2, s34
	s_delay_alu instid0(VALU_DEP_1) | instskip(NEXT) | instid1(VALU_DEP_1)
	v_sub_nc_u32_e32 v7, v18, v7
	v_subrev_nc_u32_e32 v11, s34, v7
	v_cmp_le_u32_e32 vcc_lo, s34, v7
	s_wait_alu 0xfffd
	s_delay_alu instid0(VALU_DEP_2) | instskip(NEXT) | instid1(VALU_DEP_1)
	v_dual_cndmask_b32 v7, v7, v11 :: v_dual_add_nc_u32 v8, 1, v2
	v_cndmask_b32_e32 v2, v2, v8, vcc_lo
	s_delay_alu instid0(VALU_DEP_2) | instskip(NEXT) | instid1(VALU_DEP_2)
	v_cmp_le_u32_e32 vcc_lo, s34, v7
	v_add_nc_u32_e32 v8, 1, v2
	s_wait_alu 0xfffd
	s_delay_alu instid0(VALU_DEP_1)
	v_dual_cndmask_b32 v7, v2, v8 :: v_dual_mov_b32 v8, v1
.LBB7_11:                               ;   in Loop: Header=BB7_3 Depth=1
	s_wait_alu 0xfffe
	s_or_b32 exec_lo, exec_lo, s0
	s_delay_alu instid0(VALU_DEP_1) | instskip(NEXT) | instid1(VALU_DEP_2)
	v_mul_lo_u32 v2, v8, s34
	v_mul_lo_u32 v13, v7, s35
	v_mad_co_u64_u32 v[11:12], null, v7, s34, 0
	v_mul_lo_u32 v14, v7, s9
	s_mov_b32 s0, exec_lo
	s_delay_alu instid0(VALU_DEP_2) | instskip(SKIP_1) | instid1(VALU_DEP_4)
	v_add3_u32 v2, v12, v13, v2
	v_mul_lo_u32 v13, v8, s8
	v_sub_co_u32 v8, vcc_lo, v5, v11
	s_wait_alu 0xfffd
	s_delay_alu instid0(VALU_DEP_3) | instskip(NEXT) | instid1(VALU_DEP_2)
	v_sub_co_ci_u32_e64 v2, null, v6, v2, vcc_lo
	v_add_co_u32 v11, vcc_lo, v3, v8
	v_mad_co_u64_u32 v[7:8], null, v7, s8, 0
	s_wait_alu 0xfffd
	s_delay_alu instid0(VALU_DEP_3) | instskip(NEXT) | instid1(VALU_DEP_3)
	v_add_co_ci_u32_e64 v2, null, v4, v2, vcc_lo
	v_mul_lo_u32 v15, v11, s11
	v_mad_co_u64_u32 v[11:12], null, v11, s10, 0
	s_delay_alu instid0(VALU_DEP_3) | instskip(SKIP_2) | instid1(VALU_DEP_2)
	v_mul_lo_u32 v2, v2, s10
	v_add3_u32 v8, v8, v14, v13
	v_mad_co_u64_u32 v[13:14], null, v9, 3, 0
	v_lshlrev_b64_e32 v[7:8], 2, v[7:8]
	s_delay_alu instid0(VALU_DEP_4) | instskip(NEXT) | instid1(VALU_DEP_2)
	v_add3_u32 v12, v12, v15, v2
	v_add_co_u32 v2, vcc_lo, s2, v7
	s_delay_alu instid0(VALU_DEP_2) | instskip(SKIP_1) | instid1(VALU_DEP_4)
	v_lshlrev_b64_e32 v[11:12], 2, v[11:12]
	s_wait_alu 0xfffd
	v_add_co_ci_u32_e64 v8, null, s3, v8, vcc_lo
	s_delay_alu instid0(VALU_DEP_2) | instskip(SKIP_1) | instid1(VALU_DEP_2)
	v_add_co_u32 v7, vcc_lo, v2, v11
	s_wait_alu 0xfffd
	v_add_co_ci_u32_e64 v8, null, v8, v12, vcc_lo
	v_mov_b32_e32 v2, v14
	global_load_b32 v29, v[7:8], off
	v_mad_co_u64_u32 v[7:8], null, s4, v13, s[4:5]
	v_mad_co_u64_u32 v[14:15], null, v10, 3, v[2:3]
	v_mul_lo_u32 v2, s5, v13
	s_delay_alu instid0(VALU_DEP_3) | instskip(NEXT) | instid1(VALU_DEP_3)
	v_add_co_u32 v22, vcc_lo, v3, v7
	v_mul_lo_u32 v11, s4, v14
	s_delay_alu instid0(VALU_DEP_1) | instskip(SKIP_1) | instid1(VALU_DEP_1)
	v_add3_u32 v8, v2, v8, v11
                                        ; implicit-def: $vgpr11_vgpr12
	s_wait_alu 0xfffd
	v_add_co_ci_u32_e64 v23, null, v4, v8, vcc_lo
	s_delay_alu instid0(VALU_DEP_1) | instskip(SKIP_1) | instid1(VALU_DEP_2)
	v_or_b32_e32 v2, s35, v23
	v_ashrrev_i32_e32 v19, 31, v23
	v_cmpx_ne_u64_e32 0, v[1:2]
	s_wait_alu 0xfffe
	s_xor_b32 s1, exec_lo, s0
	s_cbranch_execz .LBB7_13
; %bb.12:                               ;   in Loop: Header=BB7_3 Depth=1
	s_ashr_i32 s76, s35, 31
	v_add_co_u32 v2, vcc_lo, v22, v19
	s_wait_alu 0xfffe
	s_mov_b32 s77, s76
	s_wait_alu 0xfffd
	v_add_co_ci_u32_e64 v11, null, v23, v19, vcc_lo
	s_wait_alu 0xfffe
	s_add_nc_u64 s[78:79], s[34:35], s[76:77]
	v_xor_b32_e32 v2, v2, v19
	s_wait_alu 0xfffe
	s_xor_b64 s[78:79], s[78:79], s[76:77]
	v_xor_b32_e32 v21, v11, v19
	s_wait_alu 0xfffe
	s_cvt_f32_u32 s0, s78
	s_cvt_f32_u32 s64, s79
	s_sub_nc_u64 s[86:87], 0, s[78:79]
	s_wait_alu 0xfffe
	s_delay_alu instid0(SALU_CYCLE_1) | instskip(SKIP_1) | instid1(SALU_CYCLE_2)
	s_fmamk_f32 s0, s64, 0x4f800000, s0
	s_wait_alu 0xfffe
	v_s_rcp_f32 s0, s0
	s_delay_alu instid0(TRANS32_DEP_1) | instskip(SKIP_1) | instid1(SALU_CYCLE_2)
	s_mul_f32 s0, s0, 0x5f7ffffc
	s_wait_alu 0xfffe
	s_mul_f32 s64, s0, 0x2f800000
	s_wait_alu 0xfffe
	s_delay_alu instid0(SALU_CYCLE_2) | instskip(SKIP_1) | instid1(SALU_CYCLE_2)
	s_trunc_f32 s64, s64
	s_wait_alu 0xfffe
	s_fmamk_f32 s0, s64, 0xcf800000, s0
	s_cvt_u32_f32 s85, s64
	s_wait_alu 0xfffe
	s_delay_alu instid0(SALU_CYCLE_1) | instskip(NEXT) | instid1(SALU_CYCLE_3)
	s_cvt_u32_f32 s84, s0
	s_mul_u64 s[88:89], s[86:87], s[84:85]
	s_delay_alu instid0(SALU_CYCLE_1)
	s_mul_hi_u32 s91, s84, s89
	s_mul_i32 s90, s84, s89
	s_mul_hi_u32 s64, s84, s88
	s_mul_i32 s77, s85, s88
	s_wait_alu 0xfffe
	s_add_nc_u64 s[90:91], s[64:65], s[90:91]
	s_mul_hi_u32 s0, s85, s88
	s_mul_hi_u32 s83, s85, s89
	s_add_co_u32 s64, s90, s77
	s_wait_alu 0xfffe
	s_add_co_ci_u32 s64, s91, s0
	s_mul_i32 s88, s85, s89
	s_add_co_ci_u32 s89, s83, 0
	s_wait_alu 0xfffe
	s_add_nc_u64 s[88:89], s[64:65], s[88:89]
	s_delay_alu instid0(SALU_CYCLE_1) | instskip(SKIP_4) | instid1(SALU_CYCLE_1)
	s_add_co_u32 s84, s84, s88
	s_cselect_b32 s0, -1, 0
	s_wait_alu 0xfffe
	s_cmp_lg_u32 s0, 0
	s_add_co_ci_u32 s85, s85, s89
	s_mul_u64 s[86:87], s[86:87], s[84:85]
	s_delay_alu instid0(SALU_CYCLE_1)
	s_mul_hi_u32 s89, s84, s87
	s_mul_i32 s88, s84, s87
	s_mul_hi_u32 s64, s84, s86
	s_mul_i32 s77, s85, s86
	s_wait_alu 0xfffe
	s_add_nc_u64 s[88:89], s[64:65], s[88:89]
	s_mul_hi_u32 s0, s85, s86
	s_mul_hi_u32 s83, s85, s87
	s_add_co_u32 s64, s88, s77
	s_wait_alu 0xfffe
	s_add_co_ci_u32 s64, s89, s0
	s_mul_i32 s86, s85, s87
	s_add_co_ci_u32 s87, s83, 0
	s_wait_alu 0xfffe
	s_add_nc_u64 s[86:87], s[64:65], s[86:87]
	s_delay_alu instid0(SALU_CYCLE_1)
	s_add_co_u32 s0, s84, s86
	s_cselect_b32 s64, -1, 0
	s_wait_alu 0xfffe
	v_mul_hi_u32 v26, v2, s0
	s_cmp_lg_u32 s64, 0
	v_mad_co_u64_u32 v[15:16], null, v21, s0, 0
	s_add_co_ci_u32 s64, s85, s87
	s_wait_alu 0xfffe
	v_mad_co_u64_u32 v[11:12], null, v2, s64, 0
	v_mad_co_u64_u32 v[24:25], null, v21, s64, 0
	s_delay_alu instid0(VALU_DEP_2) | instskip(SKIP_1) | instid1(VALU_DEP_3)
	v_add_co_u32 v11, vcc_lo, v26, v11
	s_wait_alu 0xfffd
	v_add_co_ci_u32_e64 v12, null, 0, v12, vcc_lo
	s_delay_alu instid0(VALU_DEP_2) | instskip(SKIP_1) | instid1(VALU_DEP_2)
	v_add_co_u32 v11, vcc_lo, v11, v15
	s_wait_alu 0xfffd
	v_add_co_ci_u32_e32 v11, vcc_lo, v12, v16, vcc_lo
	s_wait_alu 0xfffd
	v_add_co_ci_u32_e32 v12, vcc_lo, 0, v25, vcc_lo
	s_delay_alu instid0(VALU_DEP_2) | instskip(SKIP_1) | instid1(VALU_DEP_2)
	v_add_co_u32 v15, vcc_lo, v11, v24
	s_wait_alu 0xfffd
	v_add_co_ci_u32_e64 v16, null, 0, v12, vcc_lo
	s_delay_alu instid0(VALU_DEP_2) | instskip(SKIP_1) | instid1(VALU_DEP_3)
	v_mul_lo_u32 v24, s79, v15
	v_mad_co_u64_u32 v[11:12], null, s78, v15, 0
	v_mul_lo_u32 v25, s78, v16
	s_delay_alu instid0(VALU_DEP_2) | instskip(NEXT) | instid1(VALU_DEP_2)
	v_sub_co_u32 v2, vcc_lo, v2, v11
	v_add3_u32 v12, v12, v25, v24
	s_delay_alu instid0(VALU_DEP_1) | instskip(SKIP_2) | instid1(VALU_DEP_2)
	v_sub_nc_u32_e32 v24, v21, v12
	s_wait_alu 0xfffd
	v_sub_co_ci_u32_e64 v12, null, v21, v12, vcc_lo
	v_subrev_co_ci_u32_e64 v11, null, s79, v24, vcc_lo
	v_add_co_u32 v24, s0, v15, 2
	s_wait_alu 0xf1ff
	v_add_co_ci_u32_e64 v25, null, 0, v16, s0
	v_sub_co_u32 v26, s0, v2, s78
	s_wait_alu 0xf1ff
	v_subrev_co_ci_u32_e64 v11, null, 0, v11, s0
	s_delay_alu instid0(VALU_DEP_2) | instskip(SKIP_2) | instid1(VALU_DEP_3)
	v_cmp_le_u32_e32 vcc_lo, s78, v26
	s_wait_alu 0xfffd
	v_cndmask_b32_e64 v21, 0, -1, vcc_lo
	v_cmp_le_u32_e32 vcc_lo, s79, v11
	s_wait_alu 0xfffd
	v_cndmask_b32_e64 v26, 0, -1, vcc_lo
	;; [unrolled: 3-line block ×4, first 2 shown]
	v_cmp_eq_u32_e32 vcc_lo, s79, v11
	s_wait_alu 0xfffd
	v_cndmask_b32_e32 v11, v26, v21, vcc_lo
	v_add_co_u32 v21, vcc_lo, v15, 1
	s_wait_alu 0xfffd
	v_add_co_ci_u32_e64 v26, null, 0, v16, vcc_lo
	v_cmp_eq_u32_e32 vcc_lo, s79, v12
	v_xor_b32_e32 v12, s76, v19
	s_wait_alu 0xfffd
	v_cndmask_b32_e32 v2, v30, v2, vcc_lo
	v_cmp_ne_u32_e32 vcc_lo, 0, v11
	s_delay_alu instid0(VALU_DEP_2) | instskip(SKIP_3) | instid1(VALU_DEP_1)
	v_cmp_ne_u32_e64 s0, 0, v2
	s_wait_alu 0xfffd
	v_dual_cndmask_b32 v2, v21, v24 :: v_dual_cndmask_b32 v11, v26, v25
	s_wait_alu 0xf1ff
	v_cndmask_b32_e64 v2, v15, v2, s0
	s_delay_alu instid0(VALU_DEP_2) | instskip(NEXT) | instid1(VALU_DEP_2)
	v_cndmask_b32_e64 v11, v16, v11, s0
	v_xor_b32_e32 v2, v2, v12
	s_delay_alu instid0(VALU_DEP_2) | instskip(NEXT) | instid1(VALU_DEP_2)
	v_xor_b32_e32 v15, v11, v12
	v_sub_co_u32 v11, vcc_lo, v2, v12
	s_wait_alu 0xfffd
	s_delay_alu instid0(VALU_DEP_2)
	v_sub_co_ci_u32_e64 v12, null, v15, v12, vcc_lo
.LBB7_13:                               ;   in Loop: Header=BB7_3 Depth=1
	s_wait_alu 0xfffe
	s_and_not1_saveexec_b32 s0, s1
	s_cbranch_execz .LBB7_15
; %bb.14:                               ;   in Loop: Header=BB7_3 Depth=1
	s_sub_co_i32 s1, 0, s34
	s_wait_alu 0xfffe
	v_mul_lo_u32 v2, s1, v27
	s_delay_alu instid0(VALU_DEP_1) | instskip(NEXT) | instid1(VALU_DEP_1)
	v_mul_hi_u32 v2, v27, v2
	v_add_nc_u32_e32 v2, v27, v2
	s_delay_alu instid0(VALU_DEP_1) | instskip(NEXT) | instid1(VALU_DEP_1)
	v_mul_hi_u32 v2, v22, v2
	v_mul_lo_u32 v11, v2, s34
	s_delay_alu instid0(VALU_DEP_1) | instskip(NEXT) | instid1(VALU_DEP_1)
	v_sub_nc_u32_e32 v11, v22, v11
	v_subrev_nc_u32_e32 v15, s34, v11
	v_cmp_le_u32_e32 vcc_lo, s34, v11
	s_wait_alu 0xfffd
	s_delay_alu instid0(VALU_DEP_2) | instskip(NEXT) | instid1(VALU_DEP_1)
	v_dual_cndmask_b32 v11, v11, v15 :: v_dual_add_nc_u32 v12, 1, v2
	v_cndmask_b32_e32 v2, v2, v12, vcc_lo
	s_delay_alu instid0(VALU_DEP_2) | instskip(NEXT) | instid1(VALU_DEP_2)
	v_cmp_le_u32_e32 vcc_lo, s34, v11
	v_add_nc_u32_e32 v12, 1, v2
	s_wait_alu 0xfffd
	s_delay_alu instid0(VALU_DEP_1)
	v_dual_cndmask_b32 v11, v2, v12 :: v_dual_mov_b32 v12, v1
.LBB7_15:                               ;   in Loop: Header=BB7_3 Depth=1
	s_wait_alu 0xfffe
	s_or_b32 exec_lo, exec_lo, s0
	s_delay_alu instid0(VALU_DEP_1) | instskip(NEXT) | instid1(VALU_DEP_2)
	v_mul_lo_u32 v2, v12, s34
	v_mul_lo_u32 v21, v11, s35
	v_mad_co_u64_u32 v[15:16], null, v11, s34, 0
	v_mul_lo_u32 v24, v11, s9
	s_mov_b32 s0, exec_lo
	s_delay_alu instid0(VALU_DEP_2) | instskip(SKIP_1) | instid1(VALU_DEP_4)
	v_add3_u32 v2, v16, v21, v2
	v_mul_lo_u32 v21, v12, s8
	v_sub_co_u32 v12, vcc_lo, v7, v15
	s_wait_alu 0xfffd
	s_delay_alu instid0(VALU_DEP_3) | instskip(NEXT) | instid1(VALU_DEP_2)
	v_sub_co_ci_u32_e64 v2, null, v8, v2, vcc_lo
	v_add_co_u32 v15, vcc_lo, v3, v12
	v_mad_co_u64_u32 v[11:12], null, v11, s8, 0
	s_wait_alu 0xfffd
	s_delay_alu instid0(VALU_DEP_3) | instskip(NEXT) | instid1(VALU_DEP_3)
	v_add_co_ci_u32_e64 v2, null, v4, v2, vcc_lo
	v_mul_lo_u32 v25, v15, s11
	v_mad_co_u64_u32 v[15:16], null, v15, s10, 0
	s_delay_alu instid0(VALU_DEP_3) | instskip(SKIP_1) | instid1(VALU_DEP_1)
	v_mul_lo_u32 v2, v2, s10
	v_add3_u32 v12, v12, v24, v21
	v_lshlrev_b64_e32 v[11:12], 2, v[11:12]
	s_delay_alu instid0(VALU_DEP_3) | instskip(NEXT) | instid1(VALU_DEP_2)
	v_add3_u32 v16, v16, v25, v2
	v_add_co_u32 v2, vcc_lo, s2, v11
	s_delay_alu instid0(VALU_DEP_2) | instskip(SKIP_1) | instid1(VALU_DEP_4)
	v_lshlrev_b64_e32 v[15:16], 2, v[15:16]
	s_wait_alu 0xfffd
	v_add_co_ci_u32_e64 v12, null, s3, v12, vcc_lo
	s_delay_alu instid0(VALU_DEP_2) | instskip(SKIP_1) | instid1(VALU_DEP_2)
	v_add_co_u32 v11, vcc_lo, v2, v15
	s_wait_alu 0xfffd
	v_add_co_ci_u32_e64 v12, null, v12, v16, vcc_lo
	v_add_co_u32 v2, vcc_lo, v13, 2
	global_load_b32 v30, v[11:12], off
	s_wait_alu 0xfffd
	v_add_co_ci_u32_e64 v11, null, 0, v14, vcc_lo
	v_mul_lo_u32 v15, s5, v2
	s_delay_alu instid0(VALU_DEP_2) | instskip(SKIP_1) | instid1(VALU_DEP_1)
	v_mul_lo_u32 v16, s4, v11
	v_mad_co_u64_u32 v[11:12], null, s4, v2, 0
	v_add3_u32 v12, v12, v16, v15
	s_delay_alu instid0(VALU_DEP_2) | instskip(SKIP_1) | instid1(VALU_DEP_2)
	v_add_co_u32 v25, vcc_lo, v3, v11
                                        ; implicit-def: $vgpr15_vgpr16
	s_wait_alu 0xfffd
	v_add_co_ci_u32_e64 v26, null, v4, v12, vcc_lo
	s_delay_alu instid0(VALU_DEP_1) | instskip(SKIP_1) | instid1(VALU_DEP_2)
	v_or_b32_e32 v2, s35, v26
	v_ashrrev_i32_e32 v21, 31, v26
	v_cmpx_ne_u64_e32 0, v[1:2]
	s_wait_alu 0xfffe
	s_xor_b32 s1, exec_lo, s0
	s_cbranch_execz .LBB7_17
; %bb.16:                               ;   in Loop: Header=BB7_3 Depth=1
	s_ashr_i32 s76, s35, 31
	v_add_co_u32 v2, vcc_lo, v25, v21
	s_wait_alu 0xfffe
	s_mov_b32 s77, s76
	s_wait_alu 0xfffd
	v_add_co_ci_u32_e64 v15, null, v26, v21, vcc_lo
	s_wait_alu 0xfffe
	s_add_nc_u64 s[78:79], s[34:35], s[76:77]
	v_xor_b32_e32 v2, v2, v21
	s_wait_alu 0xfffe
	s_xor_b64 s[78:79], s[78:79], s[76:77]
	v_xor_b32_e32 v24, v15, v21
	s_wait_alu 0xfffe
	s_cvt_f32_u32 s0, s78
	s_cvt_f32_u32 s64, s79
	s_sub_nc_u64 s[86:87], 0, s[78:79]
	s_wait_alu 0xfffe
	s_delay_alu instid0(SALU_CYCLE_1) | instskip(SKIP_1) | instid1(SALU_CYCLE_2)
	s_fmamk_f32 s0, s64, 0x4f800000, s0
	s_wait_alu 0xfffe
	v_s_rcp_f32 s0, s0
	s_delay_alu instid0(TRANS32_DEP_1) | instskip(SKIP_1) | instid1(SALU_CYCLE_2)
	s_mul_f32 s0, s0, 0x5f7ffffc
	s_wait_alu 0xfffe
	s_mul_f32 s64, s0, 0x2f800000
	s_wait_alu 0xfffe
	s_delay_alu instid0(SALU_CYCLE_2) | instskip(SKIP_1) | instid1(SALU_CYCLE_2)
	s_trunc_f32 s64, s64
	s_wait_alu 0xfffe
	s_fmamk_f32 s0, s64, 0xcf800000, s0
	s_cvt_u32_f32 s85, s64
	s_wait_alu 0xfffe
	s_delay_alu instid0(SALU_CYCLE_1) | instskip(NEXT) | instid1(SALU_CYCLE_3)
	s_cvt_u32_f32 s84, s0
	s_mul_u64 s[88:89], s[86:87], s[84:85]
	s_delay_alu instid0(SALU_CYCLE_1)
	s_mul_hi_u32 s91, s84, s89
	s_mul_i32 s90, s84, s89
	s_mul_hi_u32 s64, s84, s88
	s_mul_i32 s77, s85, s88
	s_wait_alu 0xfffe
	s_add_nc_u64 s[90:91], s[64:65], s[90:91]
	s_mul_hi_u32 s0, s85, s88
	s_mul_hi_u32 s83, s85, s89
	s_add_co_u32 s64, s90, s77
	s_wait_alu 0xfffe
	s_add_co_ci_u32 s64, s91, s0
	s_mul_i32 s88, s85, s89
	s_add_co_ci_u32 s89, s83, 0
	s_wait_alu 0xfffe
	s_add_nc_u64 s[88:89], s[64:65], s[88:89]
	s_delay_alu instid0(SALU_CYCLE_1) | instskip(SKIP_4) | instid1(SALU_CYCLE_1)
	s_add_co_u32 s84, s84, s88
	s_cselect_b32 s0, -1, 0
	s_wait_alu 0xfffe
	s_cmp_lg_u32 s0, 0
	s_add_co_ci_u32 s85, s85, s89
	s_mul_u64 s[86:87], s[86:87], s[84:85]
	s_delay_alu instid0(SALU_CYCLE_1)
	s_mul_hi_u32 s89, s84, s87
	s_mul_i32 s88, s84, s87
	s_mul_hi_u32 s64, s84, s86
	s_mul_i32 s77, s85, s86
	s_wait_alu 0xfffe
	s_add_nc_u64 s[88:89], s[64:65], s[88:89]
	s_mul_hi_u32 s0, s85, s86
	s_mul_hi_u32 s83, s85, s87
	s_add_co_u32 s64, s88, s77
	s_wait_alu 0xfffe
	s_add_co_ci_u32 s64, s89, s0
	s_mul_i32 s86, s85, s87
	s_add_co_ci_u32 s87, s83, 0
	s_wait_alu 0xfffe
	s_add_nc_u64 s[86:87], s[64:65], s[86:87]
	s_delay_alu instid0(SALU_CYCLE_1)
	s_add_co_u32 s0, s84, s86
	s_cselect_b32 s64, -1, 0
	s_wait_alu 0xfffe
	v_mul_hi_u32 v35, v2, s0
	s_cmp_lg_u32 s64, 0
	v_mad_co_u64_u32 v[31:32], null, v24, s0, 0
	s_add_co_ci_u32 s64, s85, s87
	s_wait_alu 0xfffe
	v_mad_co_u64_u32 v[15:16], null, v2, s64, 0
	v_mad_co_u64_u32 v[33:34], null, v24, s64, 0
	s_delay_alu instid0(VALU_DEP_2) | instskip(SKIP_1) | instid1(VALU_DEP_3)
	v_add_co_u32 v15, vcc_lo, v35, v15
	s_wait_alu 0xfffd
	v_add_co_ci_u32_e64 v16, null, 0, v16, vcc_lo
	s_delay_alu instid0(VALU_DEP_2) | instskip(SKIP_1) | instid1(VALU_DEP_2)
	v_add_co_u32 v15, vcc_lo, v15, v31
	s_wait_alu 0xfffd
	v_add_co_ci_u32_e32 v15, vcc_lo, v16, v32, vcc_lo
	s_wait_alu 0xfffd
	v_add_co_ci_u32_e32 v16, vcc_lo, 0, v34, vcc_lo
	s_delay_alu instid0(VALU_DEP_2) | instskip(SKIP_1) | instid1(VALU_DEP_2)
	v_add_co_u32 v31, vcc_lo, v15, v33
	s_wait_alu 0xfffd
	v_add_co_ci_u32_e64 v32, null, 0, v16, vcc_lo
	s_delay_alu instid0(VALU_DEP_2) | instskip(SKIP_1) | instid1(VALU_DEP_3)
	v_mul_lo_u32 v33, s79, v31
	v_mad_co_u64_u32 v[15:16], null, s78, v31, 0
	v_mul_lo_u32 v34, s78, v32
	s_delay_alu instid0(VALU_DEP_2) | instskip(NEXT) | instid1(VALU_DEP_2)
	v_sub_co_u32 v2, vcc_lo, v2, v15
	v_add3_u32 v16, v16, v34, v33
	s_delay_alu instid0(VALU_DEP_1) | instskip(SKIP_2) | instid1(VALU_DEP_2)
	v_sub_nc_u32_e32 v33, v24, v16
	s_wait_alu 0xfffd
	v_sub_co_ci_u32_e64 v16, null, v24, v16, vcc_lo
	v_subrev_co_ci_u32_e64 v15, null, s79, v33, vcc_lo
	v_add_co_u32 v33, s0, v31, 2
	s_wait_alu 0xf1ff
	v_add_co_ci_u32_e64 v34, null, 0, v32, s0
	v_sub_co_u32 v35, s0, v2, s78
	s_wait_alu 0xf1ff
	v_subrev_co_ci_u32_e64 v15, null, 0, v15, s0
	s_delay_alu instid0(VALU_DEP_2) | instskip(SKIP_2) | instid1(VALU_DEP_3)
	v_cmp_le_u32_e32 vcc_lo, s78, v35
	s_wait_alu 0xfffd
	v_cndmask_b32_e64 v24, 0, -1, vcc_lo
	v_cmp_le_u32_e32 vcc_lo, s79, v15
	s_wait_alu 0xfffd
	v_cndmask_b32_e64 v35, 0, -1, vcc_lo
	v_cmp_le_u32_e32 vcc_lo, s78, v2
	s_wait_alu 0xfffd
	v_cndmask_b32_e64 v2, 0, -1, vcc_lo
	v_cmp_le_u32_e32 vcc_lo, s79, v16
	s_wait_alu 0xfffd
	v_cndmask_b32_e64 v36, 0, -1, vcc_lo
	v_cmp_eq_u32_e32 vcc_lo, s79, v15
	s_wait_alu 0xfffd
	v_cndmask_b32_e32 v15, v35, v24, vcc_lo
	v_add_co_u32 v24, vcc_lo, v31, 1
	s_wait_alu 0xfffd
	v_add_co_ci_u32_e64 v35, null, 0, v32, vcc_lo
	v_cmp_eq_u32_e32 vcc_lo, s79, v16
	v_xor_b32_e32 v16, s76, v21
	s_wait_alu 0xfffd
	v_cndmask_b32_e32 v2, v36, v2, vcc_lo
	v_cmp_ne_u32_e32 vcc_lo, 0, v15
	s_delay_alu instid0(VALU_DEP_2) | instskip(SKIP_3) | instid1(VALU_DEP_1)
	v_cmp_ne_u32_e64 s0, 0, v2
	s_wait_alu 0xfffd
	v_dual_cndmask_b32 v15, v35, v34 :: v_dual_cndmask_b32 v2, v24, v33
	s_wait_alu 0xf1ff
	v_cndmask_b32_e64 v15, v32, v15, s0
	s_delay_alu instid0(VALU_DEP_2) | instskip(NEXT) | instid1(VALU_DEP_2)
	v_cndmask_b32_e64 v2, v31, v2, s0
	v_xor_b32_e32 v24, v15, v16
	s_delay_alu instid0(VALU_DEP_2) | instskip(NEXT) | instid1(VALU_DEP_1)
	v_xor_b32_e32 v2, v2, v16
	v_sub_co_u32 v15, vcc_lo, v2, v16
	s_wait_alu 0xfffd
	s_delay_alu instid0(VALU_DEP_3)
	v_sub_co_ci_u32_e64 v16, null, v24, v16, vcc_lo
.LBB7_17:                               ;   in Loop: Header=BB7_3 Depth=1
	s_wait_alu 0xfffe
	s_and_not1_saveexec_b32 s0, s1
	s_cbranch_execz .LBB7_19
; %bb.18:                               ;   in Loop: Header=BB7_3 Depth=1
	s_sub_co_i32 s1, 0, s34
	s_wait_alu 0xfffe
	v_mul_lo_u32 v2, s1, v27
	s_delay_alu instid0(VALU_DEP_1) | instskip(NEXT) | instid1(VALU_DEP_1)
	v_mul_hi_u32 v2, v27, v2
	v_add_nc_u32_e32 v2, v27, v2
	s_delay_alu instid0(VALU_DEP_1) | instskip(NEXT) | instid1(VALU_DEP_1)
	v_mul_hi_u32 v2, v25, v2
	v_mul_lo_u32 v15, v2, s34
	s_delay_alu instid0(VALU_DEP_1) | instskip(NEXT) | instid1(VALU_DEP_1)
	v_sub_nc_u32_e32 v15, v25, v15
	v_subrev_nc_u32_e32 v24, s34, v15
	v_cmp_le_u32_e32 vcc_lo, s34, v15
	s_wait_alu 0xfffd
	s_delay_alu instid0(VALU_DEP_2) | instskip(NEXT) | instid1(VALU_DEP_1)
	v_dual_cndmask_b32 v15, v15, v24 :: v_dual_add_nc_u32 v16, 1, v2
	v_cndmask_b32_e32 v2, v2, v16, vcc_lo
	s_delay_alu instid0(VALU_DEP_2) | instskip(NEXT) | instid1(VALU_DEP_2)
	v_cmp_le_u32_e32 vcc_lo, s34, v15
	v_add_nc_u32_e32 v16, 1, v2
	s_wait_alu 0xfffd
	s_delay_alu instid0(VALU_DEP_1)
	v_dual_cndmask_b32 v15, v2, v16 :: v_dual_mov_b32 v16, v1
.LBB7_19:                               ;   in Loop: Header=BB7_3 Depth=1
	s_wait_alu 0xfffe
	s_or_b32 exec_lo, exec_lo, s0
	s_delay_alu instid0(VALU_DEP_1) | instskip(NEXT) | instid1(VALU_DEP_2)
	v_mul_lo_u32 v2, v16, s34
	v_mul_lo_u32 v24, v15, s35
	v_mad_co_u64_u32 v[31:32], null, v15, s34, 0
	v_mul_lo_u32 v33, v15, s9
	s_mov_b32 s0, exec_lo
	s_delay_alu instid0(VALU_DEP_2) | instskip(SKIP_1) | instid1(VALU_DEP_4)
	v_add3_u32 v2, v32, v24, v2
	v_mul_lo_u32 v24, v16, s8
	v_sub_co_u32 v16, vcc_lo, v11, v31
	s_wait_alu 0xfffd
	s_delay_alu instid0(VALU_DEP_3) | instskip(NEXT) | instid1(VALU_DEP_2)
	v_sub_co_ci_u32_e64 v2, null, v12, v2, vcc_lo
	v_add_co_u32 v31, vcc_lo, v3, v16
	v_mad_co_u64_u32 v[15:16], null, v15, s8, 0
	s_wait_alu 0xfffd
	s_delay_alu instid0(VALU_DEP_3) | instskip(NEXT) | instid1(VALU_DEP_3)
	v_add_co_ci_u32_e64 v2, null, v4, v2, vcc_lo
	v_mul_lo_u32 v34, v31, s11
	v_mad_co_u64_u32 v[31:32], null, v31, s10, 0
	s_delay_alu instid0(VALU_DEP_3) | instskip(SKIP_1) | instid1(VALU_DEP_1)
	v_mul_lo_u32 v2, v2, s10
	v_add3_u32 v16, v16, v33, v24
	v_lshlrev_b64_e32 v[15:16], 2, v[15:16]
	s_delay_alu instid0(VALU_DEP_3) | instskip(NEXT) | instid1(VALU_DEP_2)
	v_add3_u32 v32, v32, v34, v2
	v_add_co_u32 v2, vcc_lo, s2, v15
	s_delay_alu instid0(VALU_DEP_2) | instskip(SKIP_1) | instid1(VALU_DEP_4)
	v_lshlrev_b64_e32 v[31:32], 2, v[31:32]
	s_wait_alu 0xfffd
	v_add_co_ci_u32_e64 v16, null, s3, v16, vcc_lo
	s_delay_alu instid0(VALU_DEP_2) | instskip(SKIP_1) | instid1(VALU_DEP_2)
	v_add_co_u32 v15, vcc_lo, v2, v31
	s_wait_alu 0xfffd
	v_add_co_ci_u32_e64 v16, null, v16, v32, vcc_lo
	v_add_co_u32 v2, vcc_lo, v13, 3
	s_wait_alu 0xfffd
	v_add_co_ci_u32_e64 v13, null, 0, v14, vcc_lo
	global_load_b32 v31, v[15:16], off
	v_mul_lo_u32 v15, s5, v2
	v_mul_lo_u32 v16, s4, v13
	v_mad_co_u64_u32 v[13:14], null, s4, v2, 0
	s_delay_alu instid0(VALU_DEP_1) | instskip(NEXT) | instid1(VALU_DEP_2)
	v_add3_u32 v14, v14, v16, v15
	v_add_co_u32 v35, vcc_lo, v3, v13
                                        ; implicit-def: $vgpr15_vgpr16
	s_wait_alu 0xfffd
	s_delay_alu instid0(VALU_DEP_2) | instskip(NEXT) | instid1(VALU_DEP_1)
	v_add_co_ci_u32_e64 v36, null, v4, v14, vcc_lo
	v_or_b32_e32 v2, s35, v36
	v_ashrrev_i32_e32 v24, 31, v36
	s_delay_alu instid0(VALU_DEP_2)
	v_cmpx_ne_u64_e32 0, v[1:2]
	s_wait_alu 0xfffe
	s_xor_b32 s1, exec_lo, s0
	s_cbranch_execz .LBB7_21
; %bb.20:                               ;   in Loop: Header=BB7_3 Depth=1
	s_ashr_i32 s76, s35, 31
	v_add_co_u32 v2, vcc_lo, v35, v24
	s_wait_alu 0xfffe
	s_mov_b32 s77, s76
	s_wait_alu 0xfffd
	v_add_co_ci_u32_e64 v15, null, v36, v24, vcc_lo
	s_wait_alu 0xfffe
	s_add_nc_u64 s[78:79], s[34:35], s[76:77]
	v_xor_b32_e32 v2, v2, v24
	s_wait_alu 0xfffe
	s_xor_b64 s[78:79], s[78:79], s[76:77]
	v_xor_b32_e32 v34, v15, v24
	s_wait_alu 0xfffe
	s_cvt_f32_u32 s0, s78
	s_cvt_f32_u32 s64, s79
	s_sub_nc_u64 s[86:87], 0, s[78:79]
	s_wait_alu 0xfffe
	s_delay_alu instid0(SALU_CYCLE_1) | instskip(SKIP_1) | instid1(SALU_CYCLE_2)
	s_fmamk_f32 s0, s64, 0x4f800000, s0
	s_wait_alu 0xfffe
	v_s_rcp_f32 s0, s0
	s_delay_alu instid0(TRANS32_DEP_1) | instskip(SKIP_1) | instid1(SALU_CYCLE_2)
	s_mul_f32 s0, s0, 0x5f7ffffc
	s_wait_alu 0xfffe
	s_mul_f32 s64, s0, 0x2f800000
	s_wait_alu 0xfffe
	s_delay_alu instid0(SALU_CYCLE_2) | instskip(SKIP_1) | instid1(SALU_CYCLE_2)
	s_trunc_f32 s64, s64
	s_wait_alu 0xfffe
	s_fmamk_f32 s0, s64, 0xcf800000, s0
	s_cvt_u32_f32 s85, s64
	s_wait_alu 0xfffe
	s_delay_alu instid0(SALU_CYCLE_1) | instskip(NEXT) | instid1(SALU_CYCLE_3)
	s_cvt_u32_f32 s84, s0
	s_mul_u64 s[88:89], s[86:87], s[84:85]
	s_delay_alu instid0(SALU_CYCLE_1)
	s_mul_hi_u32 s91, s84, s89
	s_mul_i32 s90, s84, s89
	s_mul_hi_u32 s64, s84, s88
	s_mul_i32 s77, s85, s88
	s_wait_alu 0xfffe
	s_add_nc_u64 s[90:91], s[64:65], s[90:91]
	s_mul_hi_u32 s0, s85, s88
	s_mul_hi_u32 s83, s85, s89
	s_add_co_u32 s64, s90, s77
	s_wait_alu 0xfffe
	s_add_co_ci_u32 s64, s91, s0
	s_mul_i32 s88, s85, s89
	s_add_co_ci_u32 s89, s83, 0
	s_wait_alu 0xfffe
	s_add_nc_u64 s[88:89], s[64:65], s[88:89]
	s_delay_alu instid0(SALU_CYCLE_1) | instskip(SKIP_4) | instid1(SALU_CYCLE_1)
	s_add_co_u32 s84, s84, s88
	s_cselect_b32 s0, -1, 0
	s_wait_alu 0xfffe
	s_cmp_lg_u32 s0, 0
	s_add_co_ci_u32 s85, s85, s89
	s_mul_u64 s[86:87], s[86:87], s[84:85]
	s_delay_alu instid0(SALU_CYCLE_1)
	s_mul_hi_u32 s89, s84, s87
	s_mul_i32 s88, s84, s87
	s_mul_hi_u32 s64, s84, s86
	s_mul_i32 s77, s85, s86
	s_wait_alu 0xfffe
	s_add_nc_u64 s[88:89], s[64:65], s[88:89]
	s_mul_hi_u32 s0, s85, s86
	s_mul_hi_u32 s83, s85, s87
	s_add_co_u32 s64, s88, s77
	s_wait_alu 0xfffe
	s_add_co_ci_u32 s64, s89, s0
	s_mul_i32 s86, s85, s87
	s_add_co_ci_u32 s87, s83, 0
	s_wait_alu 0xfffe
	s_add_nc_u64 s[86:87], s[64:65], s[86:87]
	s_delay_alu instid0(SALU_CYCLE_1)
	s_add_co_u32 s0, s84, s86
	s_cselect_b32 s64, -1, 0
	s_wait_alu 0xfffe
	v_mul_hi_u32 v39, v2, s0
	s_cmp_lg_u32 s64, 0
	v_mad_co_u64_u32 v[32:33], null, v34, s0, 0
	s_add_co_ci_u32 s64, s85, s87
	s_wait_alu 0xfffe
	v_mad_co_u64_u32 v[15:16], null, v2, s64, 0
	v_mad_co_u64_u32 v[37:38], null, v34, s64, 0
	s_delay_alu instid0(VALU_DEP_2) | instskip(SKIP_1) | instid1(VALU_DEP_3)
	v_add_co_u32 v15, vcc_lo, v39, v15
	s_wait_alu 0xfffd
	v_add_co_ci_u32_e64 v16, null, 0, v16, vcc_lo
	s_delay_alu instid0(VALU_DEP_2) | instskip(SKIP_1) | instid1(VALU_DEP_2)
	v_add_co_u32 v15, vcc_lo, v15, v32
	s_wait_alu 0xfffd
	v_add_co_ci_u32_e32 v15, vcc_lo, v16, v33, vcc_lo
	s_wait_alu 0xfffd
	v_add_co_ci_u32_e32 v16, vcc_lo, 0, v38, vcc_lo
	s_delay_alu instid0(VALU_DEP_2) | instskip(SKIP_1) | instid1(VALU_DEP_2)
	v_add_co_u32 v32, vcc_lo, v15, v37
	s_wait_alu 0xfffd
	v_add_co_ci_u32_e64 v33, null, 0, v16, vcc_lo
	s_delay_alu instid0(VALU_DEP_2) | instskip(SKIP_1) | instid1(VALU_DEP_3)
	v_mul_lo_u32 v37, s79, v32
	v_mad_co_u64_u32 v[15:16], null, s78, v32, 0
	v_mul_lo_u32 v38, s78, v33
	s_delay_alu instid0(VALU_DEP_2) | instskip(NEXT) | instid1(VALU_DEP_2)
	v_sub_co_u32 v2, vcc_lo, v2, v15
	v_add3_u32 v16, v16, v38, v37
	s_delay_alu instid0(VALU_DEP_1) | instskip(SKIP_2) | instid1(VALU_DEP_2)
	v_sub_nc_u32_e32 v37, v34, v16
	s_wait_alu 0xfffd
	v_sub_co_ci_u32_e64 v16, null, v34, v16, vcc_lo
	v_subrev_co_ci_u32_e64 v15, null, s79, v37, vcc_lo
	v_add_co_u32 v37, s0, v32, 2
	s_wait_alu 0xf1ff
	v_add_co_ci_u32_e64 v38, null, 0, v33, s0
	v_sub_co_u32 v39, s0, v2, s78
	s_wait_alu 0xf1ff
	v_subrev_co_ci_u32_e64 v15, null, 0, v15, s0
	s_delay_alu instid0(VALU_DEP_2) | instskip(SKIP_2) | instid1(VALU_DEP_3)
	v_cmp_le_u32_e32 vcc_lo, s78, v39
	s_wait_alu 0xfffd
	v_cndmask_b32_e64 v34, 0, -1, vcc_lo
	v_cmp_le_u32_e32 vcc_lo, s79, v15
	s_wait_alu 0xfffd
	v_cndmask_b32_e64 v39, 0, -1, vcc_lo
	;; [unrolled: 3-line block ×4, first 2 shown]
	v_cmp_eq_u32_e32 vcc_lo, s79, v15
	s_wait_alu 0xfffd
	v_cndmask_b32_e32 v15, v39, v34, vcc_lo
	v_add_co_u32 v34, vcc_lo, v32, 1
	s_wait_alu 0xfffd
	v_add_co_ci_u32_e64 v39, null, 0, v33, vcc_lo
	v_cmp_eq_u32_e32 vcc_lo, s79, v16
	v_xor_b32_e32 v16, s76, v24
	s_wait_alu 0xfffd
	v_cndmask_b32_e32 v2, v40, v2, vcc_lo
	v_cmp_ne_u32_e32 vcc_lo, 0, v15
	s_delay_alu instid0(VALU_DEP_2) | instskip(SKIP_3) | instid1(VALU_DEP_1)
	v_cmp_ne_u32_e64 s0, 0, v2
	s_wait_alu 0xfffd
	v_dual_cndmask_b32 v2, v34, v37 :: v_dual_cndmask_b32 v15, v39, v38
	s_wait_alu 0xf1ff
	v_cndmask_b32_e64 v2, v32, v2, s0
	s_delay_alu instid0(VALU_DEP_2) | instskip(NEXT) | instid1(VALU_DEP_2)
	v_cndmask_b32_e64 v15, v33, v15, s0
	v_xor_b32_e32 v2, v2, v16
	s_delay_alu instid0(VALU_DEP_2) | instskip(NEXT) | instid1(VALU_DEP_2)
	v_xor_b32_e32 v32, v15, v16
	v_sub_co_u32 v15, vcc_lo, v2, v16
	s_wait_alu 0xfffd
	s_delay_alu instid0(VALU_DEP_2)
	v_sub_co_ci_u32_e64 v16, null, v32, v16, vcc_lo
.LBB7_21:                               ;   in Loop: Header=BB7_3 Depth=1
	s_wait_alu 0xfffe
	s_and_not1_saveexec_b32 s0, s1
	s_cbranch_execz .LBB7_23
; %bb.22:                               ;   in Loop: Header=BB7_3 Depth=1
	s_sub_co_i32 s1, 0, s34
	s_wait_alu 0xfffe
	v_mul_lo_u32 v2, s1, v27
	s_delay_alu instid0(VALU_DEP_1) | instskip(NEXT) | instid1(VALU_DEP_1)
	v_mul_hi_u32 v2, v27, v2
	v_add_nc_u32_e32 v2, v27, v2
	s_delay_alu instid0(VALU_DEP_1) | instskip(NEXT) | instid1(VALU_DEP_1)
	v_mul_hi_u32 v2, v35, v2
	v_mul_lo_u32 v15, v2, s34
	s_delay_alu instid0(VALU_DEP_1) | instskip(NEXT) | instid1(VALU_DEP_1)
	v_sub_nc_u32_e32 v15, v35, v15
	v_subrev_nc_u32_e32 v32, s34, v15
	v_cmp_le_u32_e32 vcc_lo, s34, v15
	s_wait_alu 0xfffd
	s_delay_alu instid0(VALU_DEP_2) | instskip(NEXT) | instid1(VALU_DEP_1)
	v_dual_cndmask_b32 v15, v15, v32 :: v_dual_add_nc_u32 v16, 1, v2
	v_cndmask_b32_e32 v2, v2, v16, vcc_lo
	s_delay_alu instid0(VALU_DEP_2) | instskip(NEXT) | instid1(VALU_DEP_2)
	v_cmp_le_u32_e32 vcc_lo, s34, v15
	v_add_nc_u32_e32 v16, 1, v2
	s_wait_alu 0xfffd
	s_delay_alu instid0(VALU_DEP_1)
	v_dual_cndmask_b32 v15, v2, v16 :: v_dual_mov_b32 v16, v1
.LBB7_23:                               ;   in Loop: Header=BB7_3 Depth=1
	s_wait_alu 0xfffe
	s_or_b32 exec_lo, exec_lo, s0
	s_delay_alu instid0(VALU_DEP_1) | instskip(NEXT) | instid1(VALU_DEP_2)
	v_mul_lo_u32 v2, v16, s34
	v_mul_lo_u32 v34, v15, s35
	v_mad_co_u64_u32 v[32:33], null, v15, s34, 0
	v_mul_lo_u32 v37, v15, s9
	s_mov_b32 s0, exec_lo
	s_delay_alu instid0(VALU_DEP_2) | instskip(SKIP_1) | instid1(VALU_DEP_4)
	v_add3_u32 v2, v33, v34, v2
	v_mul_lo_u32 v34, v16, s8
	v_sub_co_u32 v16, vcc_lo, v13, v32
	s_wait_alu 0xfffd
	s_delay_alu instid0(VALU_DEP_3) | instskip(NEXT) | instid1(VALU_DEP_2)
	v_sub_co_ci_u32_e64 v2, null, v14, v2, vcc_lo
	v_add_co_u32 v32, vcc_lo, v3, v16
	v_mad_co_u64_u32 v[15:16], null, v15, s8, 0
	s_wait_alu 0xfffd
	s_delay_alu instid0(VALU_DEP_3) | instskip(NEXT) | instid1(VALU_DEP_3)
	v_add_co_ci_u32_e64 v2, null, v4, v2, vcc_lo
	v_mul_lo_u32 v38, v32, s11
	v_mad_co_u64_u32 v[32:33], null, v32, s10, 0
	s_delay_alu instid0(VALU_DEP_3) | instskip(SKIP_1) | instid1(VALU_DEP_1)
	v_mul_lo_u32 v2, v2, s10
	v_add3_u32 v16, v16, v37, v34
	v_lshlrev_b64_e32 v[15:16], 2, v[15:16]
	s_delay_alu instid0(VALU_DEP_3) | instskip(NEXT) | instid1(VALU_DEP_2)
	v_add3_u32 v33, v33, v38, v2
	v_add_co_u32 v2, vcc_lo, s2, v15
	s_delay_alu instid0(VALU_DEP_2) | instskip(SKIP_1) | instid1(VALU_DEP_4)
	v_lshlrev_b64_e32 v[32:33], 2, v[32:33]
	s_wait_alu 0xfffd
	v_add_co_ci_u32_e64 v16, null, s3, v16, vcc_lo
	s_delay_alu instid0(VALU_DEP_2) | instskip(SKIP_1) | instid1(VALU_DEP_2)
	v_add_co_u32 v15, vcc_lo, v2, v32
	s_wait_alu 0xfffd
	v_add_co_ci_u32_e64 v16, null, v16, v33, vcc_lo
	v_or_b32_e32 v2, s39, v20
	global_load_b32 v32, v[15:16], off
                                        ; implicit-def: $vgpr15_vgpr16
	v_cmpx_ne_u64_e32 0, v[1:2]
	s_wait_alu 0xfffe
	s_xor_b32 s1, exec_lo, s0
	s_cbranch_execz .LBB7_25
; %bb.24:                               ;   in Loop: Header=BB7_3 Depth=1
	s_ashr_i32 s76, s39, 31
	v_add_co_u32 v2, vcc_lo, v18, v17
	s_wait_alu 0xfffe
	s_mov_b32 s77, s76
	s_wait_alu 0xfffd
	v_add_co_ci_u32_e64 v15, null, v20, v17, vcc_lo
	s_wait_alu 0xfffe
	s_add_nc_u64 s[78:79], s[38:39], s[76:77]
	v_xor_b32_e32 v2, v2, v17
	s_wait_alu 0xfffe
	s_xor_b64 s[78:79], s[78:79], s[76:77]
	v_xor_b32_e32 v39, v15, v17
	s_wait_alu 0xfffe
	s_cvt_f32_u32 s0, s78
	s_cvt_f32_u32 s64, s79
	s_sub_nc_u64 s[86:87], 0, s[78:79]
	s_wait_alu 0xfffe
	s_delay_alu instid0(SALU_CYCLE_1) | instskip(SKIP_1) | instid1(SALU_CYCLE_2)
	s_fmamk_f32 s0, s64, 0x4f800000, s0
	s_wait_alu 0xfffe
	v_s_rcp_f32 s0, s0
	s_delay_alu instid0(TRANS32_DEP_1) | instskip(SKIP_1) | instid1(SALU_CYCLE_2)
	s_mul_f32 s0, s0, 0x5f7ffffc
	s_wait_alu 0xfffe
	s_mul_f32 s64, s0, 0x2f800000
	s_wait_alu 0xfffe
	s_delay_alu instid0(SALU_CYCLE_2) | instskip(SKIP_1) | instid1(SALU_CYCLE_2)
	s_trunc_f32 s64, s64
	s_wait_alu 0xfffe
	s_fmamk_f32 s0, s64, 0xcf800000, s0
	s_cvt_u32_f32 s85, s64
	s_wait_alu 0xfffe
	s_delay_alu instid0(SALU_CYCLE_1) | instskip(NEXT) | instid1(SALU_CYCLE_3)
	s_cvt_u32_f32 s84, s0
	s_mul_u64 s[88:89], s[86:87], s[84:85]
	s_delay_alu instid0(SALU_CYCLE_1)
	s_mul_hi_u32 s91, s84, s89
	s_mul_i32 s90, s84, s89
	s_mul_hi_u32 s64, s84, s88
	s_mul_i32 s77, s85, s88
	s_wait_alu 0xfffe
	s_add_nc_u64 s[90:91], s[64:65], s[90:91]
	s_mul_hi_u32 s0, s85, s88
	s_mul_hi_u32 s83, s85, s89
	s_add_co_u32 s64, s90, s77
	s_wait_alu 0xfffe
	s_add_co_ci_u32 s64, s91, s0
	s_mul_i32 s88, s85, s89
	s_add_co_ci_u32 s89, s83, 0
	s_wait_alu 0xfffe
	s_add_nc_u64 s[88:89], s[64:65], s[88:89]
	s_delay_alu instid0(SALU_CYCLE_1) | instskip(SKIP_4) | instid1(SALU_CYCLE_1)
	s_add_co_u32 s84, s84, s88
	s_cselect_b32 s0, -1, 0
	s_wait_alu 0xfffe
	s_cmp_lg_u32 s0, 0
	s_add_co_ci_u32 s85, s85, s89
	s_mul_u64 s[86:87], s[86:87], s[84:85]
	s_delay_alu instid0(SALU_CYCLE_1)
	s_mul_hi_u32 s89, s84, s87
	s_mul_i32 s88, s84, s87
	s_mul_hi_u32 s64, s84, s86
	s_mul_i32 s77, s85, s86
	s_wait_alu 0xfffe
	s_add_nc_u64 s[88:89], s[64:65], s[88:89]
	s_mul_hi_u32 s0, s85, s86
	s_mul_hi_u32 s83, s85, s87
	s_add_co_u32 s64, s88, s77
	s_wait_alu 0xfffe
	s_add_co_ci_u32 s64, s89, s0
	s_mul_i32 s86, s85, s87
	s_add_co_ci_u32 s87, s83, 0
	s_wait_alu 0xfffe
	s_add_nc_u64 s[86:87], s[64:65], s[86:87]
	s_delay_alu instid0(SALU_CYCLE_1)
	s_add_co_u32 s0, s84, s86
	s_cselect_b32 s64, -1, 0
	s_wait_alu 0xfffe
	v_mul_hi_u32 v40, v2, s0
	s_cmp_lg_u32 s64, 0
	v_mad_co_u64_u32 v[33:34], null, v39, s0, 0
	s_add_co_ci_u32 s64, s85, s87
	s_wait_alu 0xfffe
	v_mad_co_u64_u32 v[15:16], null, v2, s64, 0
	v_mad_co_u64_u32 v[37:38], null, v39, s64, 0
	s_delay_alu instid0(VALU_DEP_2) | instskip(SKIP_1) | instid1(VALU_DEP_3)
	v_add_co_u32 v15, vcc_lo, v40, v15
	s_wait_alu 0xfffd
	v_add_co_ci_u32_e64 v16, null, 0, v16, vcc_lo
	s_delay_alu instid0(VALU_DEP_2) | instskip(SKIP_1) | instid1(VALU_DEP_2)
	v_add_co_u32 v15, vcc_lo, v15, v33
	s_wait_alu 0xfffd
	v_add_co_ci_u32_e32 v15, vcc_lo, v16, v34, vcc_lo
	s_wait_alu 0xfffd
	v_add_co_ci_u32_e32 v16, vcc_lo, 0, v38, vcc_lo
	s_delay_alu instid0(VALU_DEP_2) | instskip(SKIP_1) | instid1(VALU_DEP_2)
	v_add_co_u32 v33, vcc_lo, v15, v37
	s_wait_alu 0xfffd
	v_add_co_ci_u32_e64 v34, null, 0, v16, vcc_lo
	s_delay_alu instid0(VALU_DEP_2) | instskip(SKIP_1) | instid1(VALU_DEP_3)
	v_mul_lo_u32 v37, s79, v33
	v_mad_co_u64_u32 v[15:16], null, s78, v33, 0
	v_mul_lo_u32 v38, s78, v34
	s_delay_alu instid0(VALU_DEP_2) | instskip(NEXT) | instid1(VALU_DEP_2)
	v_sub_co_u32 v2, vcc_lo, v2, v15
	v_add3_u32 v16, v16, v38, v37
	s_delay_alu instid0(VALU_DEP_1) | instskip(SKIP_2) | instid1(VALU_DEP_2)
	v_sub_nc_u32_e32 v37, v39, v16
	s_wait_alu 0xfffd
	v_sub_co_ci_u32_e64 v16, null, v39, v16, vcc_lo
	v_subrev_co_ci_u32_e64 v15, null, s79, v37, vcc_lo
	v_add_co_u32 v37, s0, v33, 2
	s_wait_alu 0xf1ff
	v_add_co_ci_u32_e64 v38, null, 0, v34, s0
	v_sub_co_u32 v40, s0, v2, s78
	s_wait_alu 0xf1ff
	v_subrev_co_ci_u32_e64 v15, null, 0, v15, s0
	s_delay_alu instid0(VALU_DEP_2) | instskip(SKIP_2) | instid1(VALU_DEP_3)
	v_cmp_le_u32_e32 vcc_lo, s78, v40
	s_wait_alu 0xfffd
	v_cndmask_b32_e64 v39, 0, -1, vcc_lo
	v_cmp_le_u32_e32 vcc_lo, s79, v15
	s_wait_alu 0xfffd
	v_cndmask_b32_e64 v40, 0, -1, vcc_lo
	;; [unrolled: 3-line block ×4, first 2 shown]
	v_cmp_eq_u32_e32 vcc_lo, s79, v15
	s_wait_alu 0xfffd
	v_cndmask_b32_e32 v15, v40, v39, vcc_lo
	v_add_co_u32 v39, vcc_lo, v33, 1
	s_wait_alu 0xfffd
	v_add_co_ci_u32_e64 v40, null, 0, v34, vcc_lo
	v_cmp_eq_u32_e32 vcc_lo, s79, v16
	v_xor_b32_e32 v16, s76, v17
	s_wait_alu 0xfffd
	v_cndmask_b32_e32 v2, v41, v2, vcc_lo
	v_cmp_ne_u32_e32 vcc_lo, 0, v15
	s_delay_alu instid0(VALU_DEP_2) | instskip(SKIP_3) | instid1(VALU_DEP_1)
	v_cmp_ne_u32_e64 s0, 0, v2
	s_wait_alu 0xfffd
	v_dual_cndmask_b32 v15, v40, v38 :: v_dual_cndmask_b32 v2, v39, v37
	s_wait_alu 0xf1ff
	v_cndmask_b32_e64 v15, v34, v15, s0
	s_delay_alu instid0(VALU_DEP_2) | instskip(NEXT) | instid1(VALU_DEP_2)
	v_cndmask_b32_e64 v2, v33, v2, s0
	v_xor_b32_e32 v33, v15, v16
	s_delay_alu instid0(VALU_DEP_2) | instskip(NEXT) | instid1(VALU_DEP_1)
	v_xor_b32_e32 v2, v2, v16
	v_sub_co_u32 v15, vcc_lo, v2, v16
	s_wait_alu 0xfffd
	s_delay_alu instid0(VALU_DEP_3)
	v_sub_co_ci_u32_e64 v16, null, v33, v16, vcc_lo
.LBB7_25:                               ;   in Loop: Header=BB7_3 Depth=1
	s_wait_alu 0xfffe
	s_or_saveexec_b32 s0, s1
	v_cvt_f32_u32_e32 v38, s38
	s_wait_alu 0xfffe
	s_xor_b32 exec_lo, exec_lo, s0
	s_cbranch_execz .LBB7_27
; %bb.26:                               ;   in Loop: Header=BB7_3 Depth=1
	s_delay_alu instid0(VALU_DEP_1) | instskip(SKIP_1) | instid1(TRANS32_DEP_1)
	v_rcp_iflag_f32_e32 v2, v38
	s_sub_co_i32 s1, 0, s38
	v_mul_f32_e32 v2, 0x4f7ffffe, v2
	s_delay_alu instid0(VALU_DEP_1) | instskip(SKIP_1) | instid1(VALU_DEP_1)
	v_cvt_u32_f32_e32 v2, v2
	s_wait_alu 0xfffe
	v_mul_lo_u32 v15, s1, v2
	s_delay_alu instid0(VALU_DEP_1) | instskip(NEXT) | instid1(VALU_DEP_1)
	v_mul_hi_u32 v15, v2, v15
	v_add_nc_u32_e32 v2, v2, v15
	s_delay_alu instid0(VALU_DEP_1) | instskip(NEXT) | instid1(VALU_DEP_1)
	v_mul_hi_u32 v2, v18, v2
	v_mul_lo_u32 v15, v2, s38
	v_add_nc_u32_e32 v16, 1, v2
	s_delay_alu instid0(VALU_DEP_2) | instskip(NEXT) | instid1(VALU_DEP_1)
	v_sub_nc_u32_e32 v15, v18, v15
	v_subrev_nc_u32_e32 v33, s38, v15
	v_cmp_le_u32_e32 vcc_lo, s38, v15
	s_wait_alu 0xfffd
	s_delay_alu instid0(VALU_DEP_2) | instskip(NEXT) | instid1(VALU_DEP_1)
	v_dual_cndmask_b32 v15, v15, v33 :: v_dual_cndmask_b32 v2, v2, v16
	v_cmp_le_u32_e32 vcc_lo, s38, v15
	s_delay_alu instid0(VALU_DEP_2) | instskip(SKIP_1) | instid1(VALU_DEP_1)
	v_add_nc_u32_e32 v16, 1, v2
	s_wait_alu 0xfffd
	v_dual_cndmask_b32 v15, v2, v16 :: v_dual_mov_b32 v16, v1
.LBB7_27:                               ;   in Loop: Header=BB7_3 Depth=1
	s_or_b32 exec_lo, exec_lo, s0
	s_delay_alu instid0(VALU_DEP_1) | instskip(NEXT) | instid1(VALU_DEP_2)
	v_mul_lo_u32 v2, v16, s38
	v_mul_lo_u32 v37, v15, s39
	v_mad_co_u64_u32 v[33:34], null, v15, s38, 0
	v_mul_lo_u32 v39, v15, s13
	s_mov_b32 s0, exec_lo
	s_delay_alu instid0(VALU_DEP_2) | instskip(SKIP_1) | instid1(VALU_DEP_4)
	v_add3_u32 v2, v34, v37, v2
	v_mul_lo_u32 v37, v16, s12
	v_sub_co_u32 v16, vcc_lo, v5, v33
	s_wait_alu 0xfffd
	s_delay_alu instid0(VALU_DEP_3) | instskip(NEXT) | instid1(VALU_DEP_2)
	v_sub_co_ci_u32_e64 v2, null, v6, v2, vcc_lo
	v_add_co_u32 v33, vcc_lo, v3, v16
	v_mad_co_u64_u32 v[15:16], null, v15, s12, 0
	s_wait_alu 0xfffd
	s_delay_alu instid0(VALU_DEP_3) | instskip(NEXT) | instid1(VALU_DEP_3)
	v_add_co_ci_u32_e64 v2, null, v4, v2, vcc_lo
	v_mul_lo_u32 v40, v33, s15
	v_mad_co_u64_u32 v[33:34], null, v33, s14, 0
	s_delay_alu instid0(VALU_DEP_3) | instskip(SKIP_1) | instid1(VALU_DEP_1)
	v_mul_lo_u32 v2, v2, s14
	v_add3_u32 v16, v16, v39, v37
	v_lshlrev_b64_e32 v[15:16], 2, v[15:16]
	s_delay_alu instid0(VALU_DEP_3) | instskip(NEXT) | instid1(VALU_DEP_2)
	v_add3_u32 v34, v34, v40, v2
	v_add_co_u32 v2, vcc_lo, s36, v15
	s_delay_alu instid0(VALU_DEP_2) | instskip(SKIP_1) | instid1(VALU_DEP_4)
	v_lshlrev_b64_e32 v[33:34], 2, v[33:34]
	s_wait_alu 0xfffd
	v_add_co_ci_u32_e64 v16, null, s37, v16, vcc_lo
	s_delay_alu instid0(VALU_DEP_2) | instskip(SKIP_1) | instid1(VALU_DEP_2)
	v_add_co_u32 v15, vcc_lo, v2, v33
	s_wait_alu 0xfffd
	v_add_co_ci_u32_e64 v16, null, v16, v34, vcc_lo
	v_or_b32_e32 v2, s39, v23
	global_load_b32 v33, v[15:16], off
                                        ; implicit-def: $vgpr15_vgpr16
	v_cmpx_ne_u64_e32 0, v[1:2]
	s_wait_alu 0xfffe
	s_xor_b32 s1, exec_lo, s0
	s_cbranch_execz .LBB7_29
; %bb.28:                               ;   in Loop: Header=BB7_3 Depth=1
	s_ashr_i32 s76, s39, 31
	v_add_co_u32 v2, vcc_lo, v22, v19
	s_wait_alu 0xfffe
	s_mov_b32 s77, s76
	s_wait_alu 0xfffd
	v_add_co_ci_u32_e64 v15, null, v23, v19, vcc_lo
	s_wait_alu 0xfffe
	s_add_nc_u64 s[78:79], s[38:39], s[76:77]
	v_xor_b32_e32 v2, v2, v19
	s_wait_alu 0xfffe
	s_xor_b64 s[78:79], s[78:79], s[76:77]
	v_xor_b32_e32 v34, v15, v19
	s_wait_alu 0xfffe
	s_cvt_f32_u32 s0, s78
	s_cvt_f32_u32 s64, s79
	s_sub_nc_u64 s[86:87], 0, s[78:79]
	s_wait_alu 0xfffe
	s_delay_alu instid0(SALU_CYCLE_1) | instskip(SKIP_1) | instid1(SALU_CYCLE_2)
	s_fmamk_f32 s0, s64, 0x4f800000, s0
	s_wait_alu 0xfffe
	v_s_rcp_f32 s0, s0
	s_delay_alu instid0(TRANS32_DEP_1) | instskip(SKIP_1) | instid1(SALU_CYCLE_2)
	s_mul_f32 s0, s0, 0x5f7ffffc
	s_wait_alu 0xfffe
	s_mul_f32 s64, s0, 0x2f800000
	s_wait_alu 0xfffe
	s_delay_alu instid0(SALU_CYCLE_2) | instskip(SKIP_1) | instid1(SALU_CYCLE_2)
	s_trunc_f32 s64, s64
	s_wait_alu 0xfffe
	s_fmamk_f32 s0, s64, 0xcf800000, s0
	s_cvt_u32_f32 s85, s64
	s_wait_alu 0xfffe
	s_delay_alu instid0(SALU_CYCLE_1) | instskip(NEXT) | instid1(SALU_CYCLE_3)
	s_cvt_u32_f32 s84, s0
	s_mul_u64 s[88:89], s[86:87], s[84:85]
	s_delay_alu instid0(SALU_CYCLE_1)
	s_mul_hi_u32 s91, s84, s89
	s_mul_i32 s90, s84, s89
	s_mul_hi_u32 s64, s84, s88
	s_mul_i32 s77, s85, s88
	s_wait_alu 0xfffe
	s_add_nc_u64 s[90:91], s[64:65], s[90:91]
	s_mul_hi_u32 s0, s85, s88
	s_mul_hi_u32 s83, s85, s89
	s_add_co_u32 s64, s90, s77
	s_wait_alu 0xfffe
	s_add_co_ci_u32 s64, s91, s0
	s_mul_i32 s88, s85, s89
	s_add_co_ci_u32 s89, s83, 0
	s_wait_alu 0xfffe
	s_add_nc_u64 s[88:89], s[64:65], s[88:89]
	s_delay_alu instid0(SALU_CYCLE_1) | instskip(SKIP_4) | instid1(SALU_CYCLE_1)
	s_add_co_u32 s84, s84, s88
	s_cselect_b32 s0, -1, 0
	s_wait_alu 0xfffe
	s_cmp_lg_u32 s0, 0
	s_add_co_ci_u32 s85, s85, s89
	s_mul_u64 s[86:87], s[86:87], s[84:85]
	s_delay_alu instid0(SALU_CYCLE_1)
	s_mul_hi_u32 s89, s84, s87
	s_mul_i32 s88, s84, s87
	s_mul_hi_u32 s64, s84, s86
	s_mul_i32 s77, s85, s86
	s_wait_alu 0xfffe
	s_add_nc_u64 s[88:89], s[64:65], s[88:89]
	s_mul_hi_u32 s0, s85, s86
	s_mul_hi_u32 s83, s85, s87
	s_add_co_u32 s64, s88, s77
	s_wait_alu 0xfffe
	s_add_co_ci_u32 s64, s89, s0
	s_mul_i32 s86, s85, s87
	s_add_co_ci_u32 s87, s83, 0
	s_wait_alu 0xfffe
	s_add_nc_u64 s[86:87], s[64:65], s[86:87]
	s_delay_alu instid0(SALU_CYCLE_1)
	s_add_co_u32 s0, s84, s86
	s_cselect_b32 s64, -1, 0
	s_wait_alu 0xfffe
	v_mul_hi_u32 v37, v2, s0
	s_cmp_lg_u32 s64, 0
	v_mad_co_u64_u32 v[39:40], null, v34, s0, 0
	s_add_co_ci_u32 s64, s85, s87
	s_wait_alu 0xfffe
	v_mad_co_u64_u32 v[15:16], null, v2, s64, 0
	v_mad_co_u64_u32 v[41:42], null, v34, s64, 0
	s_delay_alu instid0(VALU_DEP_2) | instskip(SKIP_1) | instid1(VALU_DEP_3)
	v_add_co_u32 v15, vcc_lo, v37, v15
	s_wait_alu 0xfffd
	v_add_co_ci_u32_e64 v16, null, 0, v16, vcc_lo
	s_delay_alu instid0(VALU_DEP_2) | instskip(SKIP_1) | instid1(VALU_DEP_2)
	v_add_co_u32 v15, vcc_lo, v15, v39
	s_wait_alu 0xfffd
	v_add_co_ci_u32_e32 v15, vcc_lo, v16, v40, vcc_lo
	s_wait_alu 0xfffd
	v_add_co_ci_u32_e32 v16, vcc_lo, 0, v42, vcc_lo
	s_delay_alu instid0(VALU_DEP_2) | instskip(SKIP_1) | instid1(VALU_DEP_2)
	v_add_co_u32 v37, vcc_lo, v15, v41
	s_wait_alu 0xfffd
	v_add_co_ci_u32_e64 v39, null, 0, v16, vcc_lo
	s_delay_alu instid0(VALU_DEP_2) | instskip(SKIP_1) | instid1(VALU_DEP_3)
	v_mul_lo_u32 v40, s79, v37
	v_mad_co_u64_u32 v[15:16], null, s78, v37, 0
	v_mul_lo_u32 v41, s78, v39
	s_delay_alu instid0(VALU_DEP_2) | instskip(NEXT) | instid1(VALU_DEP_2)
	v_sub_co_u32 v2, vcc_lo, v2, v15
	v_add3_u32 v16, v16, v41, v40
	s_delay_alu instid0(VALU_DEP_1) | instskip(SKIP_2) | instid1(VALU_DEP_2)
	v_sub_nc_u32_e32 v40, v34, v16
	s_wait_alu 0xfffd
	v_sub_co_ci_u32_e64 v16, null, v34, v16, vcc_lo
	v_subrev_co_ci_u32_e64 v15, null, s79, v40, vcc_lo
	v_add_co_u32 v40, s0, v37, 2
	s_wait_alu 0xf1ff
	v_add_co_ci_u32_e64 v41, null, 0, v39, s0
	v_sub_co_u32 v42, s0, v2, s78
	s_wait_alu 0xf1ff
	v_subrev_co_ci_u32_e64 v15, null, 0, v15, s0
	s_delay_alu instid0(VALU_DEP_2) | instskip(SKIP_2) | instid1(VALU_DEP_3)
	v_cmp_le_u32_e32 vcc_lo, s78, v42
	s_wait_alu 0xfffd
	v_cndmask_b32_e64 v34, 0, -1, vcc_lo
	v_cmp_le_u32_e32 vcc_lo, s79, v15
	s_wait_alu 0xfffd
	v_cndmask_b32_e64 v42, 0, -1, vcc_lo
	;; [unrolled: 3-line block ×4, first 2 shown]
	v_cmp_eq_u32_e32 vcc_lo, s79, v15
	s_wait_alu 0xfffd
	v_cndmask_b32_e32 v15, v42, v34, vcc_lo
	v_add_co_u32 v34, vcc_lo, v37, 1
	s_wait_alu 0xfffd
	v_add_co_ci_u32_e64 v42, null, 0, v39, vcc_lo
	v_cmp_eq_u32_e32 vcc_lo, s79, v16
	v_xor_b32_e32 v16, s76, v19
	s_wait_alu 0xfffd
	v_cndmask_b32_e32 v2, v43, v2, vcc_lo
	v_cmp_ne_u32_e32 vcc_lo, 0, v15
	s_wait_alu 0xfffd
	v_cndmask_b32_e32 v15, v42, v41, vcc_lo
	s_delay_alu instid0(VALU_DEP_3) | instskip(SKIP_2) | instid1(VALU_DEP_2)
	v_cmp_ne_u32_e64 s0, 0, v2
	v_cndmask_b32_e32 v2, v34, v40, vcc_lo
	s_wait_alu 0xf1ff
	v_cndmask_b32_e64 v15, v39, v15, s0
	s_delay_alu instid0(VALU_DEP_2) | instskip(NEXT) | instid1(VALU_DEP_2)
	v_cndmask_b32_e64 v2, v37, v2, s0
	v_xor_b32_e32 v34, v15, v16
	s_delay_alu instid0(VALU_DEP_2) | instskip(NEXT) | instid1(VALU_DEP_1)
	v_xor_b32_e32 v2, v2, v16
	v_sub_co_u32 v15, vcc_lo, v2, v16
	s_wait_alu 0xfffd
	s_delay_alu instid0(VALU_DEP_3)
	v_sub_co_ci_u32_e64 v16, null, v34, v16, vcc_lo
.LBB7_29:                               ;   in Loop: Header=BB7_3 Depth=1
	s_wait_alu 0xfffe
	s_and_not1_saveexec_b32 s0, s1
	s_cbranch_execz .LBB7_31
; %bb.30:                               ;   in Loop: Header=BB7_3 Depth=1
	v_rcp_iflag_f32_e32 v2, v38
	s_sub_co_i32 s1, 0, s38
	s_delay_alu instid0(TRANS32_DEP_1) | instskip(NEXT) | instid1(VALU_DEP_1)
	v_mul_f32_e32 v2, 0x4f7ffffe, v2
	v_cvt_u32_f32_e32 v2, v2
	s_wait_alu 0xfffe
	s_delay_alu instid0(VALU_DEP_1) | instskip(NEXT) | instid1(VALU_DEP_1)
	v_mul_lo_u32 v15, s1, v2
	v_mul_hi_u32 v15, v2, v15
	s_delay_alu instid0(VALU_DEP_1) | instskip(NEXT) | instid1(VALU_DEP_1)
	v_add_nc_u32_e32 v2, v2, v15
	v_mul_hi_u32 v2, v22, v2
	s_delay_alu instid0(VALU_DEP_1) | instskip(SKIP_1) | instid1(VALU_DEP_2)
	v_mul_lo_u32 v15, v2, s38
	v_add_nc_u32_e32 v16, 1, v2
	v_sub_nc_u32_e32 v15, v22, v15
	s_delay_alu instid0(VALU_DEP_1) | instskip(SKIP_2) | instid1(VALU_DEP_2)
	v_subrev_nc_u32_e32 v34, s38, v15
	v_cmp_le_u32_e32 vcc_lo, s38, v15
	s_wait_alu 0xfffd
	v_dual_cndmask_b32 v15, v15, v34 :: v_dual_cndmask_b32 v2, v2, v16
	s_delay_alu instid0(VALU_DEP_1) | instskip(NEXT) | instid1(VALU_DEP_2)
	v_cmp_le_u32_e32 vcc_lo, s38, v15
	v_add_nc_u32_e32 v16, 1, v2
	s_wait_alu 0xfffd
	s_delay_alu instid0(VALU_DEP_1)
	v_dual_cndmask_b32 v15, v2, v16 :: v_dual_mov_b32 v16, v1
.LBB7_31:                               ;   in Loop: Header=BB7_3 Depth=1
	s_wait_alu 0xfffe
	s_or_b32 exec_lo, exec_lo, s0
	s_delay_alu instid0(VALU_DEP_1) | instskip(NEXT) | instid1(VALU_DEP_2)
	v_mul_lo_u32 v2, v16, s38
	v_mul_lo_u32 v34, v15, s39
	v_mad_co_u64_u32 v[39:40], null, v15, s38, 0
	v_mul_lo_u32 v37, v15, s13
	s_mov_b32 s0, exec_lo
	s_delay_alu instid0(VALU_DEP_2) | instskip(SKIP_1) | instid1(VALU_DEP_4)
	v_add3_u32 v2, v40, v34, v2
	v_mul_lo_u32 v34, v16, s12
	v_sub_co_u32 v16, vcc_lo, v7, v39
	s_wait_alu 0xfffd
	s_delay_alu instid0(VALU_DEP_3) | instskip(NEXT) | instid1(VALU_DEP_2)
	v_sub_co_ci_u32_e64 v2, null, v8, v2, vcc_lo
	v_add_co_u32 v39, vcc_lo, v3, v16
	v_mad_co_u64_u32 v[15:16], null, v15, s12, 0
	s_wait_alu 0xfffd
	s_delay_alu instid0(VALU_DEP_3) | instskip(NEXT) | instid1(VALU_DEP_3)
	v_add_co_ci_u32_e64 v2, null, v4, v2, vcc_lo
	v_mul_lo_u32 v41, v39, s15
	v_mad_co_u64_u32 v[39:40], null, v39, s14, 0
	s_delay_alu instid0(VALU_DEP_3) | instskip(SKIP_1) | instid1(VALU_DEP_1)
	v_mul_lo_u32 v2, v2, s14
	v_add3_u32 v16, v16, v37, v34
	v_lshlrev_b64_e32 v[15:16], 2, v[15:16]
	s_delay_alu instid0(VALU_DEP_3) | instskip(NEXT) | instid1(VALU_DEP_2)
	v_add3_u32 v40, v40, v41, v2
	v_add_co_u32 v2, vcc_lo, s36, v15
	s_delay_alu instid0(VALU_DEP_2) | instskip(SKIP_1) | instid1(VALU_DEP_4)
	v_lshlrev_b64_e32 v[39:40], 2, v[39:40]
	s_wait_alu 0xfffd
	v_add_co_ci_u32_e64 v16, null, s37, v16, vcc_lo
	s_delay_alu instid0(VALU_DEP_2) | instskip(SKIP_1) | instid1(VALU_DEP_2)
	v_add_co_u32 v15, vcc_lo, v2, v39
	s_wait_alu 0xfffd
	v_add_co_ci_u32_e64 v16, null, v16, v40, vcc_lo
	v_or_b32_e32 v2, s39, v26
	global_load_b32 v34, v[15:16], off
                                        ; implicit-def: $vgpr15_vgpr16
	v_cmpx_ne_u64_e32 0, v[1:2]
	s_wait_alu 0xfffe
	s_xor_b32 s1, exec_lo, s0
	s_cbranch_execz .LBB7_33
; %bb.32:                               ;   in Loop: Header=BB7_3 Depth=1
	s_ashr_i32 s76, s39, 31
	v_add_co_u32 v2, vcc_lo, v25, v21
	s_wait_alu 0xfffe
	s_mov_b32 s77, s76
	s_wait_alu 0xfffd
	v_add_co_ci_u32_e64 v15, null, v26, v21, vcc_lo
	s_wait_alu 0xfffe
	s_add_nc_u64 s[78:79], s[38:39], s[76:77]
	v_xor_b32_e32 v2, v2, v21
	s_wait_alu 0xfffe
	s_xor_b64 s[78:79], s[78:79], s[76:77]
	v_xor_b32_e32 v37, v15, v21
	s_wait_alu 0xfffe
	s_cvt_f32_u32 s0, s78
	s_cvt_f32_u32 s64, s79
	s_sub_nc_u64 s[86:87], 0, s[78:79]
	s_wait_alu 0xfffe
	s_delay_alu instid0(SALU_CYCLE_1) | instskip(SKIP_1) | instid1(SALU_CYCLE_2)
	s_fmamk_f32 s0, s64, 0x4f800000, s0
	s_wait_alu 0xfffe
	v_s_rcp_f32 s0, s0
	s_delay_alu instid0(TRANS32_DEP_1) | instskip(SKIP_1) | instid1(SALU_CYCLE_2)
	s_mul_f32 s0, s0, 0x5f7ffffc
	s_wait_alu 0xfffe
	s_mul_f32 s64, s0, 0x2f800000
	s_wait_alu 0xfffe
	s_delay_alu instid0(SALU_CYCLE_2) | instskip(SKIP_1) | instid1(SALU_CYCLE_2)
	s_trunc_f32 s64, s64
	s_wait_alu 0xfffe
	s_fmamk_f32 s0, s64, 0xcf800000, s0
	s_cvt_u32_f32 s85, s64
	s_wait_alu 0xfffe
	s_delay_alu instid0(SALU_CYCLE_1) | instskip(NEXT) | instid1(SALU_CYCLE_3)
	s_cvt_u32_f32 s84, s0
	s_mul_u64 s[88:89], s[86:87], s[84:85]
	s_delay_alu instid0(SALU_CYCLE_1)
	s_mul_hi_u32 s91, s84, s89
	s_mul_i32 s90, s84, s89
	s_mul_hi_u32 s64, s84, s88
	s_mul_i32 s77, s85, s88
	s_wait_alu 0xfffe
	s_add_nc_u64 s[90:91], s[64:65], s[90:91]
	s_mul_hi_u32 s0, s85, s88
	s_mul_hi_u32 s83, s85, s89
	s_add_co_u32 s64, s90, s77
	s_wait_alu 0xfffe
	s_add_co_ci_u32 s64, s91, s0
	s_mul_i32 s88, s85, s89
	s_add_co_ci_u32 s89, s83, 0
	s_wait_alu 0xfffe
	s_add_nc_u64 s[88:89], s[64:65], s[88:89]
	s_delay_alu instid0(SALU_CYCLE_1) | instskip(SKIP_4) | instid1(SALU_CYCLE_1)
	s_add_co_u32 s84, s84, s88
	s_cselect_b32 s0, -1, 0
	s_wait_alu 0xfffe
	s_cmp_lg_u32 s0, 0
	s_add_co_ci_u32 s85, s85, s89
	s_mul_u64 s[86:87], s[86:87], s[84:85]
	s_delay_alu instid0(SALU_CYCLE_1)
	s_mul_hi_u32 s89, s84, s87
	s_mul_i32 s88, s84, s87
	s_mul_hi_u32 s64, s84, s86
	s_mul_i32 s77, s85, s86
	s_wait_alu 0xfffe
	s_add_nc_u64 s[88:89], s[64:65], s[88:89]
	s_mul_hi_u32 s0, s85, s86
	s_mul_hi_u32 s83, s85, s87
	s_add_co_u32 s64, s88, s77
	s_wait_alu 0xfffe
	s_add_co_ci_u32 s64, s89, s0
	s_mul_i32 s86, s85, s87
	s_add_co_ci_u32 s87, s83, 0
	s_wait_alu 0xfffe
	s_add_nc_u64 s[86:87], s[64:65], s[86:87]
	s_delay_alu instid0(SALU_CYCLE_1)
	s_add_co_u32 s0, s84, s86
	s_cselect_b32 s64, -1, 0
	s_wait_alu 0xfffe
	v_mul_hi_u32 v43, v2, s0
	s_cmp_lg_u32 s64, 0
	v_mad_co_u64_u32 v[39:40], null, v37, s0, 0
	s_add_co_ci_u32 s64, s85, s87
	s_wait_alu 0xfffe
	v_mad_co_u64_u32 v[15:16], null, v2, s64, 0
	v_mad_co_u64_u32 v[41:42], null, v37, s64, 0
	s_delay_alu instid0(VALU_DEP_2) | instskip(SKIP_1) | instid1(VALU_DEP_3)
	v_add_co_u32 v15, vcc_lo, v43, v15
	s_wait_alu 0xfffd
	v_add_co_ci_u32_e64 v16, null, 0, v16, vcc_lo
	s_delay_alu instid0(VALU_DEP_2) | instskip(SKIP_1) | instid1(VALU_DEP_2)
	v_add_co_u32 v15, vcc_lo, v15, v39
	s_wait_alu 0xfffd
	v_add_co_ci_u32_e32 v15, vcc_lo, v16, v40, vcc_lo
	s_wait_alu 0xfffd
	v_add_co_ci_u32_e32 v16, vcc_lo, 0, v42, vcc_lo
	s_delay_alu instid0(VALU_DEP_2) | instskip(SKIP_1) | instid1(VALU_DEP_2)
	v_add_co_u32 v39, vcc_lo, v15, v41
	s_wait_alu 0xfffd
	v_add_co_ci_u32_e64 v40, null, 0, v16, vcc_lo
	s_delay_alu instid0(VALU_DEP_2) | instskip(SKIP_1) | instid1(VALU_DEP_3)
	v_mul_lo_u32 v41, s79, v39
	v_mad_co_u64_u32 v[15:16], null, s78, v39, 0
	v_mul_lo_u32 v42, s78, v40
	s_delay_alu instid0(VALU_DEP_2) | instskip(NEXT) | instid1(VALU_DEP_2)
	v_sub_co_u32 v2, vcc_lo, v2, v15
	v_add3_u32 v16, v16, v42, v41
	s_delay_alu instid0(VALU_DEP_1) | instskip(SKIP_2) | instid1(VALU_DEP_2)
	v_sub_nc_u32_e32 v41, v37, v16
	s_wait_alu 0xfffd
	v_sub_co_ci_u32_e64 v16, null, v37, v16, vcc_lo
	v_subrev_co_ci_u32_e64 v15, null, s79, v41, vcc_lo
	v_add_co_u32 v41, s0, v39, 2
	s_wait_alu 0xf1ff
	v_add_co_ci_u32_e64 v42, null, 0, v40, s0
	v_sub_co_u32 v43, s0, v2, s78
	s_wait_alu 0xf1ff
	v_subrev_co_ci_u32_e64 v15, null, 0, v15, s0
	s_delay_alu instid0(VALU_DEP_2) | instskip(SKIP_2) | instid1(VALU_DEP_3)
	v_cmp_le_u32_e32 vcc_lo, s78, v43
	s_wait_alu 0xfffd
	v_cndmask_b32_e64 v37, 0, -1, vcc_lo
	v_cmp_le_u32_e32 vcc_lo, s79, v15
	s_wait_alu 0xfffd
	v_cndmask_b32_e64 v43, 0, -1, vcc_lo
	v_cmp_le_u32_e32 vcc_lo, s78, v2
	s_wait_alu 0xfffd
	v_cndmask_b32_e64 v2, 0, -1, vcc_lo
	v_cmp_le_u32_e32 vcc_lo, s79, v16
	s_wait_alu 0xfffd
	v_cndmask_b32_e64 v44, 0, -1, vcc_lo
	v_cmp_eq_u32_e32 vcc_lo, s79, v15
	s_wait_alu 0xfffd
	v_cndmask_b32_e32 v15, v43, v37, vcc_lo
	v_add_co_u32 v37, vcc_lo, v39, 1
	s_wait_alu 0xfffd
	v_add_co_ci_u32_e64 v43, null, 0, v40, vcc_lo
	v_cmp_eq_u32_e32 vcc_lo, s79, v16
	v_xor_b32_e32 v16, s76, v21
	s_wait_alu 0xfffd
	v_cndmask_b32_e32 v2, v44, v2, vcc_lo
	v_cmp_ne_u32_e32 vcc_lo, 0, v15
	s_delay_alu instid0(VALU_DEP_2) | instskip(SKIP_3) | instid1(VALU_DEP_1)
	v_cmp_ne_u32_e64 s0, 0, v2
	s_wait_alu 0xfffd
	v_dual_cndmask_b32 v15, v43, v42 :: v_dual_cndmask_b32 v2, v37, v41
	s_wait_alu 0xf1ff
	v_cndmask_b32_e64 v15, v40, v15, s0
	s_delay_alu instid0(VALU_DEP_2) | instskip(NEXT) | instid1(VALU_DEP_2)
	v_cndmask_b32_e64 v2, v39, v2, s0
	v_xor_b32_e32 v37, v15, v16
	s_delay_alu instid0(VALU_DEP_2) | instskip(NEXT) | instid1(VALU_DEP_1)
	v_xor_b32_e32 v2, v2, v16
	v_sub_co_u32 v15, vcc_lo, v2, v16
	s_wait_alu 0xfffd
	s_delay_alu instid0(VALU_DEP_3)
	v_sub_co_ci_u32_e64 v16, null, v37, v16, vcc_lo
.LBB7_33:                               ;   in Loop: Header=BB7_3 Depth=1
	s_wait_alu 0xfffe
	s_and_not1_saveexec_b32 s0, s1
	s_cbranch_execz .LBB7_35
; %bb.34:                               ;   in Loop: Header=BB7_3 Depth=1
	v_rcp_iflag_f32_e32 v2, v38
	s_sub_co_i32 s1, 0, s38
	s_delay_alu instid0(TRANS32_DEP_1) | instskip(NEXT) | instid1(VALU_DEP_1)
	v_mul_f32_e32 v2, 0x4f7ffffe, v2
	v_cvt_u32_f32_e32 v2, v2
	s_wait_alu 0xfffe
	s_delay_alu instid0(VALU_DEP_1) | instskip(NEXT) | instid1(VALU_DEP_1)
	v_mul_lo_u32 v15, s1, v2
	v_mul_hi_u32 v15, v2, v15
	s_delay_alu instid0(VALU_DEP_1) | instskip(NEXT) | instid1(VALU_DEP_1)
	v_add_nc_u32_e32 v2, v2, v15
	v_mul_hi_u32 v2, v25, v2
	s_delay_alu instid0(VALU_DEP_1) | instskip(SKIP_1) | instid1(VALU_DEP_2)
	v_mul_lo_u32 v15, v2, s38
	v_add_nc_u32_e32 v16, 1, v2
	v_sub_nc_u32_e32 v15, v25, v15
	s_delay_alu instid0(VALU_DEP_1) | instskip(SKIP_2) | instid1(VALU_DEP_2)
	v_subrev_nc_u32_e32 v37, s38, v15
	v_cmp_le_u32_e32 vcc_lo, s38, v15
	s_wait_alu 0xfffd
	v_dual_cndmask_b32 v15, v15, v37 :: v_dual_cndmask_b32 v2, v2, v16
	s_delay_alu instid0(VALU_DEP_1) | instskip(NEXT) | instid1(VALU_DEP_2)
	v_cmp_le_u32_e32 vcc_lo, s38, v15
	v_add_nc_u32_e32 v16, 1, v2
	s_wait_alu 0xfffd
	s_delay_alu instid0(VALU_DEP_1)
	v_dual_cndmask_b32 v15, v2, v16 :: v_dual_mov_b32 v16, v1
.LBB7_35:                               ;   in Loop: Header=BB7_3 Depth=1
	s_wait_alu 0xfffe
	s_or_b32 exec_lo, exec_lo, s0
	s_delay_alu instid0(VALU_DEP_1) | instskip(NEXT) | instid1(VALU_DEP_2)
	v_mul_lo_u32 v2, v16, s38
	v_mul_lo_u32 v37, v15, s39
	v_mad_co_u64_u32 v[39:40], null, v15, s38, 0
	v_mul_lo_u32 v41, v15, s13
	s_mov_b32 s0, exec_lo
	s_delay_alu instid0(VALU_DEP_2) | instskip(SKIP_1) | instid1(VALU_DEP_4)
	v_add3_u32 v2, v40, v37, v2
	v_mul_lo_u32 v37, v16, s12
	v_sub_co_u32 v16, vcc_lo, v11, v39
	s_wait_alu 0xfffd
	s_delay_alu instid0(VALU_DEP_3) | instskip(NEXT) | instid1(VALU_DEP_2)
	v_sub_co_ci_u32_e64 v2, null, v12, v2, vcc_lo
	v_add_co_u32 v39, vcc_lo, v3, v16
	v_mad_co_u64_u32 v[15:16], null, v15, s12, 0
	s_wait_alu 0xfffd
	s_delay_alu instid0(VALU_DEP_3) | instskip(NEXT) | instid1(VALU_DEP_3)
	v_add_co_ci_u32_e64 v2, null, v4, v2, vcc_lo
	v_mul_lo_u32 v42, v39, s15
	v_mad_co_u64_u32 v[39:40], null, v39, s14, 0
	s_delay_alu instid0(VALU_DEP_3) | instskip(SKIP_1) | instid1(VALU_DEP_1)
	v_mul_lo_u32 v2, v2, s14
	v_add3_u32 v16, v16, v41, v37
	v_lshlrev_b64_e32 v[15:16], 2, v[15:16]
	s_delay_alu instid0(VALU_DEP_3) | instskip(NEXT) | instid1(VALU_DEP_2)
	v_add3_u32 v40, v40, v42, v2
	v_add_co_u32 v2, vcc_lo, s36, v15
	s_delay_alu instid0(VALU_DEP_2) | instskip(SKIP_1) | instid1(VALU_DEP_4)
	v_lshlrev_b64_e32 v[39:40], 2, v[39:40]
	s_wait_alu 0xfffd
	v_add_co_ci_u32_e64 v16, null, s37, v16, vcc_lo
	s_delay_alu instid0(VALU_DEP_2) | instskip(SKIP_1) | instid1(VALU_DEP_2)
	v_add_co_u32 v15, vcc_lo, v2, v39
	s_wait_alu 0xfffd
	v_add_co_ci_u32_e64 v16, null, v16, v40, vcc_lo
	v_or_b32_e32 v2, s39, v36
	global_load_b32 v37, v[15:16], off
                                        ; implicit-def: $vgpr15_vgpr16
	v_cmpx_ne_u64_e32 0, v[1:2]
	s_wait_alu 0xfffe
	s_xor_b32 s1, exec_lo, s0
	s_cbranch_execz .LBB7_37
; %bb.36:                               ;   in Loop: Header=BB7_3 Depth=1
	s_ashr_i32 s76, s39, 31
	v_add_co_u32 v2, vcc_lo, v35, v24
	s_wait_alu 0xfffe
	s_mov_b32 s77, s76
	s_wait_alu 0xfffd
	v_add_co_ci_u32_e64 v15, null, v36, v24, vcc_lo
	s_wait_alu 0xfffe
	s_add_nc_u64 s[78:79], s[38:39], s[76:77]
	v_xor_b32_e32 v2, v2, v24
	s_wait_alu 0xfffe
	s_xor_b64 s[78:79], s[78:79], s[76:77]
	v_xor_b32_e32 v42, v15, v24
	s_wait_alu 0xfffe
	s_cvt_f32_u32 s0, s78
	s_cvt_f32_u32 s64, s79
	s_sub_nc_u64 s[86:87], 0, s[78:79]
	s_wait_alu 0xfffe
	s_delay_alu instid0(SALU_CYCLE_1) | instskip(SKIP_1) | instid1(SALU_CYCLE_2)
	s_fmamk_f32 s0, s64, 0x4f800000, s0
	s_wait_alu 0xfffe
	v_s_rcp_f32 s0, s0
	s_delay_alu instid0(TRANS32_DEP_1) | instskip(SKIP_1) | instid1(SALU_CYCLE_2)
	s_mul_f32 s0, s0, 0x5f7ffffc
	s_wait_alu 0xfffe
	s_mul_f32 s64, s0, 0x2f800000
	s_wait_alu 0xfffe
	s_delay_alu instid0(SALU_CYCLE_2) | instskip(SKIP_1) | instid1(SALU_CYCLE_2)
	s_trunc_f32 s64, s64
	s_wait_alu 0xfffe
	s_fmamk_f32 s0, s64, 0xcf800000, s0
	s_cvt_u32_f32 s85, s64
	s_wait_alu 0xfffe
	s_delay_alu instid0(SALU_CYCLE_1) | instskip(NEXT) | instid1(SALU_CYCLE_3)
	s_cvt_u32_f32 s84, s0
	s_mul_u64 s[88:89], s[86:87], s[84:85]
	s_delay_alu instid0(SALU_CYCLE_1)
	s_mul_hi_u32 s91, s84, s89
	s_mul_i32 s90, s84, s89
	s_mul_hi_u32 s64, s84, s88
	s_mul_i32 s77, s85, s88
	s_wait_alu 0xfffe
	s_add_nc_u64 s[90:91], s[64:65], s[90:91]
	s_mul_hi_u32 s0, s85, s88
	s_mul_hi_u32 s83, s85, s89
	s_add_co_u32 s64, s90, s77
	s_wait_alu 0xfffe
	s_add_co_ci_u32 s64, s91, s0
	s_mul_i32 s88, s85, s89
	s_add_co_ci_u32 s89, s83, 0
	s_wait_alu 0xfffe
	s_add_nc_u64 s[88:89], s[64:65], s[88:89]
	s_delay_alu instid0(SALU_CYCLE_1) | instskip(SKIP_4) | instid1(SALU_CYCLE_1)
	s_add_co_u32 s84, s84, s88
	s_cselect_b32 s0, -1, 0
	s_wait_alu 0xfffe
	s_cmp_lg_u32 s0, 0
	s_add_co_ci_u32 s85, s85, s89
	s_mul_u64 s[86:87], s[86:87], s[84:85]
	s_delay_alu instid0(SALU_CYCLE_1)
	s_mul_hi_u32 s89, s84, s87
	s_mul_i32 s88, s84, s87
	s_mul_hi_u32 s64, s84, s86
	s_mul_i32 s77, s85, s86
	s_wait_alu 0xfffe
	s_add_nc_u64 s[88:89], s[64:65], s[88:89]
	s_mul_hi_u32 s0, s85, s86
	s_mul_hi_u32 s83, s85, s87
	s_add_co_u32 s64, s88, s77
	s_wait_alu 0xfffe
	s_add_co_ci_u32 s64, s89, s0
	s_mul_i32 s86, s85, s87
	s_add_co_ci_u32 s87, s83, 0
	s_wait_alu 0xfffe
	s_add_nc_u64 s[86:87], s[64:65], s[86:87]
	s_delay_alu instid0(SALU_CYCLE_1)
	s_add_co_u32 s0, s84, s86
	s_cselect_b32 s64, -1, 0
	s_wait_alu 0xfffe
	v_mul_hi_u32 v43, v2, s0
	s_cmp_lg_u32 s64, 0
	v_mad_co_u64_u32 v[38:39], null, v42, s0, 0
	s_add_co_ci_u32 s64, s85, s87
	s_wait_alu 0xfffe
	v_mad_co_u64_u32 v[15:16], null, v2, s64, 0
	v_mad_co_u64_u32 v[40:41], null, v42, s64, 0
	s_delay_alu instid0(VALU_DEP_2) | instskip(SKIP_1) | instid1(VALU_DEP_3)
	v_add_co_u32 v15, vcc_lo, v43, v15
	s_wait_alu 0xfffd
	v_add_co_ci_u32_e64 v16, null, 0, v16, vcc_lo
	s_delay_alu instid0(VALU_DEP_2) | instskip(SKIP_1) | instid1(VALU_DEP_2)
	v_add_co_u32 v15, vcc_lo, v15, v38
	s_wait_alu 0xfffd
	v_add_co_ci_u32_e32 v15, vcc_lo, v16, v39, vcc_lo
	s_wait_alu 0xfffd
	v_add_co_ci_u32_e32 v16, vcc_lo, 0, v41, vcc_lo
	s_delay_alu instid0(VALU_DEP_2) | instskip(SKIP_1) | instid1(VALU_DEP_2)
	v_add_co_u32 v38, vcc_lo, v15, v40
	s_wait_alu 0xfffd
	v_add_co_ci_u32_e64 v39, null, 0, v16, vcc_lo
	s_delay_alu instid0(VALU_DEP_2) | instskip(SKIP_1) | instid1(VALU_DEP_3)
	v_mul_lo_u32 v40, s79, v38
	v_mad_co_u64_u32 v[15:16], null, s78, v38, 0
	v_mul_lo_u32 v41, s78, v39
	s_delay_alu instid0(VALU_DEP_2) | instskip(NEXT) | instid1(VALU_DEP_2)
	v_sub_co_u32 v2, vcc_lo, v2, v15
	v_add3_u32 v16, v16, v41, v40
	s_delay_alu instid0(VALU_DEP_1) | instskip(SKIP_2) | instid1(VALU_DEP_2)
	v_sub_nc_u32_e32 v40, v42, v16
	s_wait_alu 0xfffd
	v_sub_co_ci_u32_e64 v16, null, v42, v16, vcc_lo
	v_subrev_co_ci_u32_e64 v15, null, s79, v40, vcc_lo
	v_add_co_u32 v40, s0, v38, 2
	s_wait_alu 0xf1ff
	v_add_co_ci_u32_e64 v41, null, 0, v39, s0
	v_sub_co_u32 v43, s0, v2, s78
	s_wait_alu 0xf1ff
	v_subrev_co_ci_u32_e64 v15, null, 0, v15, s0
	s_delay_alu instid0(VALU_DEP_2) | instskip(SKIP_2) | instid1(VALU_DEP_3)
	v_cmp_le_u32_e32 vcc_lo, s78, v43
	s_wait_alu 0xfffd
	v_cndmask_b32_e64 v42, 0, -1, vcc_lo
	v_cmp_le_u32_e32 vcc_lo, s79, v15
	s_wait_alu 0xfffd
	v_cndmask_b32_e64 v43, 0, -1, vcc_lo
	;; [unrolled: 3-line block ×4, first 2 shown]
	v_cmp_eq_u32_e32 vcc_lo, s79, v15
	s_wait_alu 0xfffd
	v_cndmask_b32_e32 v15, v43, v42, vcc_lo
	v_add_co_u32 v42, vcc_lo, v38, 1
	s_wait_alu 0xfffd
	v_add_co_ci_u32_e64 v43, null, 0, v39, vcc_lo
	v_cmp_eq_u32_e32 vcc_lo, s79, v16
	v_xor_b32_e32 v16, s76, v24
	s_wait_alu 0xfffd
	v_cndmask_b32_e32 v2, v44, v2, vcc_lo
	v_cmp_ne_u32_e32 vcc_lo, 0, v15
	s_wait_alu 0xfffd
	v_cndmask_b32_e32 v15, v43, v41, vcc_lo
	s_delay_alu instid0(VALU_DEP_3) | instskip(SKIP_2) | instid1(VALU_DEP_2)
	v_cmp_ne_u32_e64 s0, 0, v2
	v_cndmask_b32_e32 v2, v42, v40, vcc_lo
	s_wait_alu 0xf1ff
	v_cndmask_b32_e64 v15, v39, v15, s0
	s_delay_alu instid0(VALU_DEP_2) | instskip(NEXT) | instid1(VALU_DEP_2)
	v_cndmask_b32_e64 v2, v38, v2, s0
	v_xor_b32_e32 v38, v15, v16
	s_delay_alu instid0(VALU_DEP_2) | instskip(NEXT) | instid1(VALU_DEP_1)
	v_xor_b32_e32 v2, v2, v16
	v_sub_co_u32 v15, vcc_lo, v2, v16
	s_wait_alu 0xfffd
	s_delay_alu instid0(VALU_DEP_3)
	v_sub_co_ci_u32_e64 v16, null, v38, v16, vcc_lo
                                        ; implicit-def: $vgpr38
.LBB7_37:                               ;   in Loop: Header=BB7_3 Depth=1
	s_wait_alu 0xfffe
	s_and_not1_saveexec_b32 s0, s1
	s_cbranch_execz .LBB7_39
; %bb.38:                               ;   in Loop: Header=BB7_3 Depth=1
	v_rcp_iflag_f32_e32 v2, v38
	s_sub_co_i32 s1, 0, s38
	s_delay_alu instid0(TRANS32_DEP_1) | instskip(NEXT) | instid1(VALU_DEP_1)
	v_mul_f32_e32 v2, 0x4f7ffffe, v2
	v_cvt_u32_f32_e32 v2, v2
	s_wait_alu 0xfffe
	s_delay_alu instid0(VALU_DEP_1) | instskip(NEXT) | instid1(VALU_DEP_1)
	v_mul_lo_u32 v15, s1, v2
	v_mul_hi_u32 v15, v2, v15
	s_delay_alu instid0(VALU_DEP_1) | instskip(NEXT) | instid1(VALU_DEP_1)
	v_add_nc_u32_e32 v2, v2, v15
	v_mul_hi_u32 v2, v35, v2
	s_delay_alu instid0(VALU_DEP_1) | instskip(SKIP_1) | instid1(VALU_DEP_2)
	v_mul_lo_u32 v15, v2, s38
	v_add_nc_u32_e32 v16, 1, v2
	v_sub_nc_u32_e32 v15, v35, v15
	s_delay_alu instid0(VALU_DEP_1) | instskip(SKIP_2) | instid1(VALU_DEP_2)
	v_subrev_nc_u32_e32 v38, s38, v15
	v_cmp_le_u32_e32 vcc_lo, s38, v15
	s_wait_alu 0xfffd
	v_dual_cndmask_b32 v15, v15, v38 :: v_dual_cndmask_b32 v2, v2, v16
	s_delay_alu instid0(VALU_DEP_1) | instskip(NEXT) | instid1(VALU_DEP_2)
	v_cmp_le_u32_e32 vcc_lo, s38, v15
	v_add_nc_u32_e32 v16, 1, v2
	s_wait_alu 0xfffd
	s_delay_alu instid0(VALU_DEP_1)
	v_dual_cndmask_b32 v15, v2, v16 :: v_dual_mov_b32 v16, v1
.LBB7_39:                               ;   in Loop: Header=BB7_3 Depth=1
	s_wait_alu 0xfffe
	s_or_b32 exec_lo, exec_lo, s0
	s_delay_alu instid0(VALU_DEP_1) | instskip(NEXT) | instid1(VALU_DEP_2)
	v_mul_lo_u32 v2, v16, s38
	v_mul_lo_u32 v40, v15, s39
	v_mad_co_u64_u32 v[38:39], null, v15, s38, 0
	v_mul_lo_u32 v41, v15, s13
	s_mov_b32 s0, exec_lo
	s_delay_alu instid0(VALU_DEP_2) | instskip(SKIP_1) | instid1(VALU_DEP_4)
	v_add3_u32 v2, v39, v40, v2
	v_mul_lo_u32 v40, v16, s12
	v_sub_co_u32 v16, vcc_lo, v13, v38
	s_wait_alu 0xfffd
	s_delay_alu instid0(VALU_DEP_3) | instskip(NEXT) | instid1(VALU_DEP_2)
	v_sub_co_ci_u32_e64 v2, null, v14, v2, vcc_lo
	v_add_co_u32 v38, vcc_lo, v3, v16
	v_mad_co_u64_u32 v[15:16], null, v15, s12, 0
	s_wait_alu 0xfffd
	s_delay_alu instid0(VALU_DEP_3) | instskip(NEXT) | instid1(VALU_DEP_3)
	v_add_co_ci_u32_e64 v2, null, v4, v2, vcc_lo
	v_mul_lo_u32 v42, v38, s15
	v_mad_co_u64_u32 v[38:39], null, v38, s14, 0
	s_delay_alu instid0(VALU_DEP_3) | instskip(SKIP_1) | instid1(VALU_DEP_1)
	v_mul_lo_u32 v2, v2, s14
	v_add3_u32 v16, v16, v41, v40
	v_lshlrev_b64_e32 v[15:16], 2, v[15:16]
	s_delay_alu instid0(VALU_DEP_3) | instskip(NEXT) | instid1(VALU_DEP_2)
	v_add3_u32 v39, v39, v42, v2
	v_add_co_u32 v2, vcc_lo, s36, v15
	s_delay_alu instid0(VALU_DEP_2) | instskip(SKIP_1) | instid1(VALU_DEP_4)
	v_lshlrev_b64_e32 v[38:39], 2, v[38:39]
	s_wait_alu 0xfffd
	v_add_co_ci_u32_e64 v16, null, s37, v16, vcc_lo
	s_delay_alu instid0(VALU_DEP_2) | instskip(SKIP_1) | instid1(VALU_DEP_2)
	v_add_co_u32 v15, vcc_lo, v2, v38
	s_wait_alu 0xfffd
	v_add_co_ci_u32_e64 v16, null, v16, v39, vcc_lo
	v_or_b32_e32 v2, s63, v20
	global_load_b32 v38, v[15:16], off
                                        ; implicit-def: $vgpr15_vgpr16
	v_cmpx_ne_u64_e32 0, v[1:2]
	s_wait_alu 0xfffe
	s_xor_b32 s1, exec_lo, s0
	s_cbranch_execz .LBB7_41
; %bb.40:                               ;   in Loop: Header=BB7_3 Depth=1
	s_ashr_i32 s76, s63, 31
	v_add_co_u32 v2, vcc_lo, v18, v17
	s_wait_alu 0xfffe
	s_mov_b32 s77, s76
	s_wait_alu 0xfffd
	v_add_co_ci_u32_e64 v15, null, v20, v17, vcc_lo
	s_wait_alu 0xfffe
	s_add_nc_u64 s[78:79], s[62:63], s[76:77]
	v_xor_b32_e32 v2, v2, v17
	s_wait_alu 0xfffe
	s_xor_b64 s[78:79], s[78:79], s[76:77]
	v_xor_b32_e32 v18, v15, v17
	s_wait_alu 0xfffe
	s_cvt_f32_u32 s0, s78
	s_cvt_f32_u32 s64, s79
	s_sub_nc_u64 s[86:87], 0, s[78:79]
	s_wait_alu 0xfffe
	s_delay_alu instid0(SALU_CYCLE_1) | instskip(SKIP_1) | instid1(SALU_CYCLE_2)
	s_fmamk_f32 s0, s64, 0x4f800000, s0
	s_wait_alu 0xfffe
	v_s_rcp_f32 s0, s0
	s_delay_alu instid0(TRANS32_DEP_1) | instskip(SKIP_1) | instid1(SALU_CYCLE_2)
	s_mul_f32 s0, s0, 0x5f7ffffc
	s_wait_alu 0xfffe
	s_mul_f32 s64, s0, 0x2f800000
	s_wait_alu 0xfffe
	s_delay_alu instid0(SALU_CYCLE_2) | instskip(SKIP_1) | instid1(SALU_CYCLE_2)
	s_trunc_f32 s64, s64
	s_wait_alu 0xfffe
	s_fmamk_f32 s0, s64, 0xcf800000, s0
	s_cvt_u32_f32 s85, s64
	s_wait_alu 0xfffe
	s_delay_alu instid0(SALU_CYCLE_1) | instskip(NEXT) | instid1(SALU_CYCLE_3)
	s_cvt_u32_f32 s84, s0
	s_mul_u64 s[88:89], s[86:87], s[84:85]
	s_delay_alu instid0(SALU_CYCLE_1)
	s_mul_hi_u32 s91, s84, s89
	s_mul_i32 s90, s84, s89
	s_mul_hi_u32 s64, s84, s88
	s_mul_i32 s77, s85, s88
	s_wait_alu 0xfffe
	s_add_nc_u64 s[90:91], s[64:65], s[90:91]
	s_mul_hi_u32 s0, s85, s88
	s_mul_hi_u32 s83, s85, s89
	s_add_co_u32 s64, s90, s77
	s_wait_alu 0xfffe
	s_add_co_ci_u32 s64, s91, s0
	s_mul_i32 s88, s85, s89
	s_add_co_ci_u32 s89, s83, 0
	s_wait_alu 0xfffe
	s_add_nc_u64 s[88:89], s[64:65], s[88:89]
	s_delay_alu instid0(SALU_CYCLE_1) | instskip(SKIP_4) | instid1(SALU_CYCLE_1)
	s_add_co_u32 s84, s84, s88
	s_cselect_b32 s0, -1, 0
	s_wait_alu 0xfffe
	s_cmp_lg_u32 s0, 0
	s_add_co_ci_u32 s85, s85, s89
	s_mul_u64 s[86:87], s[86:87], s[84:85]
	s_delay_alu instid0(SALU_CYCLE_1)
	s_mul_hi_u32 s89, s84, s87
	s_mul_i32 s88, s84, s87
	s_mul_hi_u32 s64, s84, s86
	s_mul_i32 s77, s85, s86
	s_wait_alu 0xfffe
	s_add_nc_u64 s[88:89], s[64:65], s[88:89]
	s_mul_hi_u32 s0, s85, s86
	s_mul_hi_u32 s83, s85, s87
	s_add_co_u32 s64, s88, s77
	s_wait_alu 0xfffe
	s_add_co_ci_u32 s64, s89, s0
	s_mul_i32 s86, s85, s87
	s_add_co_ci_u32 s87, s83, 0
	s_wait_alu 0xfffe
	s_add_nc_u64 s[86:87], s[64:65], s[86:87]
	s_delay_alu instid0(SALU_CYCLE_1)
	s_add_co_u32 s0, s84, s86
	s_cselect_b32 s64, -1, 0
	s_wait_alu 0xfffe
	v_mul_hi_u32 v20, v2, s0
	s_cmp_lg_u32 s64, 0
	v_mad_co_u64_u32 v[39:40], null, v18, s0, 0
	s_add_co_ci_u32 s64, s85, s87
	s_wait_alu 0xfffe
	v_mad_co_u64_u32 v[15:16], null, v2, s64, 0
	v_mad_co_u64_u32 v[41:42], null, v18, s64, 0
	s_delay_alu instid0(VALU_DEP_2) | instskip(SKIP_1) | instid1(VALU_DEP_3)
	v_add_co_u32 v15, vcc_lo, v20, v15
	s_wait_alu 0xfffd
	v_add_co_ci_u32_e64 v16, null, 0, v16, vcc_lo
	s_delay_alu instid0(VALU_DEP_2) | instskip(SKIP_1) | instid1(VALU_DEP_2)
	v_add_co_u32 v15, vcc_lo, v15, v39
	s_wait_alu 0xfffd
	v_add_co_ci_u32_e32 v15, vcc_lo, v16, v40, vcc_lo
	s_wait_alu 0xfffd
	v_add_co_ci_u32_e32 v16, vcc_lo, 0, v42, vcc_lo
	s_delay_alu instid0(VALU_DEP_2) | instskip(SKIP_1) | instid1(VALU_DEP_2)
	v_add_co_u32 v20, vcc_lo, v15, v41
	s_wait_alu 0xfffd
	v_add_co_ci_u32_e64 v39, null, 0, v16, vcc_lo
	s_delay_alu instid0(VALU_DEP_2) | instskip(SKIP_1) | instid1(VALU_DEP_3)
	v_mul_lo_u32 v40, s79, v20
	v_mad_co_u64_u32 v[15:16], null, s78, v20, 0
	v_mul_lo_u32 v41, s78, v39
	s_delay_alu instid0(VALU_DEP_2) | instskip(NEXT) | instid1(VALU_DEP_2)
	v_sub_co_u32 v2, vcc_lo, v2, v15
	v_add3_u32 v16, v16, v41, v40
	s_delay_alu instid0(VALU_DEP_1) | instskip(SKIP_2) | instid1(VALU_DEP_2)
	v_sub_nc_u32_e32 v40, v18, v16
	s_wait_alu 0xfffd
	v_sub_co_ci_u32_e64 v16, null, v18, v16, vcc_lo
	v_subrev_co_ci_u32_e64 v15, null, s79, v40, vcc_lo
	v_add_co_u32 v40, s0, v20, 2
	s_wait_alu 0xf1ff
	v_add_co_ci_u32_e64 v41, null, 0, v39, s0
	v_sub_co_u32 v42, s0, v2, s78
	s_wait_alu 0xf1ff
	v_subrev_co_ci_u32_e64 v15, null, 0, v15, s0
	s_delay_alu instid0(VALU_DEP_2) | instskip(SKIP_2) | instid1(VALU_DEP_3)
	v_cmp_le_u32_e32 vcc_lo, s78, v42
	s_wait_alu 0xfffd
	v_cndmask_b32_e64 v18, 0, -1, vcc_lo
	v_cmp_le_u32_e32 vcc_lo, s79, v15
	s_wait_alu 0xfffd
	v_cndmask_b32_e64 v42, 0, -1, vcc_lo
	;; [unrolled: 3-line block ×4, first 2 shown]
	v_cmp_eq_u32_e32 vcc_lo, s79, v15
	s_wait_alu 0xfffd
	v_cndmask_b32_e32 v15, v42, v18, vcc_lo
	v_add_co_u32 v18, vcc_lo, v20, 1
	s_wait_alu 0xfffd
	v_add_co_ci_u32_e64 v42, null, 0, v39, vcc_lo
	v_cmp_eq_u32_e32 vcc_lo, s79, v16
	v_xor_b32_e32 v16, s76, v17
	s_wait_alu 0xfffd
	v_cndmask_b32_e32 v2, v43, v2, vcc_lo
	v_cmp_ne_u32_e32 vcc_lo, 0, v15
	s_wait_alu 0xfffd
	v_cndmask_b32_e32 v15, v42, v41, vcc_lo
	s_delay_alu instid0(VALU_DEP_3) | instskip(SKIP_2) | instid1(VALU_DEP_2)
	v_cmp_ne_u32_e64 s0, 0, v2
	v_cndmask_b32_e32 v2, v18, v40, vcc_lo
                                        ; implicit-def: $vgpr18
	s_wait_alu 0xf1ff
	v_cndmask_b32_e64 v15, v39, v15, s0
	s_delay_alu instid0(VALU_DEP_2) | instskip(NEXT) | instid1(VALU_DEP_2)
	v_cndmask_b32_e64 v2, v20, v2, s0
	v_xor_b32_e32 v17, v15, v16
	s_delay_alu instid0(VALU_DEP_2) | instskip(NEXT) | instid1(VALU_DEP_1)
	v_xor_b32_e32 v2, v2, v16
	v_sub_co_u32 v15, vcc_lo, v2, v16
	s_wait_alu 0xfffd
	s_delay_alu instid0(VALU_DEP_3)
	v_sub_co_ci_u32_e64 v16, null, v17, v16, vcc_lo
.LBB7_41:                               ;   in Loop: Header=BB7_3 Depth=1
	s_wait_alu 0xfffe
	s_or_saveexec_b32 s0, s1
	v_cvt_f32_u32_e32 v39, s62
	s_wait_alu 0xfffe
	s_xor_b32 exec_lo, exec_lo, s0
	s_cbranch_execz .LBB7_43
; %bb.42:                               ;   in Loop: Header=BB7_3 Depth=1
	s_delay_alu instid0(VALU_DEP_1) | instskip(SKIP_1) | instid1(TRANS32_DEP_1)
	v_rcp_iflag_f32_e32 v2, v39
	s_sub_co_i32 s1, 0, s62
	v_mul_f32_e32 v2, 0x4f7ffffe, v2
	s_delay_alu instid0(VALU_DEP_1) | instskip(SKIP_1) | instid1(VALU_DEP_1)
	v_cvt_u32_f32_e32 v2, v2
	s_wait_alu 0xfffe
	v_mul_lo_u32 v15, s1, v2
	s_delay_alu instid0(VALU_DEP_1) | instskip(NEXT) | instid1(VALU_DEP_1)
	v_mul_hi_u32 v15, v2, v15
	v_add_nc_u32_e32 v2, v2, v15
	s_delay_alu instid0(VALU_DEP_1) | instskip(NEXT) | instid1(VALU_DEP_1)
	v_mul_hi_u32 v2, v18, v2
	v_mul_lo_u32 v15, v2, s62
	v_add_nc_u32_e32 v16, 1, v2
	s_delay_alu instid0(VALU_DEP_2) | instskip(NEXT) | instid1(VALU_DEP_1)
	v_sub_nc_u32_e32 v15, v18, v15
	v_subrev_nc_u32_e32 v17, s62, v15
	v_cmp_le_u32_e32 vcc_lo, s62, v15
	s_wait_alu 0xfffd
	s_delay_alu instid0(VALU_DEP_2) | instskip(NEXT) | instid1(VALU_DEP_1)
	v_dual_cndmask_b32 v15, v15, v17 :: v_dual_cndmask_b32 v2, v2, v16
	v_cmp_le_u32_e32 vcc_lo, s62, v15
	s_delay_alu instid0(VALU_DEP_2) | instskip(SKIP_1) | instid1(VALU_DEP_1)
	v_add_nc_u32_e32 v16, 1, v2
	s_wait_alu 0xfffd
	v_dual_cndmask_b32 v15, v2, v16 :: v_dual_mov_b32 v16, v1
.LBB7_43:                               ;   in Loop: Header=BB7_3 Depth=1
	s_or_b32 exec_lo, exec_lo, s0
	v_or_b32_e32 v2, s63, v23
                                        ; implicit-def: $vgpr17_vgpr18
	s_mov_b32 s0, exec_lo
	s_delay_alu instid0(VALU_DEP_1)
	v_cmpx_ne_u64_e32 0, v[1:2]
	s_wait_alu 0xfffe
	s_xor_b32 s1, exec_lo, s0
	s_cbranch_execz .LBB7_45
; %bb.44:                               ;   in Loop: Header=BB7_3 Depth=1
	s_ashr_i32 s76, s63, 31
	v_add_co_u32 v2, vcc_lo, v22, v19
	s_wait_alu 0xfffe
	s_mov_b32 s77, s76
	s_wait_alu 0xfffd
	v_add_co_ci_u32_e64 v17, null, v23, v19, vcc_lo
	s_wait_alu 0xfffe
	s_add_nc_u64 s[78:79], s[62:63], s[76:77]
	v_xor_b32_e32 v2, v2, v19
	s_wait_alu 0xfffe
	s_xor_b64 s[78:79], s[78:79], s[76:77]
	v_xor_b32_e32 v20, v17, v19
	s_wait_alu 0xfffe
	s_cvt_f32_u32 s0, s78
	s_cvt_f32_u32 s64, s79
	s_sub_nc_u64 s[86:87], 0, s[78:79]
	s_wait_alu 0xfffe
	s_delay_alu instid0(SALU_CYCLE_1) | instskip(SKIP_1) | instid1(SALU_CYCLE_2)
	s_fmamk_f32 s0, s64, 0x4f800000, s0
	s_wait_alu 0xfffe
	v_s_rcp_f32 s0, s0
	s_delay_alu instid0(TRANS32_DEP_1) | instskip(SKIP_1) | instid1(SALU_CYCLE_2)
	s_mul_f32 s0, s0, 0x5f7ffffc
	s_wait_alu 0xfffe
	s_mul_f32 s64, s0, 0x2f800000
	s_wait_alu 0xfffe
	s_delay_alu instid0(SALU_CYCLE_2) | instskip(SKIP_1) | instid1(SALU_CYCLE_2)
	s_trunc_f32 s64, s64
	s_wait_alu 0xfffe
	s_fmamk_f32 s0, s64, 0xcf800000, s0
	s_cvt_u32_f32 s85, s64
	s_wait_alu 0xfffe
	s_delay_alu instid0(SALU_CYCLE_1) | instskip(NEXT) | instid1(SALU_CYCLE_3)
	s_cvt_u32_f32 s84, s0
	s_mul_u64 s[88:89], s[86:87], s[84:85]
	s_delay_alu instid0(SALU_CYCLE_1)
	s_mul_hi_u32 s91, s84, s89
	s_mul_i32 s90, s84, s89
	s_mul_hi_u32 s64, s84, s88
	s_mul_i32 s77, s85, s88
	s_wait_alu 0xfffe
	s_add_nc_u64 s[90:91], s[64:65], s[90:91]
	s_mul_hi_u32 s0, s85, s88
	s_mul_hi_u32 s83, s85, s89
	s_add_co_u32 s64, s90, s77
	s_wait_alu 0xfffe
	s_add_co_ci_u32 s64, s91, s0
	s_mul_i32 s88, s85, s89
	s_add_co_ci_u32 s89, s83, 0
	s_wait_alu 0xfffe
	s_add_nc_u64 s[88:89], s[64:65], s[88:89]
	s_delay_alu instid0(SALU_CYCLE_1) | instskip(SKIP_4) | instid1(SALU_CYCLE_1)
	s_add_co_u32 s84, s84, s88
	s_cselect_b32 s0, -1, 0
	s_wait_alu 0xfffe
	s_cmp_lg_u32 s0, 0
	s_add_co_ci_u32 s85, s85, s89
	s_mul_u64 s[86:87], s[86:87], s[84:85]
	s_delay_alu instid0(SALU_CYCLE_1)
	s_mul_hi_u32 s89, s84, s87
	s_mul_i32 s88, s84, s87
	s_mul_hi_u32 s64, s84, s86
	s_mul_i32 s77, s85, s86
	s_wait_alu 0xfffe
	s_add_nc_u64 s[88:89], s[64:65], s[88:89]
	s_mul_hi_u32 s0, s85, s86
	s_mul_hi_u32 s83, s85, s87
	s_add_co_u32 s64, s88, s77
	s_wait_alu 0xfffe
	s_add_co_ci_u32 s64, s89, s0
	s_mul_i32 s86, s85, s87
	s_add_co_ci_u32 s87, s83, 0
	s_wait_alu 0xfffe
	s_add_nc_u64 s[86:87], s[64:65], s[86:87]
	s_delay_alu instid0(SALU_CYCLE_1)
	s_add_co_u32 s0, s84, s86
	s_cselect_b32 s64, -1, 0
	s_wait_alu 0xfffe
	v_mul_hi_u32 v42, v2, s0
	s_cmp_lg_u32 s64, 0
	v_mad_co_u64_u32 v[22:23], null, v20, s0, 0
	s_add_co_ci_u32 s64, s85, s87
	s_wait_alu 0xfffe
	v_mad_co_u64_u32 v[17:18], null, v2, s64, 0
	v_mad_co_u64_u32 v[40:41], null, v20, s64, 0
	s_delay_alu instid0(VALU_DEP_2) | instskip(SKIP_1) | instid1(VALU_DEP_3)
	v_add_co_u32 v17, vcc_lo, v42, v17
	s_wait_alu 0xfffd
	v_add_co_ci_u32_e64 v18, null, 0, v18, vcc_lo
	s_delay_alu instid0(VALU_DEP_2) | instskip(SKIP_1) | instid1(VALU_DEP_2)
	v_add_co_u32 v17, vcc_lo, v17, v22
	s_wait_alu 0xfffd
	v_add_co_ci_u32_e32 v17, vcc_lo, v18, v23, vcc_lo
	s_wait_alu 0xfffd
	v_add_co_ci_u32_e32 v18, vcc_lo, 0, v41, vcc_lo
	s_delay_alu instid0(VALU_DEP_2) | instskip(SKIP_1) | instid1(VALU_DEP_2)
	v_add_co_u32 v22, vcc_lo, v17, v40
	s_wait_alu 0xfffd
	v_add_co_ci_u32_e64 v23, null, 0, v18, vcc_lo
	s_delay_alu instid0(VALU_DEP_2) | instskip(SKIP_1) | instid1(VALU_DEP_3)
	v_mul_lo_u32 v40, s79, v22
	v_mad_co_u64_u32 v[17:18], null, s78, v22, 0
	v_mul_lo_u32 v41, s78, v23
	s_delay_alu instid0(VALU_DEP_2) | instskip(NEXT) | instid1(VALU_DEP_2)
	v_sub_co_u32 v2, vcc_lo, v2, v17
	v_add3_u32 v18, v18, v41, v40
	s_delay_alu instid0(VALU_DEP_1) | instskip(SKIP_2) | instid1(VALU_DEP_2)
	v_sub_nc_u32_e32 v40, v20, v18
	s_wait_alu 0xfffd
	v_sub_co_ci_u32_e64 v18, null, v20, v18, vcc_lo
	v_subrev_co_ci_u32_e64 v17, null, s79, v40, vcc_lo
	v_add_co_u32 v40, s0, v22, 2
	s_wait_alu 0xf1ff
	v_add_co_ci_u32_e64 v41, null, 0, v23, s0
	v_sub_co_u32 v42, s0, v2, s78
	s_wait_alu 0xf1ff
	v_subrev_co_ci_u32_e64 v17, null, 0, v17, s0
	s_delay_alu instid0(VALU_DEP_2) | instskip(SKIP_2) | instid1(VALU_DEP_3)
	v_cmp_le_u32_e32 vcc_lo, s78, v42
	s_wait_alu 0xfffd
	v_cndmask_b32_e64 v20, 0, -1, vcc_lo
	v_cmp_le_u32_e32 vcc_lo, s79, v17
	s_wait_alu 0xfffd
	v_cndmask_b32_e64 v42, 0, -1, vcc_lo
	;; [unrolled: 3-line block ×4, first 2 shown]
	v_cmp_eq_u32_e32 vcc_lo, s79, v17
	s_wait_alu 0xfffd
	v_cndmask_b32_e32 v17, v42, v20, vcc_lo
	v_add_co_u32 v20, vcc_lo, v22, 1
	s_wait_alu 0xfffd
	v_add_co_ci_u32_e64 v42, null, 0, v23, vcc_lo
	v_cmp_eq_u32_e32 vcc_lo, s79, v18
	v_xor_b32_e32 v18, s76, v19
	s_wait_alu 0xfffd
	v_cndmask_b32_e32 v2, v43, v2, vcc_lo
	v_cmp_ne_u32_e32 vcc_lo, 0, v17
	s_delay_alu instid0(VALU_DEP_2) | instskip(SKIP_3) | instid1(VALU_DEP_1)
	v_cmp_ne_u32_e64 s0, 0, v2
	s_wait_alu 0xfffd
	v_dual_cndmask_b32 v17, v42, v41 :: v_dual_cndmask_b32 v2, v20, v40
	s_wait_alu 0xf1ff
	v_cndmask_b32_e64 v17, v23, v17, s0
	s_delay_alu instid0(VALU_DEP_2) | instskip(NEXT) | instid1(VALU_DEP_2)
	v_cndmask_b32_e64 v2, v22, v2, s0
                                        ; implicit-def: $vgpr22
	v_xor_b32_e32 v19, v17, v18
	s_delay_alu instid0(VALU_DEP_2) | instskip(NEXT) | instid1(VALU_DEP_1)
	v_xor_b32_e32 v2, v2, v18
	v_sub_co_u32 v17, vcc_lo, v2, v18
	s_wait_alu 0xfffd
	s_delay_alu instid0(VALU_DEP_3)
	v_sub_co_ci_u32_e64 v18, null, v19, v18, vcc_lo
.LBB7_45:                               ;   in Loop: Header=BB7_3 Depth=1
	s_wait_alu 0xfffe
	s_and_not1_saveexec_b32 s0, s1
	s_cbranch_execz .LBB7_47
; %bb.46:                               ;   in Loop: Header=BB7_3 Depth=1
	v_rcp_iflag_f32_e32 v2, v39
	s_sub_co_i32 s1, 0, s62
	s_delay_alu instid0(TRANS32_DEP_1) | instskip(NEXT) | instid1(VALU_DEP_1)
	v_mul_f32_e32 v2, 0x4f7ffffe, v2
	v_cvt_u32_f32_e32 v2, v2
	s_wait_alu 0xfffe
	s_delay_alu instid0(VALU_DEP_1) | instskip(NEXT) | instid1(VALU_DEP_1)
	v_mul_lo_u32 v17, s1, v2
	v_mul_hi_u32 v17, v2, v17
	s_delay_alu instid0(VALU_DEP_1) | instskip(NEXT) | instid1(VALU_DEP_1)
	v_add_nc_u32_e32 v2, v2, v17
	v_mul_hi_u32 v2, v22, v2
	s_delay_alu instid0(VALU_DEP_1) | instskip(SKIP_1) | instid1(VALU_DEP_2)
	v_mul_lo_u32 v17, v2, s62
	v_add_nc_u32_e32 v18, 1, v2
	v_sub_nc_u32_e32 v17, v22, v17
	s_delay_alu instid0(VALU_DEP_1) | instskip(SKIP_2) | instid1(VALU_DEP_2)
	v_subrev_nc_u32_e32 v19, s62, v17
	v_cmp_le_u32_e32 vcc_lo, s62, v17
	s_wait_alu 0xfffd
	v_dual_cndmask_b32 v17, v17, v19 :: v_dual_cndmask_b32 v2, v2, v18
	s_delay_alu instid0(VALU_DEP_1) | instskip(NEXT) | instid1(VALU_DEP_2)
	v_cmp_le_u32_e32 vcc_lo, s62, v17
	v_add_nc_u32_e32 v18, 1, v2
	s_wait_alu 0xfffd
	s_delay_alu instid0(VALU_DEP_1)
	v_dual_cndmask_b32 v17, v2, v18 :: v_dual_mov_b32 v18, v1
.LBB7_47:                               ;   in Loop: Header=BB7_3 Depth=1
	s_wait_alu 0xfffe
	s_or_b32 exec_lo, exec_lo, s0
	v_or_b32_e32 v2, s63, v26
                                        ; implicit-def: $vgpr19_vgpr20
	s_mov_b32 s0, exec_lo
	s_delay_alu instid0(VALU_DEP_1)
	v_cmpx_ne_u64_e32 0, v[1:2]
	s_wait_alu 0xfffe
	s_xor_b32 s1, exec_lo, s0
	s_cbranch_execz .LBB7_49
; %bb.48:                               ;   in Loop: Header=BB7_3 Depth=1
	s_ashr_i32 s76, s63, 31
	v_add_co_u32 v2, vcc_lo, v25, v21
	s_wait_alu 0xfffe
	s_mov_b32 s77, s76
	s_wait_alu 0xfffd
	v_add_co_ci_u32_e64 v19, null, v26, v21, vcc_lo
	s_wait_alu 0xfffe
	s_add_nc_u64 s[78:79], s[62:63], s[76:77]
	v_xor_b32_e32 v2, v2, v21
	s_wait_alu 0xfffe
	s_xor_b64 s[78:79], s[78:79], s[76:77]
	v_xor_b32_e32 v40, v19, v21
	s_wait_alu 0xfffe
	s_cvt_f32_u32 s0, s78
	s_cvt_f32_u32 s64, s79
	s_sub_nc_u64 s[86:87], 0, s[78:79]
	s_wait_alu 0xfffe
	s_delay_alu instid0(SALU_CYCLE_1) | instskip(SKIP_1) | instid1(SALU_CYCLE_2)
	s_fmamk_f32 s0, s64, 0x4f800000, s0
	s_wait_alu 0xfffe
	v_s_rcp_f32 s0, s0
	s_delay_alu instid0(TRANS32_DEP_1) | instskip(SKIP_1) | instid1(SALU_CYCLE_2)
	s_mul_f32 s0, s0, 0x5f7ffffc
	s_wait_alu 0xfffe
	s_mul_f32 s64, s0, 0x2f800000
	s_wait_alu 0xfffe
	s_delay_alu instid0(SALU_CYCLE_2) | instskip(SKIP_1) | instid1(SALU_CYCLE_2)
	s_trunc_f32 s64, s64
	s_wait_alu 0xfffe
	s_fmamk_f32 s0, s64, 0xcf800000, s0
	s_cvt_u32_f32 s85, s64
	s_wait_alu 0xfffe
	s_delay_alu instid0(SALU_CYCLE_1) | instskip(NEXT) | instid1(SALU_CYCLE_3)
	s_cvt_u32_f32 s84, s0
	s_mul_u64 s[88:89], s[86:87], s[84:85]
	s_delay_alu instid0(SALU_CYCLE_1)
	s_mul_hi_u32 s91, s84, s89
	s_mul_i32 s90, s84, s89
	s_mul_hi_u32 s64, s84, s88
	s_mul_i32 s77, s85, s88
	s_wait_alu 0xfffe
	s_add_nc_u64 s[90:91], s[64:65], s[90:91]
	s_mul_hi_u32 s0, s85, s88
	s_mul_hi_u32 s83, s85, s89
	s_add_co_u32 s64, s90, s77
	s_wait_alu 0xfffe
	s_add_co_ci_u32 s64, s91, s0
	s_mul_i32 s88, s85, s89
	s_add_co_ci_u32 s89, s83, 0
	s_wait_alu 0xfffe
	s_add_nc_u64 s[88:89], s[64:65], s[88:89]
	s_delay_alu instid0(SALU_CYCLE_1) | instskip(SKIP_4) | instid1(SALU_CYCLE_1)
	s_add_co_u32 s84, s84, s88
	s_cselect_b32 s0, -1, 0
	s_wait_alu 0xfffe
	s_cmp_lg_u32 s0, 0
	s_add_co_ci_u32 s85, s85, s89
	s_mul_u64 s[86:87], s[86:87], s[84:85]
	s_delay_alu instid0(SALU_CYCLE_1)
	s_mul_hi_u32 s89, s84, s87
	s_mul_i32 s88, s84, s87
	s_mul_hi_u32 s64, s84, s86
	s_mul_i32 s77, s85, s86
	s_wait_alu 0xfffe
	s_add_nc_u64 s[88:89], s[64:65], s[88:89]
	s_mul_hi_u32 s0, s85, s86
	s_mul_hi_u32 s83, s85, s87
	s_add_co_u32 s64, s88, s77
	s_wait_alu 0xfffe
	s_add_co_ci_u32 s64, s89, s0
	s_mul_i32 s86, s85, s87
	s_add_co_ci_u32 s87, s83, 0
	s_wait_alu 0xfffe
	s_add_nc_u64 s[86:87], s[64:65], s[86:87]
	s_delay_alu instid0(SALU_CYCLE_1)
	s_add_co_u32 s0, s84, s86
	s_cselect_b32 s64, -1, 0
	s_wait_alu 0xfffe
	v_mul_hi_u32 v41, v2, s0
	s_cmp_lg_u32 s64, 0
	v_mad_co_u64_u32 v[22:23], null, v40, s0, 0
	s_add_co_ci_u32 s64, s85, s87
	s_wait_alu 0xfffe
	v_mad_co_u64_u32 v[19:20], null, v2, s64, 0
	v_mad_co_u64_u32 v[25:26], null, v40, s64, 0
	s_delay_alu instid0(VALU_DEP_2) | instskip(SKIP_1) | instid1(VALU_DEP_3)
	v_add_co_u32 v19, vcc_lo, v41, v19
	s_wait_alu 0xfffd
	v_add_co_ci_u32_e64 v20, null, 0, v20, vcc_lo
	s_delay_alu instid0(VALU_DEP_2) | instskip(SKIP_1) | instid1(VALU_DEP_2)
	v_add_co_u32 v19, vcc_lo, v19, v22
	s_wait_alu 0xfffd
	v_add_co_ci_u32_e32 v19, vcc_lo, v20, v23, vcc_lo
	s_wait_alu 0xfffd
	v_add_co_ci_u32_e32 v20, vcc_lo, 0, v26, vcc_lo
	s_delay_alu instid0(VALU_DEP_2) | instskip(SKIP_1) | instid1(VALU_DEP_2)
	v_add_co_u32 v22, vcc_lo, v19, v25
	s_wait_alu 0xfffd
	v_add_co_ci_u32_e64 v23, null, 0, v20, vcc_lo
	s_delay_alu instid0(VALU_DEP_2) | instskip(SKIP_1) | instid1(VALU_DEP_3)
	v_mul_lo_u32 v25, s79, v22
	v_mad_co_u64_u32 v[19:20], null, s78, v22, 0
	v_mul_lo_u32 v26, s78, v23
	s_delay_alu instid0(VALU_DEP_2) | instskip(NEXT) | instid1(VALU_DEP_2)
	v_sub_co_u32 v2, vcc_lo, v2, v19
	v_add3_u32 v20, v20, v26, v25
	s_delay_alu instid0(VALU_DEP_1) | instskip(SKIP_2) | instid1(VALU_DEP_2)
	v_sub_nc_u32_e32 v25, v40, v20
	s_wait_alu 0xfffd
	v_sub_co_ci_u32_e64 v20, null, v40, v20, vcc_lo
	v_subrev_co_ci_u32_e64 v19, null, s79, v25, vcc_lo
	v_add_co_u32 v25, s0, v22, 2
	s_wait_alu 0xf1ff
	v_add_co_ci_u32_e64 v26, null, 0, v23, s0
	v_sub_co_u32 v41, s0, v2, s78
	s_wait_alu 0xf1ff
	v_subrev_co_ci_u32_e64 v19, null, 0, v19, s0
	s_delay_alu instid0(VALU_DEP_2) | instskip(SKIP_2) | instid1(VALU_DEP_3)
	v_cmp_le_u32_e32 vcc_lo, s78, v41
	s_wait_alu 0xfffd
	v_cndmask_b32_e64 v40, 0, -1, vcc_lo
	v_cmp_le_u32_e32 vcc_lo, s79, v19
	s_wait_alu 0xfffd
	v_cndmask_b32_e64 v41, 0, -1, vcc_lo
	;; [unrolled: 3-line block ×4, first 2 shown]
	v_cmp_eq_u32_e32 vcc_lo, s79, v19
	s_wait_alu 0xfffd
	v_cndmask_b32_e32 v19, v41, v40, vcc_lo
	v_add_co_u32 v40, vcc_lo, v22, 1
	s_wait_alu 0xfffd
	v_add_co_ci_u32_e64 v41, null, 0, v23, vcc_lo
	v_cmp_eq_u32_e32 vcc_lo, s79, v20
	v_xor_b32_e32 v20, s76, v21
	s_wait_alu 0xfffd
	v_cndmask_b32_e32 v2, v42, v2, vcc_lo
	v_cmp_ne_u32_e32 vcc_lo, 0, v19
	s_delay_alu instid0(VALU_DEP_2) | instskip(SKIP_3) | instid1(VALU_DEP_1)
	v_cmp_ne_u32_e64 s0, 0, v2
	s_wait_alu 0xfffd
	v_dual_cndmask_b32 v19, v41, v26 :: v_dual_cndmask_b32 v2, v40, v25
                                        ; implicit-def: $vgpr25
	s_wait_alu 0xf1ff
	v_cndmask_b32_e64 v19, v23, v19, s0
	s_delay_alu instid0(VALU_DEP_2) | instskip(NEXT) | instid1(VALU_DEP_2)
	v_cndmask_b32_e64 v2, v22, v2, s0
	v_xor_b32_e32 v21, v19, v20
	s_delay_alu instid0(VALU_DEP_2) | instskip(NEXT) | instid1(VALU_DEP_1)
	v_xor_b32_e32 v2, v2, v20
	v_sub_co_u32 v19, vcc_lo, v2, v20
	s_wait_alu 0xfffd
	s_delay_alu instid0(VALU_DEP_3)
	v_sub_co_ci_u32_e64 v20, null, v21, v20, vcc_lo
.LBB7_49:                               ;   in Loop: Header=BB7_3 Depth=1
	s_wait_alu 0xfffe
	s_and_not1_saveexec_b32 s0, s1
	s_cbranch_execz .LBB7_51
; %bb.50:                               ;   in Loop: Header=BB7_3 Depth=1
	v_rcp_iflag_f32_e32 v2, v39
	s_sub_co_i32 s1, 0, s62
	s_delay_alu instid0(TRANS32_DEP_1) | instskip(NEXT) | instid1(VALU_DEP_1)
	v_mul_f32_e32 v2, 0x4f7ffffe, v2
	v_cvt_u32_f32_e32 v2, v2
	s_wait_alu 0xfffe
	s_delay_alu instid0(VALU_DEP_1) | instskip(NEXT) | instid1(VALU_DEP_1)
	v_mul_lo_u32 v19, s1, v2
	v_mul_hi_u32 v19, v2, v19
	s_delay_alu instid0(VALU_DEP_1) | instskip(NEXT) | instid1(VALU_DEP_1)
	v_add_nc_u32_e32 v2, v2, v19
	v_mul_hi_u32 v2, v25, v2
	s_delay_alu instid0(VALU_DEP_1) | instskip(SKIP_1) | instid1(VALU_DEP_2)
	v_mul_lo_u32 v19, v2, s62
	v_add_nc_u32_e32 v20, 1, v2
	v_sub_nc_u32_e32 v19, v25, v19
	s_delay_alu instid0(VALU_DEP_1) | instskip(SKIP_2) | instid1(VALU_DEP_2)
	v_subrev_nc_u32_e32 v21, s62, v19
	v_cmp_le_u32_e32 vcc_lo, s62, v19
	s_wait_alu 0xfffd
	v_dual_cndmask_b32 v19, v19, v21 :: v_dual_cndmask_b32 v2, v2, v20
	s_delay_alu instid0(VALU_DEP_1) | instskip(NEXT) | instid1(VALU_DEP_2)
	v_cmp_le_u32_e32 vcc_lo, s62, v19
	v_add_nc_u32_e32 v20, 1, v2
	s_wait_alu 0xfffd
	s_delay_alu instid0(VALU_DEP_1)
	v_dual_cndmask_b32 v19, v2, v20 :: v_dual_mov_b32 v20, v1
.LBB7_51:                               ;   in Loop: Header=BB7_3 Depth=1
	s_wait_alu 0xfffe
	s_or_b32 exec_lo, exec_lo, s0
	v_or_b32_e32 v2, s63, v36
                                        ; implicit-def: $vgpr21_vgpr22
	s_mov_b32 s0, exec_lo
	s_delay_alu instid0(VALU_DEP_1)
	v_cmpx_ne_u64_e32 0, v[1:2]
	s_wait_alu 0xfffe
	s_xor_b32 s1, exec_lo, s0
	s_cbranch_execz .LBB7_53
; %bb.52:                               ;   in Loop: Header=BB7_3 Depth=1
	s_ashr_i32 s76, s63, 31
	v_add_co_u32 v2, vcc_lo, v35, v24
	s_wait_alu 0xfffe
	s_mov_b32 s77, s76
	s_wait_alu 0xfffd
	v_add_co_ci_u32_e64 v21, null, v36, v24, vcc_lo
	s_wait_alu 0xfffe
	s_add_nc_u64 s[78:79], s[62:63], s[76:77]
	v_xor_b32_e32 v2, v2, v24
	s_wait_alu 0xfffe
	s_xor_b64 s[78:79], s[78:79], s[76:77]
	v_xor_b32_e32 v23, v21, v24
	s_wait_alu 0xfffe
	s_cvt_f32_u32 s0, s78
	s_cvt_f32_u32 s64, s79
	s_sub_nc_u64 s[86:87], 0, s[78:79]
	s_wait_alu 0xfffe
	s_delay_alu instid0(SALU_CYCLE_1) | instskip(SKIP_1) | instid1(SALU_CYCLE_2)
	s_fmamk_f32 s0, s64, 0x4f800000, s0
	s_wait_alu 0xfffe
	v_s_rcp_f32 s0, s0
	s_delay_alu instid0(TRANS32_DEP_1) | instskip(SKIP_1) | instid1(SALU_CYCLE_2)
	s_mul_f32 s0, s0, 0x5f7ffffc
	s_wait_alu 0xfffe
	s_mul_f32 s64, s0, 0x2f800000
	s_wait_alu 0xfffe
	s_delay_alu instid0(SALU_CYCLE_2) | instskip(SKIP_1) | instid1(SALU_CYCLE_2)
	s_trunc_f32 s64, s64
	s_wait_alu 0xfffe
	s_fmamk_f32 s0, s64, 0xcf800000, s0
	s_cvt_u32_f32 s85, s64
	s_wait_alu 0xfffe
	s_delay_alu instid0(SALU_CYCLE_1) | instskip(NEXT) | instid1(SALU_CYCLE_3)
	s_cvt_u32_f32 s84, s0
	s_mul_u64 s[88:89], s[86:87], s[84:85]
	s_delay_alu instid0(SALU_CYCLE_1)
	s_mul_hi_u32 s91, s84, s89
	s_mul_i32 s90, s84, s89
	s_mul_hi_u32 s64, s84, s88
	s_mul_i32 s77, s85, s88
	s_wait_alu 0xfffe
	s_add_nc_u64 s[90:91], s[64:65], s[90:91]
	s_mul_hi_u32 s0, s85, s88
	s_mul_hi_u32 s83, s85, s89
	s_add_co_u32 s64, s90, s77
	s_wait_alu 0xfffe
	s_add_co_ci_u32 s64, s91, s0
	s_mul_i32 s88, s85, s89
	s_add_co_ci_u32 s89, s83, 0
	s_wait_alu 0xfffe
	s_add_nc_u64 s[88:89], s[64:65], s[88:89]
	s_delay_alu instid0(SALU_CYCLE_1) | instskip(SKIP_4) | instid1(SALU_CYCLE_1)
	s_add_co_u32 s84, s84, s88
	s_cselect_b32 s0, -1, 0
	s_wait_alu 0xfffe
	s_cmp_lg_u32 s0, 0
	s_add_co_ci_u32 s85, s85, s89
	s_mul_u64 s[86:87], s[86:87], s[84:85]
	s_delay_alu instid0(SALU_CYCLE_1)
	s_mul_hi_u32 s89, s84, s87
	s_mul_i32 s88, s84, s87
	s_mul_hi_u32 s64, s84, s86
	s_mul_i32 s77, s85, s86
	s_wait_alu 0xfffe
	s_add_nc_u64 s[88:89], s[64:65], s[88:89]
	s_mul_hi_u32 s0, s85, s86
	s_mul_hi_u32 s83, s85, s87
	s_add_co_u32 s64, s88, s77
	s_wait_alu 0xfffe
	s_add_co_ci_u32 s64, s89, s0
	s_mul_i32 s86, s85, s87
	s_add_co_ci_u32 s87, s83, 0
	s_wait_alu 0xfffe
	s_add_nc_u64 s[86:87], s[64:65], s[86:87]
	s_delay_alu instid0(SALU_CYCLE_1)
	s_add_co_u32 s0, s84, s86
	s_cselect_b32 s64, -1, 0
	s_wait_alu 0xfffe
	v_mul_hi_u32 v39, v2, s0
	s_cmp_lg_u32 s64, 0
	v_mad_co_u64_u32 v[25:26], null, v23, s0, 0
	s_add_co_ci_u32 s64, s85, s87
	s_wait_alu 0xfffe
	v_mad_co_u64_u32 v[21:22], null, v2, s64, 0
	v_mad_co_u64_u32 v[35:36], null, v23, s64, 0
	s_delay_alu instid0(VALU_DEP_2) | instskip(SKIP_1) | instid1(VALU_DEP_3)
	v_add_co_u32 v21, vcc_lo, v39, v21
	s_wait_alu 0xfffd
	v_add_co_ci_u32_e64 v22, null, 0, v22, vcc_lo
	s_delay_alu instid0(VALU_DEP_2) | instskip(SKIP_1) | instid1(VALU_DEP_2)
	v_add_co_u32 v21, vcc_lo, v21, v25
	s_wait_alu 0xfffd
	v_add_co_ci_u32_e32 v21, vcc_lo, v22, v26, vcc_lo
	s_wait_alu 0xfffd
	v_add_co_ci_u32_e32 v22, vcc_lo, 0, v36, vcc_lo
	s_delay_alu instid0(VALU_DEP_2) | instskip(SKIP_1) | instid1(VALU_DEP_2)
	v_add_co_u32 v25, vcc_lo, v21, v35
	s_wait_alu 0xfffd
	v_add_co_ci_u32_e64 v26, null, 0, v22, vcc_lo
	s_delay_alu instid0(VALU_DEP_2) | instskip(SKIP_1) | instid1(VALU_DEP_3)
	v_mul_lo_u32 v35, s79, v25
	v_mad_co_u64_u32 v[21:22], null, s78, v25, 0
	v_mul_lo_u32 v36, s78, v26
	s_delay_alu instid0(VALU_DEP_2) | instskip(NEXT) | instid1(VALU_DEP_2)
	v_sub_co_u32 v2, vcc_lo, v2, v21
	v_add3_u32 v22, v22, v36, v35
	s_delay_alu instid0(VALU_DEP_1) | instskip(SKIP_2) | instid1(VALU_DEP_2)
	v_sub_nc_u32_e32 v35, v23, v22
	s_wait_alu 0xfffd
	v_sub_co_ci_u32_e64 v22, null, v23, v22, vcc_lo
	v_subrev_co_ci_u32_e64 v21, null, s79, v35, vcc_lo
	v_add_co_u32 v35, s0, v25, 2
	s_wait_alu 0xf1ff
	v_add_co_ci_u32_e64 v36, null, 0, v26, s0
	v_sub_co_u32 v39, s0, v2, s78
	s_wait_alu 0xf1ff
	v_subrev_co_ci_u32_e64 v21, null, 0, v21, s0
	s_delay_alu instid0(VALU_DEP_2) | instskip(SKIP_2) | instid1(VALU_DEP_3)
	v_cmp_le_u32_e32 vcc_lo, s78, v39
	s_wait_alu 0xfffd
	v_cndmask_b32_e64 v23, 0, -1, vcc_lo
	v_cmp_le_u32_e32 vcc_lo, s79, v21
	s_wait_alu 0xfffd
	v_cndmask_b32_e64 v39, 0, -1, vcc_lo
	;; [unrolled: 3-line block ×4, first 2 shown]
	v_cmp_eq_u32_e32 vcc_lo, s79, v21
	s_wait_alu 0xfffd
	v_cndmask_b32_e32 v21, v39, v23, vcc_lo
	v_add_co_u32 v23, vcc_lo, v25, 1
	s_wait_alu 0xfffd
	v_add_co_ci_u32_e64 v39, null, 0, v26, vcc_lo
	v_cmp_eq_u32_e32 vcc_lo, s79, v22
	v_xor_b32_e32 v22, s76, v24
	s_wait_alu 0xfffd
	v_cndmask_b32_e32 v2, v40, v2, vcc_lo
	v_cmp_ne_u32_e32 vcc_lo, 0, v21
	s_delay_alu instid0(VALU_DEP_2) | instskip(SKIP_4) | instid1(VALU_DEP_2)
	v_cmp_ne_u32_e64 s0, 0, v2
	s_wait_alu 0xfffd
	v_cndmask_b32_e32 v2, v23, v35, vcc_lo
	v_cndmask_b32_e32 v21, v39, v36, vcc_lo
                                        ; implicit-def: $vgpr39
                                        ; implicit-def: $vgpr35
	s_wait_alu 0xf1ff
	v_cndmask_b32_e64 v2, v25, v2, s0
	s_delay_alu instid0(VALU_DEP_2) | instskip(NEXT) | instid1(VALU_DEP_2)
	v_cndmask_b32_e64 v21, v26, v21, s0
	v_xor_b32_e32 v2, v2, v22
	s_delay_alu instid0(VALU_DEP_2) | instskip(NEXT) | instid1(VALU_DEP_2)
	v_xor_b32_e32 v23, v21, v22
	v_sub_co_u32 v21, vcc_lo, v2, v22
	s_wait_alu 0xfffd
	s_delay_alu instid0(VALU_DEP_2)
	v_sub_co_ci_u32_e64 v22, null, v23, v22, vcc_lo
.LBB7_53:                               ;   in Loop: Header=BB7_3 Depth=1
	s_wait_alu 0xfffe
	s_and_not1_saveexec_b32 s0, s1
	s_cbranch_execz .LBB7_55
; %bb.54:                               ;   in Loop: Header=BB7_3 Depth=1
	v_rcp_iflag_f32_e32 v2, v39
	s_sub_co_i32 s1, 0, s62
	s_delay_alu instid0(TRANS32_DEP_1) | instskip(NEXT) | instid1(VALU_DEP_1)
	v_mul_f32_e32 v2, 0x4f7ffffe, v2
	v_cvt_u32_f32_e32 v2, v2
	s_wait_alu 0xfffe
	s_delay_alu instid0(VALU_DEP_1) | instskip(NEXT) | instid1(VALU_DEP_1)
	v_mul_lo_u32 v21, s1, v2
	v_mul_hi_u32 v21, v2, v21
	s_delay_alu instid0(VALU_DEP_1) | instskip(NEXT) | instid1(VALU_DEP_1)
	v_add_nc_u32_e32 v2, v2, v21
	v_mul_hi_u32 v2, v35, v2
	s_delay_alu instid0(VALU_DEP_1) | instskip(SKIP_1) | instid1(VALU_DEP_2)
	v_mul_lo_u32 v21, v2, s62
	v_add_nc_u32_e32 v22, 1, v2
	v_sub_nc_u32_e32 v21, v35, v21
	s_delay_alu instid0(VALU_DEP_1) | instskip(SKIP_2) | instid1(VALU_DEP_2)
	v_subrev_nc_u32_e32 v23, s62, v21
	v_cmp_le_u32_e32 vcc_lo, s62, v21
	s_wait_alu 0xfffd
	v_dual_cndmask_b32 v21, v21, v23 :: v_dual_cndmask_b32 v2, v2, v22
	s_delay_alu instid0(VALU_DEP_1) | instskip(NEXT) | instid1(VALU_DEP_2)
	v_cmp_le_u32_e32 vcc_lo, s62, v21
	v_add_nc_u32_e32 v22, 1, v2
	s_wait_alu 0xfffd
	s_delay_alu instid0(VALU_DEP_1)
	v_dual_cndmask_b32 v21, v2, v22 :: v_dual_mov_b32 v22, v1
.LBB7_55:                               ;   in Loop: Header=BB7_3 Depth=1
	s_wait_alu 0xfffe
	s_or_b32 exec_lo, exec_lo, s0
	v_or_b32_e32 v2, s51, v4
                                        ; implicit-def: $vgpr23_vgpr24
	s_mov_b32 s0, exec_lo
	s_delay_alu instid0(VALU_DEP_1)
	v_cmpx_ne_u64_e32 0, v[1:2]
	s_wait_alu 0xfffe
	s_xor_b32 s1, exec_lo, s0
	s_cbranch_execz .LBB7_57
; %bb.56:                               ;   in Loop: Header=BB7_3 Depth=1
	s_ashr_i32 s76, s51, 31
	v_add_co_u32 v2, vcc_lo, v3, v28
	s_wait_alu 0xfffe
	s_mov_b32 s77, s76
	s_wait_alu 0xfffd
	v_add_co_ci_u32_e64 v23, null, v4, v28, vcc_lo
	s_wait_alu 0xfffe
	s_add_nc_u64 s[78:79], s[50:51], s[76:77]
	v_xor_b32_e32 v2, v2, v28
	s_wait_alu 0xfffe
	s_xor_b64 s[78:79], s[78:79], s[76:77]
	v_xor_b32_e32 v39, v23, v28
	s_wait_alu 0xfffe
	s_cvt_f32_u32 s0, s78
	s_cvt_f32_u32 s64, s79
	s_sub_nc_u64 s[86:87], 0, s[78:79]
	s_wait_alu 0xfffe
	s_delay_alu instid0(SALU_CYCLE_1) | instskip(SKIP_1) | instid1(SALU_CYCLE_2)
	s_fmamk_f32 s0, s64, 0x4f800000, s0
	s_wait_alu 0xfffe
	v_s_rcp_f32 s0, s0
	s_delay_alu instid0(TRANS32_DEP_1) | instskip(SKIP_1) | instid1(SALU_CYCLE_2)
	s_mul_f32 s0, s0, 0x5f7ffffc
	s_wait_alu 0xfffe
	s_mul_f32 s64, s0, 0x2f800000
	s_wait_alu 0xfffe
	s_delay_alu instid0(SALU_CYCLE_2) | instskip(SKIP_1) | instid1(SALU_CYCLE_2)
	s_trunc_f32 s64, s64
	s_wait_alu 0xfffe
	s_fmamk_f32 s0, s64, 0xcf800000, s0
	s_cvt_u32_f32 s85, s64
	s_wait_alu 0xfffe
	s_delay_alu instid0(SALU_CYCLE_1) | instskip(NEXT) | instid1(SALU_CYCLE_3)
	s_cvt_u32_f32 s84, s0
	s_mul_u64 s[88:89], s[86:87], s[84:85]
	s_delay_alu instid0(SALU_CYCLE_1)
	s_mul_hi_u32 s91, s84, s89
	s_mul_i32 s90, s84, s89
	s_mul_hi_u32 s64, s84, s88
	s_mul_i32 s77, s85, s88
	s_wait_alu 0xfffe
	s_add_nc_u64 s[90:91], s[64:65], s[90:91]
	s_mul_hi_u32 s0, s85, s88
	s_mul_hi_u32 s83, s85, s89
	s_add_co_u32 s64, s90, s77
	s_wait_alu 0xfffe
	s_add_co_ci_u32 s64, s91, s0
	s_mul_i32 s88, s85, s89
	s_add_co_ci_u32 s89, s83, 0
	s_wait_alu 0xfffe
	s_add_nc_u64 s[88:89], s[64:65], s[88:89]
	s_delay_alu instid0(SALU_CYCLE_1) | instskip(SKIP_4) | instid1(SALU_CYCLE_1)
	s_add_co_u32 s84, s84, s88
	s_cselect_b32 s0, -1, 0
	s_wait_alu 0xfffe
	s_cmp_lg_u32 s0, 0
	s_add_co_ci_u32 s85, s85, s89
	s_mul_u64 s[86:87], s[86:87], s[84:85]
	s_delay_alu instid0(SALU_CYCLE_1)
	s_mul_hi_u32 s89, s84, s87
	s_mul_i32 s88, s84, s87
	s_mul_hi_u32 s64, s84, s86
	s_mul_i32 s77, s85, s86
	s_wait_alu 0xfffe
	s_add_nc_u64 s[88:89], s[64:65], s[88:89]
	s_mul_hi_u32 s0, s85, s86
	s_mul_hi_u32 s83, s85, s87
	s_add_co_u32 s64, s88, s77
	s_wait_alu 0xfffe
	s_add_co_ci_u32 s64, s89, s0
	s_mul_i32 s86, s85, s87
	s_add_co_ci_u32 s87, s83, 0
	s_wait_alu 0xfffe
	s_add_nc_u64 s[86:87], s[64:65], s[86:87]
	s_delay_alu instid0(SALU_CYCLE_1)
	s_add_co_u32 s0, s84, s86
	s_cselect_b32 s64, -1, 0
	s_wait_alu 0xfffe
	v_mul_hi_u32 v40, v2, s0
	s_cmp_lg_u32 s64, 0
	v_mad_co_u64_u32 v[25:26], null, v39, s0, 0
	s_add_co_ci_u32 s64, s85, s87
	s_wait_alu 0xfffe
	v_mad_co_u64_u32 v[23:24], null, v2, s64, 0
	v_mad_co_u64_u32 v[35:36], null, v39, s64, 0
	s_delay_alu instid0(VALU_DEP_2) | instskip(SKIP_1) | instid1(VALU_DEP_3)
	v_add_co_u32 v23, vcc_lo, v40, v23
	s_wait_alu 0xfffd
	v_add_co_ci_u32_e64 v24, null, 0, v24, vcc_lo
	s_delay_alu instid0(VALU_DEP_2) | instskip(SKIP_1) | instid1(VALU_DEP_2)
	v_add_co_u32 v23, vcc_lo, v23, v25
	s_wait_alu 0xfffd
	v_add_co_ci_u32_e32 v23, vcc_lo, v24, v26, vcc_lo
	s_wait_alu 0xfffd
	v_add_co_ci_u32_e32 v24, vcc_lo, 0, v36, vcc_lo
	s_delay_alu instid0(VALU_DEP_2) | instskip(SKIP_1) | instid1(VALU_DEP_2)
	v_add_co_u32 v25, vcc_lo, v23, v35
	s_wait_alu 0xfffd
	v_add_co_ci_u32_e64 v26, null, 0, v24, vcc_lo
	s_delay_alu instid0(VALU_DEP_2) | instskip(SKIP_1) | instid1(VALU_DEP_3)
	v_mul_lo_u32 v35, s79, v25
	v_mad_co_u64_u32 v[23:24], null, s78, v25, 0
	v_mul_lo_u32 v36, s78, v26
	s_delay_alu instid0(VALU_DEP_2) | instskip(NEXT) | instid1(VALU_DEP_2)
	v_sub_co_u32 v2, vcc_lo, v2, v23
	v_add3_u32 v24, v24, v36, v35
	s_delay_alu instid0(VALU_DEP_1) | instskip(SKIP_2) | instid1(VALU_DEP_2)
	v_sub_nc_u32_e32 v35, v39, v24
	s_wait_alu 0xfffd
	v_sub_co_ci_u32_e64 v24, null, v39, v24, vcc_lo
	v_subrev_co_ci_u32_e64 v23, null, s79, v35, vcc_lo
	v_add_co_u32 v35, s0, v25, 2
	s_wait_alu 0xf1ff
	v_add_co_ci_u32_e64 v36, null, 0, v26, s0
	v_sub_co_u32 v40, s0, v2, s78
	s_wait_alu 0xf1ff
	v_subrev_co_ci_u32_e64 v23, null, 0, v23, s0
	s_delay_alu instid0(VALU_DEP_2) | instskip(SKIP_2) | instid1(VALU_DEP_3)
	v_cmp_le_u32_e32 vcc_lo, s78, v40
	s_wait_alu 0xfffd
	v_cndmask_b32_e64 v39, 0, -1, vcc_lo
	v_cmp_le_u32_e32 vcc_lo, s79, v23
	s_wait_alu 0xfffd
	v_cndmask_b32_e64 v40, 0, -1, vcc_lo
	;; [unrolled: 3-line block ×4, first 2 shown]
	v_cmp_eq_u32_e32 vcc_lo, s79, v23
	s_wait_alu 0xfffd
	v_cndmask_b32_e32 v23, v40, v39, vcc_lo
	v_add_co_u32 v39, vcc_lo, v25, 1
	s_wait_alu 0xfffd
	v_add_co_ci_u32_e64 v40, null, 0, v26, vcc_lo
	v_cmp_eq_u32_e32 vcc_lo, s79, v24
	v_xor_b32_e32 v24, s76, v28
	s_wait_alu 0xfffd
	v_cndmask_b32_e32 v2, v41, v2, vcc_lo
	v_cmp_ne_u32_e32 vcc_lo, 0, v23
	s_delay_alu instid0(VALU_DEP_2) | instskip(SKIP_3) | instid1(VALU_DEP_1)
	v_cmp_ne_u32_e64 s0, 0, v2
	s_wait_alu 0xfffd
	v_dual_cndmask_b32 v23, v40, v36 :: v_dual_cndmask_b32 v2, v39, v35
	s_wait_alu 0xf1ff
	v_cndmask_b32_e64 v23, v26, v23, s0
	s_delay_alu instid0(VALU_DEP_2) | instskip(NEXT) | instid1(VALU_DEP_2)
	v_cndmask_b32_e64 v2, v25, v2, s0
	v_xor_b32_e32 v25, v23, v24
	s_delay_alu instid0(VALU_DEP_2) | instskip(NEXT) | instid1(VALU_DEP_1)
	v_xor_b32_e32 v2, v2, v24
	v_sub_co_u32 v23, vcc_lo, v2, v24
	s_wait_alu 0xfffd
	s_delay_alu instid0(VALU_DEP_3)
	v_sub_co_ci_u32_e64 v24, null, v25, v24, vcc_lo
.LBB7_57:                               ;   in Loop: Header=BB7_3 Depth=1
	s_wait_alu 0xfffe
	s_and_not1_saveexec_b32 s0, s1
	s_cbranch_execz .LBB7_59
; %bb.58:                               ;   in Loop: Header=BB7_3 Depth=1
	v_cvt_f32_u32_e32 v2, s50
	s_sub_co_i32 s1, 0, s50
	s_delay_alu instid0(VALU_DEP_1) | instskip(NEXT) | instid1(TRANS32_DEP_1)
	v_rcp_iflag_f32_e32 v2, v2
	v_mul_f32_e32 v2, 0x4f7ffffe, v2
	s_delay_alu instid0(VALU_DEP_1) | instskip(SKIP_1) | instid1(VALU_DEP_1)
	v_cvt_u32_f32_e32 v2, v2
	s_wait_alu 0xfffe
	v_mul_lo_u32 v23, s1, v2
	s_delay_alu instid0(VALU_DEP_1) | instskip(NEXT) | instid1(VALU_DEP_1)
	v_mul_hi_u32 v23, v2, v23
	v_add_nc_u32_e32 v2, v2, v23
	s_delay_alu instid0(VALU_DEP_1) | instskip(NEXT) | instid1(VALU_DEP_1)
	v_mul_hi_u32 v2, v3, v2
	v_mul_lo_u32 v23, v2, s50
	v_add_nc_u32_e32 v24, 1, v2
	s_delay_alu instid0(VALU_DEP_2) | instskip(NEXT) | instid1(VALU_DEP_1)
	v_sub_nc_u32_e32 v23, v3, v23
	v_subrev_nc_u32_e32 v25, s50, v23
	v_cmp_le_u32_e32 vcc_lo, s50, v23
	s_wait_alu 0xfffd
	s_delay_alu instid0(VALU_DEP_2) | instskip(NEXT) | instid1(VALU_DEP_1)
	v_dual_cndmask_b32 v23, v23, v25 :: v_dual_cndmask_b32 v2, v2, v24
	v_cmp_le_u32_e32 vcc_lo, s50, v23
	s_delay_alu instid0(VALU_DEP_2) | instskip(SKIP_1) | instid1(VALU_DEP_1)
	v_add_nc_u32_e32 v24, 1, v2
	s_wait_alu 0xfffd
	v_dual_cndmask_b32 v23, v2, v24 :: v_dual_mov_b32 v24, v1
.LBB7_59:                               ;   in Loop: Header=BB7_3 Depth=1
	s_wait_alu 0xfffe
	s_or_b32 exec_lo, exec_lo, s0
	s_delay_alu instid0(VALU_DEP_1) | instskip(NEXT) | instid1(VALU_DEP_2)
	v_mad_co_u64_u32 v[25:26], null, s70, v23, v[3:4]
	v_mul_lo_u32 v2, s70, v24
	v_mul_lo_u32 v35, s71, v23
	;; [unrolled: 1-line block ×4, first 2 shown]
	v_mad_co_u64_u32 v[23:24], null, v23, s16, 0
	s_mov_b32 s0, exec_lo
	v_add3_u32 v2, v35, v26, v2
	v_mul_lo_u32 v35, v25, s19
	v_mad_co_u64_u32 v[25:26], null, v25, s18, 0
	v_add3_u32 v24, v24, v39, v36
	s_delay_alu instid0(VALU_DEP_4) | instskip(NEXT) | instid1(VALU_DEP_2)
	v_mul_lo_u32 v2, v2, s18
	v_lshlrev_b64_e32 v[23:24], 2, v[23:24]
	s_delay_alu instid0(VALU_DEP_2) | instskip(NEXT) | instid1(VALU_DEP_2)
	v_add3_u32 v26, v26, v35, v2
	v_add_co_u32 v2, vcc_lo, s48, v23
	s_wait_alu 0xfffd
	s_delay_alu instid0(VALU_DEP_3) | instskip(NEXT) | instid1(VALU_DEP_3)
	v_add_co_ci_u32_e64 v24, null, s49, v24, vcc_lo
	v_lshlrev_b64_e32 v[25:26], 2, v[25:26]
	s_delay_alu instid0(VALU_DEP_1) | instskip(SKIP_1) | instid1(VALU_DEP_2)
	v_add_co_u32 v23, vcc_lo, v2, v25
	s_wait_alu 0xfffd
	v_add_co_ci_u32_e64 v24, null, v24, v26, vcc_lo
	v_or_b32_e32 v2, s55, v4
	global_load_b32 v35, v[23:24], off
                                        ; implicit-def: $vgpr23_vgpr24
	v_cmpx_ne_u64_e32 0, v[1:2]
	s_wait_alu 0xfffe
	s_xor_b32 s1, exec_lo, s0
	s_cbranch_execz .LBB7_61
; %bb.60:                               ;   in Loop: Header=BB7_3 Depth=1
	s_ashr_i32 s76, s55, 31
	v_add_co_u32 v2, vcc_lo, v3, v28
	s_wait_alu 0xfffe
	s_mov_b32 s77, s76
	s_wait_alu 0xfffd
	v_add_co_ci_u32_e64 v23, null, v4, v28, vcc_lo
	s_wait_alu 0xfffe
	s_add_nc_u64 s[78:79], s[54:55], s[76:77]
	v_xor_b32_e32 v2, v2, v28
	s_wait_alu 0xfffe
	s_xor_b64 s[78:79], s[78:79], s[76:77]
	v_xor_b32_e32 v36, v23, v28
	s_wait_alu 0xfffe
	s_cvt_f32_u32 s0, s78
	s_cvt_f32_u32 s64, s79
	s_sub_nc_u64 s[86:87], 0, s[78:79]
	s_wait_alu 0xfffe
	s_delay_alu instid0(SALU_CYCLE_1) | instskip(SKIP_1) | instid1(SALU_CYCLE_2)
	s_fmamk_f32 s0, s64, 0x4f800000, s0
	s_wait_alu 0xfffe
	v_s_rcp_f32 s0, s0
	s_delay_alu instid0(TRANS32_DEP_1) | instskip(SKIP_1) | instid1(SALU_CYCLE_2)
	s_mul_f32 s0, s0, 0x5f7ffffc
	s_wait_alu 0xfffe
	s_mul_f32 s64, s0, 0x2f800000
	s_wait_alu 0xfffe
	s_delay_alu instid0(SALU_CYCLE_2) | instskip(SKIP_1) | instid1(SALU_CYCLE_2)
	s_trunc_f32 s64, s64
	s_wait_alu 0xfffe
	s_fmamk_f32 s0, s64, 0xcf800000, s0
	s_cvt_u32_f32 s85, s64
	s_wait_alu 0xfffe
	s_delay_alu instid0(SALU_CYCLE_1) | instskip(NEXT) | instid1(SALU_CYCLE_3)
	s_cvt_u32_f32 s84, s0
	s_mul_u64 s[88:89], s[86:87], s[84:85]
	s_delay_alu instid0(SALU_CYCLE_1)
	s_mul_hi_u32 s91, s84, s89
	s_mul_i32 s90, s84, s89
	s_mul_hi_u32 s64, s84, s88
	s_mul_i32 s77, s85, s88
	s_wait_alu 0xfffe
	s_add_nc_u64 s[90:91], s[64:65], s[90:91]
	s_mul_hi_u32 s0, s85, s88
	s_mul_hi_u32 s83, s85, s89
	s_add_co_u32 s64, s90, s77
	s_wait_alu 0xfffe
	s_add_co_ci_u32 s64, s91, s0
	s_mul_i32 s88, s85, s89
	s_add_co_ci_u32 s89, s83, 0
	s_wait_alu 0xfffe
	s_add_nc_u64 s[88:89], s[64:65], s[88:89]
	s_delay_alu instid0(SALU_CYCLE_1) | instskip(SKIP_4) | instid1(SALU_CYCLE_1)
	s_add_co_u32 s84, s84, s88
	s_cselect_b32 s0, -1, 0
	s_wait_alu 0xfffe
	s_cmp_lg_u32 s0, 0
	s_add_co_ci_u32 s85, s85, s89
	s_mul_u64 s[86:87], s[86:87], s[84:85]
	s_delay_alu instid0(SALU_CYCLE_1)
	s_mul_hi_u32 s89, s84, s87
	s_mul_i32 s88, s84, s87
	s_mul_hi_u32 s64, s84, s86
	s_mul_i32 s77, s85, s86
	s_wait_alu 0xfffe
	s_add_nc_u64 s[88:89], s[64:65], s[88:89]
	s_mul_hi_u32 s0, s85, s86
	s_mul_hi_u32 s83, s85, s87
	s_add_co_u32 s64, s88, s77
	s_wait_alu 0xfffe
	s_add_co_ci_u32 s64, s89, s0
	s_mul_i32 s86, s85, s87
	s_add_co_ci_u32 s87, s83, 0
	s_wait_alu 0xfffe
	s_add_nc_u64 s[86:87], s[64:65], s[86:87]
	s_delay_alu instid0(SALU_CYCLE_1)
	s_add_co_u32 s0, s84, s86
	s_cselect_b32 s64, -1, 0
	s_wait_alu 0xfffe
	v_mul_hi_u32 v41, v2, s0
	s_cmp_lg_u32 s64, 0
	v_mad_co_u64_u32 v[25:26], null, v36, s0, 0
	s_add_co_ci_u32 s64, s85, s87
	s_wait_alu 0xfffe
	v_mad_co_u64_u32 v[23:24], null, v2, s64, 0
	v_mad_co_u64_u32 v[39:40], null, v36, s64, 0
	s_delay_alu instid0(VALU_DEP_2) | instskip(SKIP_1) | instid1(VALU_DEP_3)
	v_add_co_u32 v23, vcc_lo, v41, v23
	s_wait_alu 0xfffd
	v_add_co_ci_u32_e64 v24, null, 0, v24, vcc_lo
	s_delay_alu instid0(VALU_DEP_2) | instskip(SKIP_1) | instid1(VALU_DEP_2)
	v_add_co_u32 v23, vcc_lo, v23, v25
	s_wait_alu 0xfffd
	v_add_co_ci_u32_e32 v23, vcc_lo, v24, v26, vcc_lo
	s_wait_alu 0xfffd
	v_add_co_ci_u32_e32 v24, vcc_lo, 0, v40, vcc_lo
	s_delay_alu instid0(VALU_DEP_2) | instskip(SKIP_1) | instid1(VALU_DEP_2)
	v_add_co_u32 v25, vcc_lo, v23, v39
	s_wait_alu 0xfffd
	v_add_co_ci_u32_e64 v26, null, 0, v24, vcc_lo
	s_delay_alu instid0(VALU_DEP_2) | instskip(SKIP_1) | instid1(VALU_DEP_3)
	v_mul_lo_u32 v39, s79, v25
	v_mad_co_u64_u32 v[23:24], null, s78, v25, 0
	v_mul_lo_u32 v40, s78, v26
	s_delay_alu instid0(VALU_DEP_2) | instskip(NEXT) | instid1(VALU_DEP_2)
	v_sub_co_u32 v2, vcc_lo, v2, v23
	v_add3_u32 v24, v24, v40, v39
	s_delay_alu instid0(VALU_DEP_1) | instskip(SKIP_2) | instid1(VALU_DEP_2)
	v_sub_nc_u32_e32 v39, v36, v24
	s_wait_alu 0xfffd
	v_sub_co_ci_u32_e64 v24, null, v36, v24, vcc_lo
	v_subrev_co_ci_u32_e64 v23, null, s79, v39, vcc_lo
	v_add_co_u32 v39, s0, v25, 2
	s_wait_alu 0xf1ff
	v_add_co_ci_u32_e64 v40, null, 0, v26, s0
	v_sub_co_u32 v41, s0, v2, s78
	s_wait_alu 0xf1ff
	v_subrev_co_ci_u32_e64 v23, null, 0, v23, s0
	s_delay_alu instid0(VALU_DEP_2) | instskip(SKIP_2) | instid1(VALU_DEP_3)
	v_cmp_le_u32_e32 vcc_lo, s78, v41
	s_wait_alu 0xfffd
	v_cndmask_b32_e64 v36, 0, -1, vcc_lo
	v_cmp_le_u32_e32 vcc_lo, s79, v23
	s_wait_alu 0xfffd
	v_cndmask_b32_e64 v41, 0, -1, vcc_lo
	;; [unrolled: 3-line block ×4, first 2 shown]
	v_cmp_eq_u32_e32 vcc_lo, s79, v23
	s_wait_alu 0xfffd
	v_cndmask_b32_e32 v23, v41, v36, vcc_lo
	v_add_co_u32 v36, vcc_lo, v25, 1
	s_wait_alu 0xfffd
	v_add_co_ci_u32_e64 v41, null, 0, v26, vcc_lo
	v_cmp_eq_u32_e32 vcc_lo, s79, v24
	v_xor_b32_e32 v24, s76, v28
	s_wait_alu 0xfffd
	v_cndmask_b32_e32 v2, v42, v2, vcc_lo
	v_cmp_ne_u32_e32 vcc_lo, 0, v23
	s_delay_alu instid0(VALU_DEP_2) | instskip(SKIP_3) | instid1(VALU_DEP_1)
	v_cmp_ne_u32_e64 s0, 0, v2
	s_wait_alu 0xfffd
	v_dual_cndmask_b32 v23, v41, v40 :: v_dual_cndmask_b32 v2, v36, v39
	s_wait_alu 0xf1ff
	v_cndmask_b32_e64 v23, v26, v23, s0
	s_delay_alu instid0(VALU_DEP_2) | instskip(NEXT) | instid1(VALU_DEP_2)
	v_cndmask_b32_e64 v2, v25, v2, s0
	v_xor_b32_e32 v25, v23, v24
	s_delay_alu instid0(VALU_DEP_2) | instskip(NEXT) | instid1(VALU_DEP_1)
	v_xor_b32_e32 v2, v2, v24
	v_sub_co_u32 v23, vcc_lo, v2, v24
	s_wait_alu 0xfffd
	s_delay_alu instid0(VALU_DEP_3)
	v_sub_co_ci_u32_e64 v24, null, v25, v24, vcc_lo
.LBB7_61:                               ;   in Loop: Header=BB7_3 Depth=1
	s_wait_alu 0xfffe
	s_and_not1_saveexec_b32 s0, s1
	s_cbranch_execz .LBB7_63
; %bb.62:                               ;   in Loop: Header=BB7_3 Depth=1
	v_cvt_f32_u32_e32 v2, s54
	s_sub_co_i32 s1, 0, s54
	s_delay_alu instid0(VALU_DEP_1) | instskip(NEXT) | instid1(TRANS32_DEP_1)
	v_rcp_iflag_f32_e32 v2, v2
	v_mul_f32_e32 v2, 0x4f7ffffe, v2
	s_delay_alu instid0(VALU_DEP_1) | instskip(SKIP_1) | instid1(VALU_DEP_1)
	v_cvt_u32_f32_e32 v2, v2
	s_wait_alu 0xfffe
	v_mul_lo_u32 v23, s1, v2
	s_delay_alu instid0(VALU_DEP_1) | instskip(NEXT) | instid1(VALU_DEP_1)
	v_mul_hi_u32 v23, v2, v23
	v_add_nc_u32_e32 v2, v2, v23
	s_delay_alu instid0(VALU_DEP_1) | instskip(NEXT) | instid1(VALU_DEP_1)
	v_mul_hi_u32 v2, v3, v2
	v_mul_lo_u32 v23, v2, s54
	v_add_nc_u32_e32 v24, 1, v2
	s_delay_alu instid0(VALU_DEP_2) | instskip(NEXT) | instid1(VALU_DEP_1)
	v_sub_nc_u32_e32 v23, v3, v23
	v_subrev_nc_u32_e32 v25, s54, v23
	v_cmp_le_u32_e32 vcc_lo, s54, v23
	s_wait_alu 0xfffd
	s_delay_alu instid0(VALU_DEP_2) | instskip(NEXT) | instid1(VALU_DEP_1)
	v_dual_cndmask_b32 v23, v23, v25 :: v_dual_cndmask_b32 v2, v2, v24
	v_cmp_le_u32_e32 vcc_lo, s54, v23
	s_delay_alu instid0(VALU_DEP_2) | instskip(SKIP_1) | instid1(VALU_DEP_1)
	v_add_nc_u32_e32 v24, 1, v2
	s_wait_alu 0xfffd
	v_dual_cndmask_b32 v23, v2, v24 :: v_dual_mov_b32 v24, v1
.LBB7_63:                               ;   in Loop: Header=BB7_3 Depth=1
	s_wait_alu 0xfffe
	s_or_b32 exec_lo, exec_lo, s0
	v_or_b32_e32 v2, s59, v4
                                        ; implicit-def: $vgpr25_vgpr26
	s_mov_b32 s0, exec_lo
	s_delay_alu instid0(VALU_DEP_1)
	v_cmpx_ne_u64_e32 0, v[1:2]
	s_wait_alu 0xfffe
	s_xor_b32 s1, exec_lo, s0
	s_cbranch_execnz .LBB7_67
; %bb.64:                               ;   in Loop: Header=BB7_3 Depth=1
	s_wait_alu 0xfffe
	s_and_not1_saveexec_b32 s0, s1
	s_cbranch_execnz .LBB7_68
.LBB7_65:                               ;   in Loop: Header=BB7_3 Depth=1
	s_wait_alu 0xfffe
	s_or_b32 exec_lo, exec_lo, s0
	s_delay_alu instid0(SALU_CYCLE_1)
	s_and_not1_b32 vcc_lo, exec_lo, s33
	s_wait_alu 0xfffe
	s_cbranch_vccnz .LBB7_69
.LBB7_66:                               ;   in Loop: Header=BB7_3 Depth=1
	v_sub_co_u32 v2, vcc_lo, 1, v9
	s_wait_alu 0xfffd
	v_sub_co_ci_u32_e64 v28, null, 0, v10, vcc_lo
	v_mad_co_u64_u32 v[39:40], null, s68, v9, v[3:4]
	v_mul_lo_u32 v36, s68, v10
	v_mul_lo_u32 v43, s69, v9
	s_delay_alu instid0(VALU_DEP_4) | instskip(SKIP_2) | instid1(VALU_DEP_4)
	v_mul_lo_u32 v28, s4, v28
	v_mul_lo_u32 v44, s5, v2
	v_mad_co_u64_u32 v[41:42], null, s4, v2, v[3:4]
	v_add3_u32 v2, v43, v40, v36
	v_sub_co_u32 v40, vcc_lo, 2, v9
	s_delay_alu instid0(VALU_DEP_3) | instskip(SKIP_2) | instid1(VALU_DEP_3)
	v_add3_u32 v28, v44, v42, v28
	s_wait_alu 0xfffd
	v_sub_co_ci_u32_e64 v44, null, 0, v10, vcc_lo
	v_mul_lo_u32 v47, s5, v40
	v_mul_lo_u32 v36, v39, s43
	v_mul_lo_u32 v49, v2, s42
	s_delay_alu instid0(VALU_DEP_4)
	v_mul_lo_u32 v46, s4, v44
	v_mad_co_u64_u32 v[44:45], null, s4, v40, v[3:4]
	v_sub_co_u32 v40, vcc_lo, 3, v9
	s_wait_alu 0xfffd
	v_sub_co_ci_u32_e64 v48, null, 0, v10, vcc_lo
	v_mad_co_u64_u32 v[42:43], null, v39, s42, 0
	s_delay_alu instid0(VALU_DEP_4) | instskip(NEXT) | instid1(VALU_DEP_3)
	v_add3_u32 v52, v47, v45, v46
	v_mul_lo_u32 v53, s4, v48
	v_mul_lo_u32 v54, s5, v40
	v_mad_co_u64_u32 v[45:46], null, s4, v40, v[3:4]
	v_mul_lo_u32 v50, v28, s42
	v_mul_lo_u32 v51, v41, s43
	v_mad_co_u64_u32 v[9:10], null, v41, s42, 0
	v_mul_lo_u32 v40, v52, s42
	v_mul_lo_u32 v55, v44, s43
	v_mad_co_u64_u32 v[47:48], null, v44, s42, 0
	v_add3_u32 v43, v43, v36, v49
	v_add3_u32 v36, v54, v46, v53
	;; [unrolled: 1-line block ×3, first 2 shown]
	v_mul_lo_u32 v51, v45, s43
	v_mad_co_u64_u32 v[49:50], null, v45, s42, 0
	v_add3_u32 v48, v48, v55, v40
	v_mul_lo_u32 v40, v36, s42
	v_mul_lo_u32 v53, v39, s47
	;; [unrolled: 1-line block ×4, first 2 shown]
	v_lshlrev_b64_e32 v[46:47], 2, v[47:48]
	v_mul_lo_u32 v54, v41, s47
	v_lshlrev_b64_e32 v[42:43], 2, v[42:43]
	v_lshlrev_b64_e32 v[9:10], 2, v[9:10]
	v_add3_u32 v50, v50, v51, v40
	v_mad_co_u64_u32 v[39:40], null, v39, s46, 0
	s_delay_alu instid0(VALU_DEP_4) | instskip(NEXT) | instid1(VALU_DEP_3)
	v_add_co_u32 v42, vcc_lo, s40, v42
	v_lshlrev_b64_e32 v[48:49], 2, v[49:50]
	v_mad_co_u64_u32 v[50:51], null, v41, s46, 0
	s_delay_alu instid0(VALU_DEP_4)
	v_add3_u32 v40, v40, v53, v2
	v_mul_lo_u32 v2, v52, s46
	v_mul_lo_u32 v41, v44, s47
	v_mad_co_u64_u32 v[52:53], null, v44, s46, 0
	s_wait_alu 0xfffd
	v_add_co_ci_u32_e64 v43, null, s41, v43, vcc_lo
	v_add3_u32 v51, v51, v54, v28
	v_mul_lo_u32 v28, v36, s46
	v_mul_lo_u32 v36, v45, s47
	v_mad_co_u64_u32 v[44:45], null, v45, s46, 0
	v_add_co_u32 v9, vcc_lo, s40, v9
	v_lshlrev_b64_e32 v[39:40], 2, v[39:40]
	s_wait_alu 0xfffd
	v_add_co_ci_u32_e64 v10, null, s41, v10, vcc_lo
	v_add_co_u32 v46, vcc_lo, s40, v46
	v_add3_u32 v53, v53, v41, v2
	s_wait_alu 0xfffd
	v_add_co_ci_u32_e64 v47, null, s41, v47, vcc_lo
	v_add_co_u32 v48, vcc_lo, s40, v48
	v_add3_u32 v45, v45, v36, v28
	s_wait_alu 0xfffd
	v_add_co_ci_u32_e64 v49, null, s41, v49, vcc_lo
	v_lshlrev_b64_e32 v[50:51], 2, v[50:51]
	v_add_co_u32 v54, vcc_lo, s44, v39
	s_wait_alu 0xfffd
	v_add_co_ci_u32_e64 v55, null, s45, v40, vcc_lo
	v_lshlrev_b64_e32 v[39:40], 2, v[52:53]
	v_lshlrev_b64_e32 v[44:45], 2, v[44:45]
	v_add_co_u32 v50, vcc_lo, s44, v50
	s_wait_alu 0xfffd
	v_add_co_ci_u32_e64 v51, null, s45, v51, vcc_lo
	s_delay_alu instid0(VALU_DEP_4)
	v_add_co_u32 v52, vcc_lo, s44, v39
	s_wait_alu 0xfffd
	v_add_co_ci_u32_e64 v53, null, s45, v40, vcc_lo
	v_add_co_u32 v44, vcc_lo, s44, v44
	s_wait_alu 0xfffd
	v_add_co_ci_u32_e64 v45, null, s45, v45, vcc_lo
	s_clause 0x3
	global_load_b32 v41, v[42:43], off
	global_load_b32 v40, v[9:10], off
	;; [unrolled: 1-line block ×4, first 2 shown]
	s_clause 0x3
	global_load_b32 v10, v[54:55], off
	global_load_b32 v9, v[50:51], off
	;; [unrolled: 1-line block ×4, first 2 shown]
	s_branch .LBB7_70
.LBB7_67:                               ;   in Loop: Header=BB7_3 Depth=1
	s_ashr_i32 s76, s59, 31
	v_add_co_u32 v2, vcc_lo, v3, v28
	s_wait_alu 0xfffe
	s_mov_b32 s77, s76
	s_wait_alu 0xfffd
	v_add_co_ci_u32_e64 v25, null, v4, v28, vcc_lo
	s_wait_alu 0xfffe
	s_add_nc_u64 s[78:79], s[58:59], s[76:77]
	v_xor_b32_e32 v2, v2, v28
	s_wait_alu 0xfffe
	s_xor_b64 s[78:79], s[78:79], s[76:77]
	v_xor_b32_e32 v36, v25, v28
	s_wait_alu 0xfffe
	s_cvt_f32_u32 s0, s78
	s_cvt_f32_u32 s64, s79
	s_sub_nc_u64 s[86:87], 0, s[78:79]
	s_wait_alu 0xfffe
	s_delay_alu instid0(SALU_CYCLE_1) | instskip(SKIP_1) | instid1(SALU_CYCLE_2)
	s_fmamk_f32 s0, s64, 0x4f800000, s0
	s_wait_alu 0xfffe
	v_s_rcp_f32 s0, s0
	s_delay_alu instid0(TRANS32_DEP_1) | instskip(SKIP_1) | instid1(SALU_CYCLE_2)
	s_mul_f32 s0, s0, 0x5f7ffffc
	s_wait_alu 0xfffe
	s_mul_f32 s64, s0, 0x2f800000
	s_wait_alu 0xfffe
	s_delay_alu instid0(SALU_CYCLE_2) | instskip(SKIP_1) | instid1(SALU_CYCLE_2)
	s_trunc_f32 s64, s64
	s_wait_alu 0xfffe
	s_fmamk_f32 s0, s64, 0xcf800000, s0
	s_cvt_u32_f32 s85, s64
	s_wait_alu 0xfffe
	s_delay_alu instid0(SALU_CYCLE_1) | instskip(NEXT) | instid1(SALU_CYCLE_3)
	s_cvt_u32_f32 s84, s0
	s_mul_u64 s[88:89], s[86:87], s[84:85]
	s_delay_alu instid0(SALU_CYCLE_1)
	s_mul_hi_u32 s91, s84, s89
	s_mul_i32 s90, s84, s89
	s_mul_hi_u32 s64, s84, s88
	s_mul_i32 s77, s85, s88
	s_wait_alu 0xfffe
	s_add_nc_u64 s[90:91], s[64:65], s[90:91]
	s_mul_hi_u32 s0, s85, s88
	s_mul_hi_u32 s83, s85, s89
	s_add_co_u32 s64, s90, s77
	s_wait_alu 0xfffe
	s_add_co_ci_u32 s64, s91, s0
	s_mul_i32 s88, s85, s89
	s_add_co_ci_u32 s89, s83, 0
	s_wait_alu 0xfffe
	s_add_nc_u64 s[88:89], s[64:65], s[88:89]
	s_delay_alu instid0(SALU_CYCLE_1) | instskip(SKIP_4) | instid1(SALU_CYCLE_1)
	s_add_co_u32 s84, s84, s88
	s_cselect_b32 s0, -1, 0
	s_wait_alu 0xfffe
	s_cmp_lg_u32 s0, 0
	s_add_co_ci_u32 s85, s85, s89
	s_mul_u64 s[86:87], s[86:87], s[84:85]
	s_delay_alu instid0(SALU_CYCLE_1)
	s_mul_hi_u32 s89, s84, s87
	s_mul_i32 s88, s84, s87
	s_mul_hi_u32 s64, s84, s86
	s_mul_i32 s77, s85, s86
	s_wait_alu 0xfffe
	s_add_nc_u64 s[88:89], s[64:65], s[88:89]
	s_mul_hi_u32 s0, s85, s86
	s_mul_hi_u32 s83, s85, s87
	s_add_co_u32 s64, s88, s77
	s_wait_alu 0xfffe
	s_add_co_ci_u32 s64, s89, s0
	s_mul_i32 s86, s85, s87
	s_add_co_ci_u32 s87, s83, 0
	s_wait_alu 0xfffe
	s_add_nc_u64 s[86:87], s[64:65], s[86:87]
	s_delay_alu instid0(SALU_CYCLE_1)
	s_add_co_u32 s0, s84, s86
	s_cselect_b32 s64, -1, 0
	s_wait_alu 0xfffe
	v_mul_hi_u32 v43, v2, s0
	s_cmp_lg_u32 s64, 0
	v_mad_co_u64_u32 v[39:40], null, v36, s0, 0
	s_add_co_ci_u32 s64, s85, s87
	s_wait_alu 0xfffe
	v_mad_co_u64_u32 v[25:26], null, v2, s64, 0
	v_mad_co_u64_u32 v[41:42], null, v36, s64, 0
	s_delay_alu instid0(VALU_DEP_2) | instskip(SKIP_1) | instid1(VALU_DEP_3)
	v_add_co_u32 v25, vcc_lo, v43, v25
	s_wait_alu 0xfffd
	v_add_co_ci_u32_e64 v26, null, 0, v26, vcc_lo
	s_delay_alu instid0(VALU_DEP_2) | instskip(SKIP_1) | instid1(VALU_DEP_2)
	v_add_co_u32 v25, vcc_lo, v25, v39
	s_wait_alu 0xfffd
	v_add_co_ci_u32_e32 v25, vcc_lo, v26, v40, vcc_lo
	s_wait_alu 0xfffd
	v_add_co_ci_u32_e32 v26, vcc_lo, 0, v42, vcc_lo
	s_delay_alu instid0(VALU_DEP_2) | instskip(SKIP_1) | instid1(VALU_DEP_2)
	v_add_co_u32 v39, vcc_lo, v25, v41
	s_wait_alu 0xfffd
	v_add_co_ci_u32_e64 v40, null, 0, v26, vcc_lo
	s_delay_alu instid0(VALU_DEP_2) | instskip(SKIP_1) | instid1(VALU_DEP_3)
	v_mul_lo_u32 v41, s79, v39
	v_mad_co_u64_u32 v[25:26], null, s78, v39, 0
	v_mul_lo_u32 v42, s78, v40
	s_delay_alu instid0(VALU_DEP_2) | instskip(NEXT) | instid1(VALU_DEP_2)
	v_sub_co_u32 v2, vcc_lo, v2, v25
	v_add3_u32 v26, v26, v42, v41
	s_delay_alu instid0(VALU_DEP_1) | instskip(SKIP_2) | instid1(VALU_DEP_2)
	v_sub_nc_u32_e32 v41, v36, v26
	s_wait_alu 0xfffd
	v_sub_co_ci_u32_e64 v26, null, v36, v26, vcc_lo
	v_subrev_co_ci_u32_e64 v25, null, s79, v41, vcc_lo
	v_add_co_u32 v41, s0, v39, 2
	s_wait_alu 0xf1ff
	v_add_co_ci_u32_e64 v42, null, 0, v40, s0
	v_sub_co_u32 v43, s0, v2, s78
	s_wait_alu 0xf1ff
	v_subrev_co_ci_u32_e64 v25, null, 0, v25, s0
	s_delay_alu instid0(VALU_DEP_2) | instskip(SKIP_2) | instid1(VALU_DEP_3)
	v_cmp_le_u32_e32 vcc_lo, s78, v43
	s_wait_alu 0xfffd
	v_cndmask_b32_e64 v36, 0, -1, vcc_lo
	v_cmp_le_u32_e32 vcc_lo, s79, v25
	s_wait_alu 0xfffd
	v_cndmask_b32_e64 v43, 0, -1, vcc_lo
	;; [unrolled: 3-line block ×4, first 2 shown]
	v_cmp_eq_u32_e32 vcc_lo, s79, v25
	s_wait_alu 0xfffd
	v_cndmask_b32_e32 v25, v43, v36, vcc_lo
	v_add_co_u32 v36, vcc_lo, v39, 1
	s_wait_alu 0xfffd
	v_add_co_ci_u32_e64 v43, null, 0, v40, vcc_lo
	v_cmp_eq_u32_e32 vcc_lo, s79, v26
	v_xor_b32_e32 v26, s76, v28
	s_wait_alu 0xfffd
	v_cndmask_b32_e32 v2, v44, v2, vcc_lo
	v_cmp_ne_u32_e32 vcc_lo, 0, v25
	s_delay_alu instid0(VALU_DEP_2) | instskip(SKIP_3) | instid1(VALU_DEP_1)
	v_cmp_ne_u32_e64 s0, 0, v2
	s_wait_alu 0xfffd
	v_dual_cndmask_b32 v25, v43, v42 :: v_dual_cndmask_b32 v2, v36, v41
	s_wait_alu 0xf1ff
	v_cndmask_b32_e64 v25, v40, v25, s0
	s_delay_alu instid0(VALU_DEP_2) | instskip(NEXT) | instid1(VALU_DEP_2)
	v_cndmask_b32_e64 v2, v39, v2, s0
	v_xor_b32_e32 v28, v25, v26
	s_delay_alu instid0(VALU_DEP_2) | instskip(NEXT) | instid1(VALU_DEP_1)
	v_xor_b32_e32 v2, v2, v26
	v_sub_co_u32 v25, vcc_lo, v2, v26
	s_wait_alu 0xfffd
	s_delay_alu instid0(VALU_DEP_3)
	v_sub_co_ci_u32_e64 v26, null, v28, v26, vcc_lo
	s_and_not1_saveexec_b32 s0, s1
	s_cbranch_execz .LBB7_65
.LBB7_68:                               ;   in Loop: Header=BB7_3 Depth=1
	v_cvt_f32_u32_e32 v2, s58
	s_sub_co_i32 s1, 0, s58
	s_delay_alu instid0(VALU_DEP_1) | instskip(NEXT) | instid1(TRANS32_DEP_1)
	v_rcp_iflag_f32_e32 v2, v2
	v_mul_f32_e32 v2, 0x4f7ffffe, v2
	s_delay_alu instid0(VALU_DEP_1) | instskip(SKIP_1) | instid1(VALU_DEP_1)
	v_cvt_u32_f32_e32 v2, v2
	s_wait_alu 0xfffe
	v_mul_lo_u32 v25, s1, v2
	s_delay_alu instid0(VALU_DEP_1) | instskip(NEXT) | instid1(VALU_DEP_1)
	v_mul_hi_u32 v25, v2, v25
	v_add_nc_u32_e32 v2, v2, v25
	s_delay_alu instid0(VALU_DEP_1) | instskip(NEXT) | instid1(VALU_DEP_1)
	v_mul_hi_u32 v2, v3, v2
	v_mul_lo_u32 v25, v2, s58
	v_add_nc_u32_e32 v26, 1, v2
	s_delay_alu instid0(VALU_DEP_2) | instskip(NEXT) | instid1(VALU_DEP_1)
	v_sub_nc_u32_e32 v25, v3, v25
	v_subrev_nc_u32_e32 v28, s58, v25
	v_cmp_le_u32_e32 vcc_lo, s58, v25
	s_wait_alu 0xfffd
	s_delay_alu instid0(VALU_DEP_2) | instskip(NEXT) | instid1(VALU_DEP_1)
	v_dual_cndmask_b32 v25, v25, v28 :: v_dual_cndmask_b32 v2, v2, v26
	v_cmp_le_u32_e32 vcc_lo, s58, v25
	s_delay_alu instid0(VALU_DEP_2) | instskip(SKIP_1) | instid1(VALU_DEP_1)
	v_add_nc_u32_e32 v26, 1, v2
	s_wait_alu 0xfffd
	v_dual_cndmask_b32 v25, v2, v26 :: v_dual_mov_b32 v26, v1
	s_or_b32 exec_lo, exec_lo, s0
	s_delay_alu instid0(SALU_CYCLE_1)
	s_and_not1_b32 vcc_lo, exec_lo, s33
	s_wait_alu 0xfffe
	s_cbranch_vccz .LBB7_66
.LBB7_69:                               ;   in Loop: Header=BB7_3 Depth=1
	v_dual_mov_b32 v9, 0 :: v_dual_mov_b32 v2, 0
	v_dual_mov_b32 v39, 0 :: v_dual_mov_b32 v10, 0
	;; [unrolled: 1-line block ×3, first 2 shown]
	v_mov_b32_e32 v28, 0
	v_mov_b32_e32 v40, 0
.LBB7_70:                               ;   in Loop: Header=BB7_3 Depth=1
	s_wait_loadcnt 0x2
	v_add_f32_e32 v31, v31, v37
	s_delay_alu instid0(VALU_DEP_1) | instskip(SKIP_1) | instid1(VALU_DEP_1)
	v_add_f32_e32 v28, v31, v28
	s_wait_loadcnt 0x1
	v_add_f32_e32 v2, v2, v28
                                        ; implicit-def: $vgpr28
	s_delay_alu instid0(VALU_DEP_1)
	v_cmp_ngt_f32_e64 s0, 0x3f200000, |v2|
	s_and_saveexec_b32 s1, s0
	s_wait_alu 0xfffe
	s_xor_b32 s0, exec_lo, s1
	s_cbranch_execz .LBB7_72
; %bb.71:                               ;   in Loop: Header=BB7_3 Depth=1
	v_add_f32_e64 v28, |v2|, |v2|
	s_delay_alu instid0(VALU_DEP_1) | instskip(SKIP_1) | instid1(VALU_DEP_2)
	v_mul_f32_e32 v31, 0x3fb8aa3b, v28
	v_cmp_ngt_f32_e32 vcc_lo, 0xc2ce8ed0, v28
	v_rndne_f32_e32 v37, v31
	v_fma_f32 v42, 0x3fb8aa3b, v28, -v31
	s_delay_alu instid0(VALU_DEP_1) | instskip(SKIP_1) | instid1(VALU_DEP_2)
	v_dual_sub_f32 v31, v31, v37 :: v_dual_fmac_f32 v42, 0x32a5705f, v28
	v_cvt_i32_f32_e32 v37, v37
	v_add_f32_e32 v31, v31, v42
	s_delay_alu instid0(VALU_DEP_1) | instskip(NEXT) | instid1(TRANS32_DEP_1)
	v_exp_f32_e32 v31, v31
	v_ldexp_f32 v31, v31, v37
	s_wait_alu 0xfffd
	s_delay_alu instid0(VALU_DEP_1) | instskip(SKIP_2) | instid1(VALU_DEP_2)
	v_cndmask_b32_e32 v31, 0, v31, vcc_lo
	v_cmp_nlt_f32_e32 vcc_lo, 0x42b17218, v28
	s_wait_alu 0xfffd
	v_cndmask_b32_e32 v28, 0x7f800000, v31, vcc_lo
	s_delay_alu instid0(VALU_DEP_1) | instskip(NEXT) | instid1(VALU_DEP_1)
	v_add_f32_e32 v28, 1.0, v28
	v_rcp_f32_e32 v28, v28
	s_delay_alu instid0(TRANS32_DEP_1)
	v_fma_f32 v28, v28, -2.0, 1.0
.LBB7_72:                               ;   in Loop: Header=BB7_3 Depth=1
	s_wait_alu 0xfffe
	s_and_not1_saveexec_b32 s0, s0
	s_cbranch_execz .LBB7_74
; %bb.73:                               ;   in Loop: Header=BB7_3 Depth=1
	v_mul_f32_e32 v28, v2, v2
	s_delay_alu instid0(VALU_DEP_1) | instskip(NEXT) | instid1(VALU_DEP_1)
	v_fmaak_f32 v31, s81, v28, 0x3ca908c9
	v_fmaak_f32 v31, v28, v31, 0xbd5c1c4e
	s_delay_alu instid0(VALU_DEP_1) | instskip(NEXT) | instid1(VALU_DEP_1)
	v_fmaak_f32 v31, v28, v31, 0x3e088382
	v_fmaak_f32 v31, v28, v31, 0xbeaaaa99
	s_delay_alu instid0(VALU_DEP_1) | instskip(NEXT) | instid1(VALU_DEP_1)
	v_mul_f32_e64 v31, |v2|, v31
	v_fma_f32 v28, v28, v31, |v2|
.LBB7_74:                               ;   in Loop: Header=BB7_3 Depth=1
	s_wait_alu 0xfffe
	s_or_b32 exec_lo, exec_lo, s0
	v_dual_add_f32 v29, v29, v33 :: v_dual_add_f32 v30, v30, v34
	s_delay_alu instid0(VALU_DEP_2) | instskip(NEXT) | instid1(VALU_DEP_2)
	v_bfi_b32 v2, 0x7fffffff, v28, v2
	v_dual_add_f32 v29, v29, v41 :: v_dual_add_f32 v30, v30, v40
	s_delay_alu instid0(VALU_DEP_1) | instskip(NEXT) | instid1(VALU_DEP_1)
	v_dual_add_f32 v10, v10, v29 :: v_dual_add_f32 v9, v9, v30
	v_dual_mul_f32 v29, 0xbfb8aa3b, v10 :: v_dual_mul_f32 v30, 0xbfb8aa3b, v9
	v_cmp_nlt_f32_e32 vcc_lo, 0x42ce8ed0, v10
	s_delay_alu instid0(VALU_DEP_2) | instskip(SKIP_1) | instid1(VALU_DEP_4)
	v_fma_f32 v31, 0xbfb8aa3b, v10, -v29
	v_rndne_f32_e32 v33, v29
	v_fma_f32 v34, 0xbfb8aa3b, v9, -v30
	v_rndne_f32_e32 v37, v30
	s_delay_alu instid0(VALU_DEP_2) | instskip(NEXT) | instid1(VALU_DEP_2)
	v_dual_fmac_f32 v31, 0xb2a5705f, v10 :: v_dual_fmac_f32 v34, 0xb2a5705f, v9
	v_sub_f32_e32 v30, v30, v37
	s_delay_alu instid0(VALU_DEP_1) | instskip(NEXT) | instid1(VALU_DEP_1)
	v_dual_sub_f32 v29, v29, v33 :: v_dual_add_f32 v30, v30, v34
	v_add_f32_e32 v29, v29, v31
	v_cvt_i32_f32_e32 v31, v33
	v_cvt_i32_f32_e32 v33, v37
	s_delay_alu instid0(VALU_DEP_4) | instskip(NEXT) | instid1(VALU_DEP_3)
	v_exp_f32_e32 v30, v30
	v_exp_f32_e32 v29, v29
	s_delay_alu instid0(TRANS32_DEP_2) | instskip(NEXT) | instid1(TRANS32_DEP_1)
	v_ldexp_f32 v30, v30, v33
	v_ldexp_f32 v29, v29, v31
	s_wait_alu 0xfffd
	s_delay_alu instid0(VALU_DEP_1)
	v_cndmask_b32_e32 v29, 0, v29, vcc_lo
	v_cmp_nlt_f32_e32 vcc_lo, 0x42ce8ed0, v9
	s_wait_alu 0xfffd
	v_cndmask_b32_e32 v30, 0, v30, vcc_lo
	v_cmp_ngt_f32_e32 vcc_lo, 0xc2b17218, v10
	s_wait_alu 0xfffd
	v_cndmask_b32_e32 v10, 0x7f800000, v29, vcc_lo
	v_cmp_ngt_f32_e32 vcc_lo, 0xc2b17218, v9
	s_wait_alu 0xfffd
	v_cndmask_b32_e32 v9, 0x7f800000, v30, vcc_lo
	s_delay_alu instid0(VALU_DEP_1) | instskip(NEXT) | instid1(VALU_DEP_1)
	v_dual_add_f32 v10, 1.0, v10 :: v_dual_add_f32 v29, 1.0, v9
	v_div_scale_f32 v9, null, v10, v10, 1.0
	v_div_scale_f32 v40, vcc_lo, 1.0, v10, 1.0
	s_delay_alu instid0(VALU_DEP_3) | instskip(NEXT) | instid1(VALU_DEP_3)
	v_div_scale_f32 v30, null, v29, v29, 1.0
	v_rcp_f32_e32 v31, v9
	s_delay_alu instid0(VALU_DEP_1) | instskip(NEXT) | instid1(TRANS32_DEP_2)
	v_rcp_f32_e32 v33, v30
	v_fma_f32 v34, -v9, v31, 1.0
	s_delay_alu instid0(TRANS32_DEP_1) | instskip(NEXT) | instid1(VALU_DEP_2)
	v_fma_f32 v37, -v30, v33, 1.0
	v_fmac_f32_e32 v31, v34, v31
	v_div_scale_f32 v34, s0, 1.0, v29, 1.0
	s_delay_alu instid0(VALU_DEP_3) | instskip(NEXT) | instid1(VALU_DEP_3)
	v_fmac_f32_e32 v33, v37, v33
	v_mul_f32_e32 v37, v40, v31
	s_delay_alu instid0(VALU_DEP_2) | instskip(NEXT) | instid1(VALU_DEP_2)
	v_mul_f32_e32 v41, v34, v33
	v_fma_f32 v42, -v9, v37, v40
	s_delay_alu instid0(VALU_DEP_2) | instskip(NEXT) | instid1(VALU_DEP_2)
	v_fma_f32 v43, -v30, v41, v34
	v_fmac_f32_e32 v37, v42, v31
	s_delay_alu instid0(VALU_DEP_2) | instskip(NEXT) | instid1(VALU_DEP_2)
	v_fmac_f32_e32 v41, v43, v33
	v_fma_f32 v9, -v9, v37, v40
	s_delay_alu instid0(VALU_DEP_2) | instskip(SKIP_1) | instid1(VALU_DEP_2)
	v_fma_f32 v30, -v30, v41, v34
	s_wait_alu 0xfffd
	v_div_fmas_f32 v9, v9, v31, v37
	s_mov_b32 vcc_lo, s0
	s_wait_alu 0xfffe
	v_div_fmas_f32 v30, v30, v33, v41
	s_delay_alu instid0(VALU_DEP_2) | instskip(NEXT) | instid1(VALU_DEP_2)
	v_div_fixup_f32 v9, v9, v10, 1.0
	v_div_fixup_f32 v10, v30, v29, 1.0
                                        ; implicit-def: $vgpr29
	s_delay_alu instid0(VALU_DEP_2) | instskip(SKIP_1) | instid1(VALU_DEP_1)
	v_mul_f32_e32 v28, v9, v2
	s_wait_loadcnt 0x0
	v_fmac_f32_e32 v28, v35, v10
	s_delay_alu instid0(VALU_DEP_1)
	v_cmp_ngt_f32_e64 s0, 0x3f200000, |v28|
	s_and_saveexec_b32 s1, s0
	s_wait_alu 0xfffe
	s_xor_b32 s0, exec_lo, s1
	s_cbranch_execz .LBB7_76
; %bb.75:                               ;   in Loop: Header=BB7_3 Depth=1
	v_add_f32_e64 v29, |v28|, |v28|
	s_delay_alu instid0(VALU_DEP_1) | instskip(SKIP_1) | instid1(VALU_DEP_2)
	v_mul_f32_e32 v30, 0x3fb8aa3b, v29
	v_cmp_ngt_f32_e32 vcc_lo, 0xc2ce8ed0, v29
	v_rndne_f32_e32 v31, v30
	v_fma_f32 v33, 0x3fb8aa3b, v29, -v30
	s_delay_alu instid0(VALU_DEP_1) | instskip(SKIP_1) | instid1(VALU_DEP_2)
	v_dual_sub_f32 v30, v30, v31 :: v_dual_fmac_f32 v33, 0x32a5705f, v29
	v_cvt_i32_f32_e32 v31, v31
	v_add_f32_e32 v30, v30, v33
	s_delay_alu instid0(VALU_DEP_1) | instskip(NEXT) | instid1(TRANS32_DEP_1)
	v_exp_f32_e32 v30, v30
	v_ldexp_f32 v30, v30, v31
	s_wait_alu 0xfffd
	s_delay_alu instid0(VALU_DEP_1) | instskip(SKIP_2) | instid1(VALU_DEP_2)
	v_cndmask_b32_e32 v30, 0, v30, vcc_lo
	v_cmp_nlt_f32_e32 vcc_lo, 0x42b17218, v29
	s_wait_alu 0xfffd
	v_cndmask_b32_e32 v29, 0x7f800000, v30, vcc_lo
	s_delay_alu instid0(VALU_DEP_1) | instskip(NEXT) | instid1(VALU_DEP_1)
	v_add_f32_e32 v29, 1.0, v29
	v_rcp_f32_e32 v29, v29
	s_delay_alu instid0(TRANS32_DEP_1)
	v_fma_f32 v29, v29, -2.0, 1.0
.LBB7_76:                               ;   in Loop: Header=BB7_3 Depth=1
	s_wait_alu 0xfffe
	s_and_not1_saveexec_b32 s0, s0
	s_cbranch_execz .LBB7_2
; %bb.77:                               ;   in Loop: Header=BB7_3 Depth=1
	v_mul_f32_e32 v29, v28, v28
	s_delay_alu instid0(VALU_DEP_1) | instskip(NEXT) | instid1(VALU_DEP_1)
	v_fmaak_f32 v30, s81, v29, 0x3ca908c9
	v_fmaak_f32 v30, v29, v30, 0xbd5c1c4e
	s_delay_alu instid0(VALU_DEP_1) | instskip(NEXT) | instid1(VALU_DEP_1)
	v_fmaak_f32 v30, v29, v30, 0x3e088382
	v_fmaak_f32 v30, v29, v30, 0xbeaaaa99
	s_delay_alu instid0(VALU_DEP_1) | instskip(NEXT) | instid1(VALU_DEP_1)
	v_mul_f32_e64 v30, |v28|, v30
	v_fma_f32 v29, v29, v30, |v28|
	s_branch .LBB7_2
.LBB7_78:
	s_endpgm
	.section	.rodata,"a",@progbits
	.p2align	6, 0x0
	.amdhsa_kernel _ZN2at6native12_GLOBAL__N_16kernel17lstm_cell_forwardIfflLi2EEEvNS_4cuda6detail10TensorInfoIT_T1_EES9_S9_S9_S9_S9_S9_S9_S8_S8_
		.amdhsa_group_segment_fixed_size 0
		.amdhsa_private_segment_fixed_size 0
		.amdhsa_kernarg_size 3600
		.amdhsa_user_sgpr_count 2
		.amdhsa_user_sgpr_dispatch_ptr 0
		.amdhsa_user_sgpr_queue_ptr 0
		.amdhsa_user_sgpr_kernarg_segment_ptr 1
		.amdhsa_user_sgpr_dispatch_id 0
		.amdhsa_user_sgpr_private_segment_size 0
		.amdhsa_wavefront_size32 1
		.amdhsa_uses_dynamic_stack 0
		.amdhsa_enable_private_segment 0
		.amdhsa_system_sgpr_workgroup_id_x 1
		.amdhsa_system_sgpr_workgroup_id_y 0
		.amdhsa_system_sgpr_workgroup_id_z 0
		.amdhsa_system_sgpr_workgroup_info 0
		.amdhsa_system_vgpr_workitem_id 0
		.amdhsa_next_free_vgpr 56
		.amdhsa_next_free_sgpr 92
		.amdhsa_reserve_vcc 1
		.amdhsa_float_round_mode_32 0
		.amdhsa_float_round_mode_16_64 0
		.amdhsa_float_denorm_mode_32 3
		.amdhsa_float_denorm_mode_16_64 3
		.amdhsa_fp16_overflow 0
		.amdhsa_workgroup_processor_mode 1
		.amdhsa_memory_ordered 1
		.amdhsa_forward_progress 1
		.amdhsa_inst_pref_size 167
		.amdhsa_round_robin_scheduling 0
		.amdhsa_exception_fp_ieee_invalid_op 0
		.amdhsa_exception_fp_denorm_src 0
		.amdhsa_exception_fp_ieee_div_zero 0
		.amdhsa_exception_fp_ieee_overflow 0
		.amdhsa_exception_fp_ieee_underflow 0
		.amdhsa_exception_fp_ieee_inexact 0
		.amdhsa_exception_int_div_zero 0
	.end_amdhsa_kernel
	.section	.text._ZN2at6native12_GLOBAL__N_16kernel17lstm_cell_forwardIfflLi2EEEvNS_4cuda6detail10TensorInfoIT_T1_EES9_S9_S9_S9_S9_S9_S9_S8_S8_,"axG",@progbits,_ZN2at6native12_GLOBAL__N_16kernel17lstm_cell_forwardIfflLi2EEEvNS_4cuda6detail10TensorInfoIT_T1_EES9_S9_S9_S9_S9_S9_S9_S8_S8_,comdat
.Lfunc_end7:
	.size	_ZN2at6native12_GLOBAL__N_16kernel17lstm_cell_forwardIfflLi2EEEvNS_4cuda6detail10TensorInfoIT_T1_EES9_S9_S9_S9_S9_S9_S9_S8_S8_, .Lfunc_end7-_ZN2at6native12_GLOBAL__N_16kernel17lstm_cell_forwardIfflLi2EEEvNS_4cuda6detail10TensorInfoIT_T1_EES9_S9_S9_S9_S9_S9_S9_S8_S8_
                                        ; -- End function
	.set _ZN2at6native12_GLOBAL__N_16kernel17lstm_cell_forwardIfflLi2EEEvNS_4cuda6detail10TensorInfoIT_T1_EES9_S9_S9_S9_S9_S9_S9_S8_S8_.num_vgpr, 56
	.set _ZN2at6native12_GLOBAL__N_16kernel17lstm_cell_forwardIfflLi2EEEvNS_4cuda6detail10TensorInfoIT_T1_EES9_S9_S9_S9_S9_S9_S9_S8_S8_.num_agpr, 0
	.set _ZN2at6native12_GLOBAL__N_16kernel17lstm_cell_forwardIfflLi2EEEvNS_4cuda6detail10TensorInfoIT_T1_EES9_S9_S9_S9_S9_S9_S9_S8_S8_.numbered_sgpr, 92
	.set _ZN2at6native12_GLOBAL__N_16kernel17lstm_cell_forwardIfflLi2EEEvNS_4cuda6detail10TensorInfoIT_T1_EES9_S9_S9_S9_S9_S9_S9_S8_S8_.num_named_barrier, 0
	.set _ZN2at6native12_GLOBAL__N_16kernel17lstm_cell_forwardIfflLi2EEEvNS_4cuda6detail10TensorInfoIT_T1_EES9_S9_S9_S9_S9_S9_S9_S8_S8_.private_seg_size, 0
	.set _ZN2at6native12_GLOBAL__N_16kernel17lstm_cell_forwardIfflLi2EEEvNS_4cuda6detail10TensorInfoIT_T1_EES9_S9_S9_S9_S9_S9_S9_S8_S8_.uses_vcc, 1
	.set _ZN2at6native12_GLOBAL__N_16kernel17lstm_cell_forwardIfflLi2EEEvNS_4cuda6detail10TensorInfoIT_T1_EES9_S9_S9_S9_S9_S9_S9_S8_S8_.uses_flat_scratch, 0
	.set _ZN2at6native12_GLOBAL__N_16kernel17lstm_cell_forwardIfflLi2EEEvNS_4cuda6detail10TensorInfoIT_T1_EES9_S9_S9_S9_S9_S9_S9_S8_S8_.has_dyn_sized_stack, 0
	.set _ZN2at6native12_GLOBAL__N_16kernel17lstm_cell_forwardIfflLi2EEEvNS_4cuda6detail10TensorInfoIT_T1_EES9_S9_S9_S9_S9_S9_S9_S8_S8_.has_recursion, 0
	.set _ZN2at6native12_GLOBAL__N_16kernel17lstm_cell_forwardIfflLi2EEEvNS_4cuda6detail10TensorInfoIT_T1_EES9_S9_S9_S9_S9_S9_S9_S8_S8_.has_indirect_call, 0
	.section	.AMDGPU.csdata,"",@progbits
; Kernel info:
; codeLenInByte = 21276
; TotalNumSgprs: 94
; NumVgprs: 56
; ScratchSize: 0
; MemoryBound: 0
; FloatMode: 240
; IeeeMode: 1
; LDSByteSize: 0 bytes/workgroup (compile time only)
; SGPRBlocks: 0
; VGPRBlocks: 6
; NumSGPRsForWavesPerEU: 94
; NumVGPRsForWavesPerEU: 56
; Occupancy: 16
; WaveLimiterHint : 1
; COMPUTE_PGM_RSRC2:SCRATCH_EN: 0
; COMPUTE_PGM_RSRC2:USER_SGPR: 2
; COMPUTE_PGM_RSRC2:TRAP_HANDLER: 0
; COMPUTE_PGM_RSRC2:TGID_X_EN: 1
; COMPUTE_PGM_RSRC2:TGID_Y_EN: 0
; COMPUTE_PGM_RSRC2:TGID_Z_EN: 0
; COMPUTE_PGM_RSRC2:TIDIG_COMP_CNT: 0
	.section	.text._ZN2at6native12_GLOBAL__N_16kernel17lstm_cell_forwardIN3c104HalfEfiLi1EEEvNS_4cuda6detail10TensorInfoIT_T1_EESB_SB_SB_SB_SB_SB_SB_SA_SA_,"axG",@progbits,_ZN2at6native12_GLOBAL__N_16kernel17lstm_cell_forwardIN3c104HalfEfiLi1EEEvNS_4cuda6detail10TensorInfoIT_T1_EESB_SB_SB_SB_SB_SB_SB_SA_SA_,comdat
	.globl	_ZN2at6native12_GLOBAL__N_16kernel17lstm_cell_forwardIN3c104HalfEfiLi1EEEvNS_4cuda6detail10TensorInfoIT_T1_EESB_SB_SB_SB_SB_SB_SB_SA_SA_ ; -- Begin function _ZN2at6native12_GLOBAL__N_16kernel17lstm_cell_forwardIN3c104HalfEfiLi1EEEvNS_4cuda6detail10TensorInfoIT_T1_EESB_SB_SB_SB_SB_SB_SB_SA_SA_
	.p2align	8
	.type	_ZN2at6native12_GLOBAL__N_16kernel17lstm_cell_forwardIN3c104HalfEfiLi1EEEvNS_4cuda6detail10TensorInfoIT_T1_EESB_SB_SB_SB_SB_SB_SB_SA_SA_,@function
_ZN2at6native12_GLOBAL__N_16kernel17lstm_cell_forwardIN3c104HalfEfiLi1EEEvNS_4cuda6detail10TensorInfoIT_T1_EESB_SB_SB_SB_SB_SB_SB_SA_SA_: ; @_ZN2at6native12_GLOBAL__N_16kernel17lstm_cell_forwardIN3c104HalfEfiLi1EEEvNS_4cuda6detail10TensorInfoIT_T1_EESB_SB_SB_SB_SB_SB_SB_SA_SA_
; %bb.0:
	s_clause 0x1
	s_load_b32 s4, s[0:1], 0x6d4
	s_load_b64 s[2:3], s[0:1], 0x6c0
	s_wait_kmcnt 0x0
	s_and_b32 s28, s4, 0xffff
	s_mov_b32 s4, exec_lo
	v_mad_co_u64_u32 v[0:1], null, ttmp9, s28, v[0:1]
	s_delay_alu instid0(VALU_DEP_1)
	v_cmpx_gt_i32_e64 s3, v0
	s_cbranch_execz .LBB8_14
; %bb.1:
	s_clause 0x1
	s_load_b64 s[4:5], s[0:1], 0x1b0
	s_load_b32 s34, s[0:1], 0x57c
	s_add_nc_u64 s[8:9], s[0:1], 0x6c8
	s_clause 0x4
	s_load_b32 s20, s[0:1], 0x21c
	s_load_b64 s[6:7], s[0:1], 0x288
	s_load_b32 s21, s[0:1], 0x2f4
	s_load_b32 s31, s[0:1], 0x3cc
	;; [unrolled: 1-line block ×4, first 2 shown]
	s_mov_b32 s26, 0
	s_mul_i32 s27, s2, 3
	s_mov_b32 s36, 0xbbbac73d
	s_wait_kmcnt 0x0
	s_cmp_lg_u64 s[4:5], 0
	v_mul_lo_u32 v5, v0, s34
	s_cselect_b32 s22, -1, 0
	s_abs_i32 s23, s2
	v_mul_lo_u32 v3, v0, s33
	s_cvt_f32_u32 s10, s23
	s_sub_co_i32 s35, 0, s23
	s_mul_i32 s28, s29, s28
	s_ashr_i32 s29, s2, 31
	v_rcp_iflag_f32_e32 v1, s10
	s_clause 0x8
	s_load_b64 s[8:9], s[0:1], 0x360
	s_load_b64 s[10:11], s[0:1], 0x438
	;; [unrolled: 1-line block ×3, first 2 shown]
	s_load_b32 s24, s[0:1], 0x6c
	s_load_b64 s[14:15], s[0:1], 0xd8
	s_load_b32 s25, s[0:1], 0x144
	s_load_b64 s[16:17], s[0:1], 0x510
	s_load_b64 s[18:19], s[0:1], 0x5e8
	s_load_b32 s1, s[0:1], 0x654
	s_sub_co_i32 s30, 0, s2
	s_mul_i32 s33, s28, s33
	s_mul_i32 s34, s28, s34
	v_readfirstlane_b32 s0, v1
	v_mul_lo_u32 v1, v0, s31
	s_mul_i32 s31, s28, s31
	s_mul_f32 s0, s0, 0x4f7ffffe
	s_wait_alu 0xfffe
	s_delay_alu instid0(SALU_CYCLE_2) | instskip(SKIP_1) | instid1(SALU_CYCLE_2)
	s_cvt_u32_f32 s0, s0
	s_wait_alu 0xfffe
	s_mul_i32 s35, s35, s0
	s_wait_alu 0xfffe
	s_mul_hi_u32 s35, s0, s35
	s_wait_alu 0xfffe
	s_add_co_i32 s35, s0, s35
	s_branch .LBB8_3
.LBB8_2:                                ;   in Loop: Header=BB8_3 Depth=1
	s_wait_alu 0xfffe
	s_or_b32 exec_lo, exec_lo, s0
	v_cvt_f32_f16_e32 v4, v4
	v_cvt_f32_f16_e32 v7, v7
	v_cvt_f16_f32_e32 v27, v11
	v_cvt_f16_f32_e32 v26, v14
	v_bfi_b32 v22, 0x7fffffff, v16, v9
	v_cvt_f16_f32_e32 v23, v9
	v_add_f32_e32 v4, v4, v7
	v_cvt_f16_f32_e32 v25, v12
	v_add_nc_u32_e32 v1, s31, v1
	v_add_nc_u32_e32 v0, s28, v0
	s_delay_alu instid0(VALU_DEP_4) | instskip(NEXT) | instid1(VALU_DEP_1)
	v_add_f32_e32 v4, v4, v15
	v_add_f32_e32 v4, v13, v4
	s_delay_alu instid0(VALU_DEP_1) | instskip(NEXT) | instid1(VALU_DEP_1)
	v_mul_f32_e32 v7, 0xbfb8aa3b, v4
	v_fma_f32 v13, 0xbfb8aa3b, v4, -v7
	v_rndne_f32_e32 v15, v7
	s_delay_alu instid0(VALU_DEP_1) | instskip(NEXT) | instid1(VALU_DEP_3)
	v_sub_f32_e32 v7, v7, v15
	v_fmac_f32_e32 v13, 0xb2a5705f, v4
	v_cmp_nlt_f32_e32 vcc_lo, 0x42ce8ed0, v4
	s_delay_alu instid0(VALU_DEP_2) | instskip(SKIP_3) | instid1(VALU_DEP_4)
	v_add_f32_e32 v7, v7, v13
	v_cvt_i32_f32_e32 v13, v15
	v_mul_lo_u32 v15, v6, s1
	v_ashrrev_i32_e32 v6, 31, v5
	v_exp_f32_e32 v7, v7
	s_delay_alu instid0(VALU_DEP_1) | instskip(NEXT) | instid1(VALU_DEP_3)
	v_lshlrev_b64_e32 v[19:20], 1, v[5:6]
	v_ashrrev_i32_e32 v16, 31, v15
	s_delay_alu instid0(TRANS32_DEP_1) | instskip(SKIP_2) | instid1(VALU_DEP_2)
	v_ldexp_f32 v7, v7, v13
	v_mul_lo_u32 v13, v8, s1
	s_wait_alu 0xfffd
	v_cndmask_b32_e32 v7, 0, v7, vcc_lo
	v_cmp_ngt_f32_e32 vcc_lo, 0xc2b17218, v4
	s_delay_alu instid0(VALU_DEP_3) | instskip(SKIP_1) | instid1(VALU_DEP_3)
	v_ashrrev_i32_e32 v14, 31, v13
	s_wait_alu 0xfffd
	v_cndmask_b32_e32 v4, 0x7f800000, v7, vcc_lo
	v_mul_lo_u32 v7, v10, s1
	v_mul_lo_u32 v10, v2, s1
	v_cmp_le_i32_e32 vcc_lo, s3, v0
	s_delay_alu instid0(VALU_DEP_4) | instskip(SKIP_3) | instid1(VALU_DEP_3)
	v_add_f32_e32 v21, 1.0, v4
	v_ashrrev_i32_e32 v4, 31, v3
	s_or_b32 s26, vcc_lo, s26
	v_ashrrev_i32_e32 v8, 31, v7
	v_div_scale_f32 v2, null, v21, v21, 1.0
	s_delay_alu instid0(VALU_DEP_3) | instskip(SKIP_1) | instid1(VALU_DEP_3)
	v_lshlrev_b64_e32 v[17:18], 1, v[3:4]
	v_div_scale_f32 v28, s0, 1.0, v21, 1.0
	v_rcp_f32_e32 v24, v2
	v_ashrrev_i32_e32 v11, 31, v10
	s_delay_alu instid0(VALU_DEP_3)
	v_add_co_u32 v17, vcc_lo, s10, v17
	s_wait_alu 0xfffd
	v_add_co_ci_u32_e64 v18, null, s11, v18, vcc_lo
	v_add_co_u32 v19, vcc_lo, s16, v19
	s_wait_alu 0xfffd
	v_add_co_ci_u32_e64 v20, null, s17, v20, vcc_lo
	s_delay_alu instid0(TRANS32_DEP_1) | instskip(NEXT) | instid1(VALU_DEP_1)
	v_fma_f32 v4, -v2, v24, 1.0
	v_dual_fmac_f32 v24, v4, v24 :: v_dual_add_nc_u32 v3, s33, v3
	s_delay_alu instid0(VALU_DEP_1) | instskip(NEXT) | instid1(VALU_DEP_1)
	v_dual_mul_f32 v4, v28, v24 :: v_dual_add_nc_u32 v5, s34, v5
	v_fma_f32 v6, -v2, v4, v28
	s_delay_alu instid0(VALU_DEP_1)
	v_fmac_f32_e32 v4, v6, v24
	v_lshlrev_b64_e32 v[6:7], 1, v[7:8]
	v_lshlrev_b64_e32 v[8:9], 1, v[10:11]
	;; [unrolled: 1-line block ×4, first 2 shown]
	v_fma_f32 v2, -v2, v4, v28
	v_add_co_u32 v6, vcc_lo, s18, v6
	s_wait_alu 0xfffd
	v_add_co_ci_u32_e64 v7, null, s19, v7, vcc_lo
	s_mov_b32 vcc_lo, s0
	s_wait_alu 0xfffe
	v_div_fmas_f32 v2, v2, v24, v4
	v_add_co_u32 v8, vcc_lo, s18, v8
	s_wait_alu 0xfffd
	v_add_co_ci_u32_e64 v9, null, s19, v9, vcc_lo
	s_delay_alu instid0(VALU_DEP_3) | instskip(SKIP_3) | instid1(VALU_DEP_3)
	v_div_fixup_f32 v2, v2, v21, 1.0
	v_add_co_u32 v10, vcc_lo, s18, v10
	s_wait_alu 0xfffd
	v_add_co_ci_u32_e64 v11, null, s19, v11, vcc_lo
	v_fma_mixlo_f16 v4, v2, v22, 0
	v_add_co_u32 v12, vcc_lo, s18, v12
	s_wait_alu 0xfffd
	v_add_co_ci_u32_e64 v13, null, s19, v13, vcc_lo
	v_cvt_f16_f32_e32 v2, v2
	global_store_b16 v[17:18], v4, off
	global_store_b16 v[19:20], v23, off
	s_clause 0x3
	global_store_b16 v[6:7], v25, off
	global_store_b16 v[8:9], v26, off
	;; [unrolled: 1-line block ×4, first 2 shown]
	s_and_not1_b32 exec_lo, exec_lo, s26
	s_cbranch_execz .LBB8_14
.LBB8_3:                                ; =>This Inner Loop Header: Depth=1
	v_sub_nc_u32_e32 v2, 0, v0
	s_delay_alu instid0(VALU_DEP_1) | instskip(SKIP_1) | instid1(VALU_DEP_1)
	v_max_i32_e32 v2, v0, v2
	s_wait_alu 0xfffe
	v_mul_hi_u32 v4, v2, s35
	s_delay_alu instid0(VALU_DEP_1) | instskip(NEXT) | instid1(VALU_DEP_1)
	v_mul_lo_u32 v6, v4, s23
	v_sub_nc_u32_e32 v2, v2, v6
	v_add_nc_u32_e32 v6, 1, v4
	s_delay_alu instid0(VALU_DEP_2) | instskip(SKIP_2) | instid1(VALU_DEP_3)
	v_subrev_nc_u32_e32 v7, s23, v2
	v_cmp_le_u32_e32 vcc_lo, s23, v2
	s_wait_alu 0xfffd
	v_cndmask_b32_e32 v4, v4, v6, vcc_lo
	s_delay_alu instid0(VALU_DEP_3) | instskip(SKIP_1) | instid1(VALU_DEP_3)
	v_cndmask_b32_e32 v2, v2, v7, vcc_lo
	v_ashrrev_i32_e32 v6, 31, v0
	v_add_nc_u32_e32 v7, 1, v4
	s_delay_alu instid0(VALU_DEP_3) | instskip(NEXT) | instid1(VALU_DEP_3)
	v_cmp_le_u32_e32 vcc_lo, s23, v2
	v_xor_b32_e32 v13, s29, v6
	s_wait_alu 0xfffd
	s_delay_alu instid0(VALU_DEP_3) | instskip(NEXT) | instid1(VALU_DEP_2)
	v_cndmask_b32_e32 v2, v4, v7, vcc_lo
	v_mul_i32_i24_e32 v4, 3, v13
	s_delay_alu instid0(VALU_DEP_2) | instskip(SKIP_1) | instid1(VALU_DEP_2)
	v_xor_b32_e32 v15, v2, v13
	v_ashrrev_i32_e32 v2, 31, v1
	v_lshl_add_u32 v6, v15, 1, v15
	v_sub_nc_u32_e32 v19, v15, v13
	s_delay_alu instid0(VALU_DEP_2) | instskip(NEXT) | instid1(VALU_DEP_2)
	v_sub_nc_u32_e32 v4, v6, v4
	v_mad_co_u64_u32 v[10:11], null, s27, v19, v[0:1]
	v_lshlrev_b64_e32 v[11:12], 1, v[1:2]
	s_delay_alu instid0(VALU_DEP_3)
	v_mul_lo_u32 v2, s2, v4
	v_add_nc_u32_e32 v6, 2, v4
	v_add_nc_u32_e32 v4, 3, v4
	s_wait_kmcnt 0x0
	v_mul_lo_u32 v16, v10, s24
	v_mul_lo_u32 v20, v10, s25
	v_mad_co_u64_u32 v[8:9], null, s2, v6, v[0:1]
	v_add3_u32 v2, v2, s2, v0
	v_mad_co_u64_u32 v[6:7], null, s2, v4, v[0:1]
	v_add_co_u32 v22, vcc_lo, s8, v11
	s_delay_alu instid0(VALU_DEP_3)
	v_mul_lo_u32 v11, v2, s24
	v_mul_lo_u32 v24, v8, s24
	v_ashrrev_i32_e32 v17, 31, v16
	v_ashrrev_i32_e32 v21, 31, v20
	v_mul_lo_u32 v26, v6, s24
	v_mul_lo_u32 v28, v2, s25
	s_wait_alu 0xfffd
	v_add_co_ci_u32_e64 v23, null, s9, v12, vcc_lo
	v_mul_lo_u32 v30, v8, s25
	v_ashrrev_i32_e32 v12, 31, v11
	v_lshlrev_b64_e32 v[16:17], 1, v[16:17]
	v_mul_lo_u32 v32, v6, s25
	v_ashrrev_i32_e32 v25, 31, v24
	v_lshlrev_b64_e32 v[20:21], 1, v[20:21]
	v_ashrrev_i32_e32 v27, 31, v26
	v_lshlrev_b64_e32 v[11:12], 1, v[11:12]
	v_ashrrev_i32_e32 v29, 31, v28
	v_add_co_u32 v16, vcc_lo, s12, v16
	v_lshlrev_b64_e32 v[24:25], 1, v[24:25]
	v_ashrrev_i32_e32 v31, 31, v30
	s_wait_alu 0xfffd
	v_add_co_ci_u32_e64 v17, null, s13, v17, vcc_lo
	v_add_co_u32 v20, vcc_lo, s14, v20
	v_lshlrev_b64_e32 v[26:27], 1, v[26:27]
	v_ashrrev_i32_e32 v33, 31, v32
	s_wait_alu 0xfffd
	v_add_co_ci_u32_e64 v21, null, s15, v21, vcc_lo
	v_lshlrev_b64_e32 v[28:29], 1, v[28:29]
	v_add_co_u32 v11, vcc_lo, s12, v11
	v_lshlrev_b64_e32 v[30:31], 1, v[30:31]
	s_wait_alu 0xfffd
	v_add_co_ci_u32_e64 v12, null, s13, v12, vcc_lo
	v_add_co_u32 v24, vcc_lo, s12, v24
	v_lshlrev_b64_e32 v[32:33], 1, v[32:33]
	s_wait_alu 0xfffd
	v_add_co_ci_u32_e64 v25, null, s13, v25, vcc_lo
	v_add_co_u32 v26, vcc_lo, s12, v26
	s_wait_alu 0xfffd
	v_add_co_ci_u32_e64 v27, null, s13, v27, vcc_lo
	v_add_co_u32 v28, vcc_lo, s14, v28
	;; [unrolled: 3-line block ×4, first 2 shown]
	s_wait_alu 0xfffd
	v_add_co_ci_u32_e64 v33, null, s15, v33, vcc_lo
	s_clause 0x3
	global_load_u16 v14, v[16:17], off
	global_load_u16 v11, v[11:12], off
	;; [unrolled: 1-line block ×4, first 2 shown]
	s_clause 0x3
	global_load_u16 v16, v[20:21], off
	global_load_u16 v12, v[28:29], off
	;; [unrolled: 1-line block ×5, first 2 shown]
	s_and_not1_b32 vcc_lo, exec_lo, s22
	s_wait_alu 0xfffe
	s_cbranch_vccnz .LBB8_5
; %bb.4:                                ;   in Loop: Header=BB8_3 Depth=1
	v_sub_nc_u32_e32 v13, v13, v15
	v_mad_co_u64_u32 v[19:20], null, s30, v19, v[0:1]
	s_delay_alu instid0(VALU_DEP_2) | instskip(SKIP_2) | instid1(VALU_DEP_4)
	v_mul_lo_u32 v15, s2, v13
	v_add_nc_u32_e32 v21, 2, v13
	v_add_nc_u32_e32 v13, 3, v13
	v_mul_lo_u32 v20, v19, s20
	v_mul_lo_u32 v22, v19, s21
	s_delay_alu instid0(VALU_DEP_4) | instskip(NEXT) | instid1(VALU_DEP_4)
	v_mad_co_u64_u32 v[24:25], null, s2, v21, v[0:1]
	v_mad_co_u64_u32 v[25:26], null, s2, v13, v[0:1]
	v_add3_u32 v13, v15, s2, v0
	v_ashrrev_i32_e32 v21, 31, v20
	v_ashrrev_i32_e32 v23, 31, v22
	v_mul_lo_u32 v26, v24, s20
	s_delay_alu instid0(VALU_DEP_4)
	v_mul_lo_u32 v19, v13, s20
	v_mul_lo_u32 v28, v25, s20
	v_lshlrev_b64_e32 v[32:33], 1, v[20:21]
	v_mul_lo_u32 v30, v13, s21
	v_mul_lo_u32 v24, v24, s21
	v_lshlrev_b64_e32 v[21:22], 1, v[22:23]
	v_mul_lo_u32 v23, v25, s21
	v_ashrrev_i32_e32 v27, 31, v26
	v_ashrrev_i32_e32 v20, 31, v19
	v_add_co_u32 v32, vcc_lo, s4, v32
	s_wait_alu 0xfffd
	v_add_co_ci_u32_e64 v33, null, s5, v33, vcc_lo
	s_delay_alu instid0(VALU_DEP_3)
	v_lshlrev_b64_e32 v[19:20], 1, v[19:20]
	v_lshlrev_b64_e32 v[26:27], 1, v[26:27]
	v_ashrrev_i32_e32 v29, 31, v28
	v_ashrrev_i32_e32 v31, 31, v30
	;; [unrolled: 1-line block ×3, first 2 shown]
	v_add_co_u32 v19, vcc_lo, s4, v19
	s_wait_alu 0xfffd
	v_add_co_ci_u32_e64 v20, null, s5, v20, vcc_lo
	v_add_co_u32 v26, vcc_lo, s4, v26
	s_wait_alu 0xfffd
	v_add_co_ci_u32_e64 v27, null, s5, v27, vcc_lo
	s_clause 0x1
	global_load_u16 v13, v[32:33], off
	global_load_u16 v15, v[19:20], off
	v_add_co_u32 v19, vcc_lo, s6, v21
	s_wait_alu 0xfffd
	v_add_co_ci_u32_e64 v20, null, s7, v22, vcc_lo
	v_lshlrev_b64_e32 v[28:29], 1, v[28:29]
	v_lshlrev_b64_e32 v[21:22], 1, v[30:31]
	global_load_u16 v30, v[19:20], off
	v_lshlrev_b64_e32 v[19:20], 1, v[24:25]
	v_ashrrev_i32_e32 v24, 31, v23
	v_add_co_u32 v28, vcc_lo, s4, v28
	s_wait_alu 0xfffd
	v_add_co_ci_u32_e64 v29, null, s5, v29, vcc_lo
	s_delay_alu instid0(VALU_DEP_3)
	v_lshlrev_b64_e32 v[23:24], 1, v[23:24]
	v_add_co_u32 v21, vcc_lo, s6, v21
	s_wait_alu 0xfffd
	v_add_co_ci_u32_e64 v22, null, s7, v22, vcc_lo
	v_add_co_u32 v19, vcc_lo, s6, v19
	s_wait_alu 0xfffd
	v_add_co_ci_u32_e64 v20, null, s7, v20, vcc_lo
	;; [unrolled: 3-line block ×3, first 2 shown]
	global_load_u16 v25, v[21:22], off
	global_load_u16 v26, v[26:27], off
	;; [unrolled: 1-line block ×5, first 2 shown]
	s_wait_loadcnt 0x7
	v_cvt_f32_f16_e32 v22, v13
	s_wait_loadcnt 0x6
	v_cvt_f32_f16_e32 v21, v15
	s_wait_loadcnt 0x5
	v_cvt_f32_f16_e32 v20, v30
	s_wait_loadcnt 0x4
	v_cvt_f32_f16_e32 v19, v25
	s_wait_loadcnt 0x3
	v_cvt_f32_f16_e32 v24, v26
	s_wait_loadcnt 0x2
	v_cvt_f32_f16_e32 v23, v27
	s_wait_loadcnt 0x1
	v_cvt_f32_f16_e32 v15, v28
	s_wait_loadcnt 0x0
	v_cvt_f32_f16_e32 v13, v29
	s_branch .LBB8_6
.LBB8_5:                                ;   in Loop: Header=BB8_3 Depth=1
	v_dual_mov_b32 v13, 0 :: v_dual_mov_b32 v20, 0
	v_dual_mov_b32 v23, 0 :: v_dual_mov_b32 v24, 0
	;; [unrolled: 1-line block ×3, first 2 shown]
	v_mov_b32_e32 v15, 0
	v_mov_b32_e32 v21, 0
.LBB8_6:                                ;   in Loop: Header=BB8_3 Depth=1
	s_wait_loadcnt 0x6
	v_cvt_f32_f16_e32 v17, v17
	s_wait_loadcnt 0x2
	v_cvt_f32_f16_e32 v18, v18
	s_delay_alu instid0(VALU_DEP_1) | instskip(NEXT) | instid1(VALU_DEP_1)
	v_add_f32_e32 v17, v17, v18
                                        ; implicit-def: $vgpr18
	v_add_f32_e32 v17, v17, v24
	s_delay_alu instid0(VALU_DEP_1) | instskip(NEXT) | instid1(VALU_DEP_1)
	v_add_f32_e32 v17, v23, v17
	v_cmp_ngt_f32_e64 s0, 0x3f200000, |v17|
	s_and_saveexec_b32 s37, s0
	s_wait_alu 0xfffe
	s_xor_b32 s0, exec_lo, s37
	s_cbranch_execz .LBB8_8
; %bb.7:                                ;   in Loop: Header=BB8_3 Depth=1
	v_add_f32_e64 v18, |v17|, |v17|
	s_delay_alu instid0(VALU_DEP_1) | instskip(SKIP_1) | instid1(VALU_DEP_2)
	v_mul_f32_e32 v23, 0x3fb8aa3b, v18
	v_cmp_ngt_f32_e32 vcc_lo, 0xc2ce8ed0, v18
	v_rndne_f32_e32 v24, v23
	v_fma_f32 v25, 0x3fb8aa3b, v18, -v23
	s_delay_alu instid0(VALU_DEP_2) | instskip(NEXT) | instid1(VALU_DEP_2)
	v_sub_f32_e32 v23, v23, v24
	v_fmac_f32_e32 v25, 0x32a5705f, v18
	v_cvt_i32_f32_e32 v24, v24
	s_delay_alu instid0(VALU_DEP_2) | instskip(NEXT) | instid1(VALU_DEP_1)
	v_add_f32_e32 v23, v23, v25
	v_exp_f32_e32 v23, v23
	s_delay_alu instid0(TRANS32_DEP_1) | instskip(SKIP_1) | instid1(VALU_DEP_1)
	v_ldexp_f32 v23, v23, v24
	s_wait_alu 0xfffd
	v_cndmask_b32_e32 v23, 0, v23, vcc_lo
	v_cmp_nlt_f32_e32 vcc_lo, 0x42b17218, v18
	s_wait_alu 0xfffd
	s_delay_alu instid0(VALU_DEP_2) | instskip(NEXT) | instid1(VALU_DEP_1)
	v_cndmask_b32_e32 v18, 0x7f800000, v23, vcc_lo
	v_add_f32_e32 v18, 1.0, v18
	s_delay_alu instid0(VALU_DEP_1) | instskip(NEXT) | instid1(TRANS32_DEP_1)
	v_rcp_f32_e32 v18, v18
	v_fma_f32 v18, v18, -2.0, 1.0
.LBB8_8:                                ;   in Loop: Header=BB8_3 Depth=1
	s_wait_alu 0xfffe
	s_and_not1_saveexec_b32 s0, s0
	s_cbranch_execz .LBB8_10
; %bb.9:                                ;   in Loop: Header=BB8_3 Depth=1
	v_mul_f32_e32 v18, v17, v17
	s_delay_alu instid0(VALU_DEP_1) | instskip(NEXT) | instid1(VALU_DEP_1)
	v_fmaak_f32 v23, s36, v18, 0x3ca908c9
	v_fmaak_f32 v23, v18, v23, 0xbd5c1c4e
	s_delay_alu instid0(VALU_DEP_1) | instskip(NEXT) | instid1(VALU_DEP_1)
	v_fmaak_f32 v23, v18, v23, 0x3e088382
	v_fmaak_f32 v23, v18, v23, 0xbeaaaa99
	s_delay_alu instid0(VALU_DEP_1) | instskip(NEXT) | instid1(VALU_DEP_1)
	v_mul_f32_e64 v23, |v17|, v23
	v_fma_f32 v18, v18, v23, |v17|
.LBB8_10:                               ;   in Loop: Header=BB8_3 Depth=1
	s_wait_alu 0xfffe
	s_or_b32 exec_lo, exec_lo, s0
	v_cvt_f32_f16_e32 v14, v14
	v_cvt_f32_f16_e32 v16, v16
	;; [unrolled: 1-line block ×4, first 2 shown]
	s_delay_alu instid0(VALU_DEP_1) | instskip(NEXT) | instid1(VALU_DEP_1)
	v_add_f32_e32 v11, v11, v12
	v_dual_add_f32 v14, v14, v16 :: v_dual_add_f32 v11, v11, v21
	s_delay_alu instid0(VALU_DEP_1) | instskip(NEXT) | instid1(VALU_DEP_1)
	v_dual_add_f32 v12, v14, v22 :: v_dual_add_f32 v11, v19, v11
	v_add_f32_e32 v12, v20, v12
	s_delay_alu instid0(VALU_DEP_2) | instskip(NEXT) | instid1(VALU_DEP_2)
	v_mul_f32_e32 v16, 0xbfb8aa3b, v11
	v_mul_f32_e32 v14, 0xbfb8aa3b, v12
	v_cmp_nlt_f32_e32 vcc_lo, 0x42ce8ed0, v12
	s_delay_alu instid0(VALU_DEP_3) | instskip(NEXT) | instid1(VALU_DEP_3)
	v_fma_f32 v21, 0xbfb8aa3b, v11, -v16
	v_fma_f32 v19, 0xbfb8aa3b, v12, -v14
	v_rndne_f32_e32 v20, v14
	v_rndne_f32_e32 v22, v16
	s_delay_alu instid0(VALU_DEP_4) | instskip(NEXT) | instid1(VALU_DEP_4)
	v_fmac_f32_e32 v21, 0xb2a5705f, v11
	v_fmac_f32_e32 v19, 0xb2a5705f, v12
	s_delay_alu instid0(VALU_DEP_4) | instskip(NEXT) | instid1(VALU_DEP_4)
	v_sub_f32_e32 v14, v14, v20
	v_sub_f32_e32 v16, v16, v22
	s_delay_alu instid0(VALU_DEP_2) | instskip(NEXT) | instid1(VALU_DEP_2)
	v_add_f32_e32 v14, v14, v19
	v_add_f32_e32 v16, v16, v21
	v_cvt_i32_f32_e32 v19, v20
	v_cvt_i32_f32_e32 v20, v22
	s_delay_alu instid0(VALU_DEP_4) | instskip(NEXT) | instid1(VALU_DEP_3)
	v_exp_f32_e32 v14, v14
	v_exp_f32_e32 v16, v16
	s_delay_alu instid0(TRANS32_DEP_2) | instskip(NEXT) | instid1(TRANS32_DEP_1)
	v_ldexp_f32 v14, v14, v19
	v_ldexp_f32 v16, v16, v20
	s_wait_alu 0xfffd
	s_delay_alu instid0(VALU_DEP_2)
	v_cndmask_b32_e32 v14, 0, v14, vcc_lo
	v_cmp_nlt_f32_e32 vcc_lo, 0x42ce8ed0, v11
	s_wait_alu 0xfffd
	v_cndmask_b32_e32 v16, 0, v16, vcc_lo
	v_cmp_ngt_f32_e32 vcc_lo, 0xc2b17218, v12
	s_wait_alu 0xfffd
	v_cndmask_b32_e32 v12, 0x7f800000, v14, vcc_lo
	v_cmp_ngt_f32_e32 vcc_lo, 0xc2b17218, v11
	s_delay_alu instid0(VALU_DEP_2) | instskip(SKIP_2) | instid1(VALU_DEP_2)
	v_add_f32_e32 v12, 1.0, v12
	s_wait_alu 0xfffd
	v_cndmask_b32_e32 v11, 0x7f800000, v16, vcc_lo
	v_div_scale_f32 v23, vcc_lo, 1.0, v12, 1.0
	s_delay_alu instid0(VALU_DEP_2) | instskip(SKIP_1) | instid1(VALU_DEP_2)
	v_add_f32_e32 v14, 1.0, v11
	v_div_scale_f32 v11, null, v12, v12, 1.0
	v_div_scale_f32 v16, null, v14, v14, 1.0
	s_delay_alu instid0(VALU_DEP_2) | instskip(NEXT) | instid1(VALU_DEP_1)
	v_rcp_f32_e32 v19, v11
	v_rcp_f32_e32 v20, v16
	s_delay_alu instid0(TRANS32_DEP_2) | instskip(NEXT) | instid1(TRANS32_DEP_1)
	v_fma_f32 v21, -v11, v19, 1.0
	v_fma_f32 v22, -v16, v20, 1.0
	s_delay_alu instid0(VALU_DEP_2) | instskip(SKIP_1) | instid1(VALU_DEP_3)
	v_fmac_f32_e32 v19, v21, v19
	v_div_scale_f32 v21, s0, 1.0, v14, 1.0
	v_fmac_f32_e32 v20, v22, v20
	s_delay_alu instid0(VALU_DEP_3) | instskip(NEXT) | instid1(VALU_DEP_2)
	v_mul_f32_e32 v22, v23, v19
	v_mul_f32_e32 v24, v21, v20
	s_delay_alu instid0(VALU_DEP_2) | instskip(NEXT) | instid1(VALU_DEP_2)
	v_fma_f32 v25, -v11, v22, v23
	v_fma_f32 v26, -v16, v24, v21
	s_delay_alu instid0(VALU_DEP_2) | instskip(NEXT) | instid1(VALU_DEP_2)
	v_fmac_f32_e32 v22, v25, v19
	v_fmac_f32_e32 v24, v26, v20
	s_delay_alu instid0(VALU_DEP_2) | instskip(NEXT) | instid1(VALU_DEP_2)
	v_fma_f32 v11, -v11, v22, v23
	v_fma_f32 v16, -v16, v24, v21
	s_wait_alu 0xfffd
	s_delay_alu instid0(VALU_DEP_2) | instskip(SKIP_3) | instid1(VALU_DEP_2)
	v_div_fmas_f32 v11, v11, v19, v22
	s_mov_b32 vcc_lo, s0
	s_wait_alu 0xfffe
	v_div_fmas_f32 v16, v16, v20, v24
	v_div_fixup_f32 v12, v11, v12, 1.0
	v_bfi_b32 v11, 0x7fffffff, v18, v17
	s_delay_alu instid0(VALU_DEP_3) | instskip(NEXT) | instid1(VALU_DEP_2)
	v_div_fixup_f32 v14, v16, v14, 1.0
	v_mul_f32_e32 v16, v12, v11
	s_wait_loadcnt 0x0
	s_delay_alu instid0(VALU_DEP_1) | instskip(NEXT) | instid1(VALU_DEP_1)
	v_fma_mix_f32 v9, v14, v9, v16 op_sel_hi:[0,1,0]
                                        ; implicit-def: $vgpr16
	v_cmp_ngt_f32_e64 s0, 0x3f200000, |v9|
	s_and_saveexec_b32 s37, s0
	s_wait_alu 0xfffe
	s_xor_b32 s0, exec_lo, s37
	s_cbranch_execz .LBB8_12
; %bb.11:                               ;   in Loop: Header=BB8_3 Depth=1
	v_add_f32_e64 v16, |v9|, |v9|
	s_delay_alu instid0(VALU_DEP_1) | instskip(SKIP_1) | instid1(VALU_DEP_2)
	v_mul_f32_e32 v17, 0x3fb8aa3b, v16
	v_cmp_ngt_f32_e32 vcc_lo, 0xc2ce8ed0, v16
	v_rndne_f32_e32 v18, v17
	v_fma_f32 v19, 0x3fb8aa3b, v16, -v17
	s_delay_alu instid0(VALU_DEP_2) | instskip(NEXT) | instid1(VALU_DEP_2)
	v_sub_f32_e32 v17, v17, v18
	v_fmac_f32_e32 v19, 0x32a5705f, v16
	v_cvt_i32_f32_e32 v18, v18
	s_delay_alu instid0(VALU_DEP_2) | instskip(NEXT) | instid1(VALU_DEP_1)
	v_add_f32_e32 v17, v17, v19
	v_exp_f32_e32 v17, v17
	s_delay_alu instid0(TRANS32_DEP_1) | instskip(SKIP_1) | instid1(VALU_DEP_1)
	v_ldexp_f32 v17, v17, v18
	s_wait_alu 0xfffd
	v_cndmask_b32_e32 v17, 0, v17, vcc_lo
	v_cmp_nlt_f32_e32 vcc_lo, 0x42b17218, v16
	s_wait_alu 0xfffd
	s_delay_alu instid0(VALU_DEP_2) | instskip(NEXT) | instid1(VALU_DEP_1)
	v_cndmask_b32_e32 v16, 0x7f800000, v17, vcc_lo
	v_add_f32_e32 v16, 1.0, v16
	s_delay_alu instid0(VALU_DEP_1) | instskip(NEXT) | instid1(TRANS32_DEP_1)
	v_rcp_f32_e32 v16, v16
	v_fma_f32 v16, v16, -2.0, 1.0
.LBB8_12:                               ;   in Loop: Header=BB8_3 Depth=1
	s_wait_alu 0xfffe
	s_and_not1_saveexec_b32 s0, s0
	s_cbranch_execz .LBB8_2
; %bb.13:                               ;   in Loop: Header=BB8_3 Depth=1
	v_mul_f32_e32 v16, v9, v9
	s_delay_alu instid0(VALU_DEP_1) | instskip(NEXT) | instid1(VALU_DEP_1)
	v_fmaak_f32 v17, s36, v16, 0x3ca908c9
	v_fmaak_f32 v17, v16, v17, 0xbd5c1c4e
	s_delay_alu instid0(VALU_DEP_1) | instskip(NEXT) | instid1(VALU_DEP_1)
	v_fmaak_f32 v17, v16, v17, 0x3e088382
	v_fmaak_f32 v17, v16, v17, 0xbeaaaa99
	s_delay_alu instid0(VALU_DEP_1) | instskip(NEXT) | instid1(VALU_DEP_1)
	v_mul_f32_e64 v17, |v9|, v17
	v_fma_f32 v16, v16, v17, |v9|
	s_branch .LBB8_2
.LBB8_14:
	s_endpgm
	.section	.rodata,"a",@progbits
	.p2align	6, 0x0
	.amdhsa_kernel _ZN2at6native12_GLOBAL__N_16kernel17lstm_cell_forwardIN3c104HalfEfiLi1EEEvNS_4cuda6detail10TensorInfoIT_T1_EESB_SB_SB_SB_SB_SB_SB_SA_SA_
		.amdhsa_group_segment_fixed_size 0
		.amdhsa_private_segment_fixed_size 0
		.amdhsa_kernarg_size 1992
		.amdhsa_user_sgpr_count 2
		.amdhsa_user_sgpr_dispatch_ptr 0
		.amdhsa_user_sgpr_queue_ptr 0
		.amdhsa_user_sgpr_kernarg_segment_ptr 1
		.amdhsa_user_sgpr_dispatch_id 0
		.amdhsa_user_sgpr_private_segment_size 0
		.amdhsa_wavefront_size32 1
		.amdhsa_uses_dynamic_stack 0
		.amdhsa_enable_private_segment 0
		.amdhsa_system_sgpr_workgroup_id_x 1
		.amdhsa_system_sgpr_workgroup_id_y 0
		.amdhsa_system_sgpr_workgroup_id_z 0
		.amdhsa_system_sgpr_workgroup_info 0
		.amdhsa_system_vgpr_workitem_id 0
		.amdhsa_next_free_vgpr 34
		.amdhsa_next_free_sgpr 38
		.amdhsa_reserve_vcc 1
		.amdhsa_float_round_mode_32 0
		.amdhsa_float_round_mode_16_64 0
		.amdhsa_float_denorm_mode_32 3
		.amdhsa_float_denorm_mode_16_64 3
		.amdhsa_fp16_overflow 0
		.amdhsa_workgroup_processor_mode 1
		.amdhsa_memory_ordered 1
		.amdhsa_forward_progress 1
		.amdhsa_inst_pref_size 26
		.amdhsa_round_robin_scheduling 0
		.amdhsa_exception_fp_ieee_invalid_op 0
		.amdhsa_exception_fp_denorm_src 0
		.amdhsa_exception_fp_ieee_div_zero 0
		.amdhsa_exception_fp_ieee_overflow 0
		.amdhsa_exception_fp_ieee_underflow 0
		.amdhsa_exception_fp_ieee_inexact 0
		.amdhsa_exception_int_div_zero 0
	.end_amdhsa_kernel
	.section	.text._ZN2at6native12_GLOBAL__N_16kernel17lstm_cell_forwardIN3c104HalfEfiLi1EEEvNS_4cuda6detail10TensorInfoIT_T1_EESB_SB_SB_SB_SB_SB_SB_SA_SA_,"axG",@progbits,_ZN2at6native12_GLOBAL__N_16kernel17lstm_cell_forwardIN3c104HalfEfiLi1EEEvNS_4cuda6detail10TensorInfoIT_T1_EESB_SB_SB_SB_SB_SB_SB_SA_SA_,comdat
.Lfunc_end8:
	.size	_ZN2at6native12_GLOBAL__N_16kernel17lstm_cell_forwardIN3c104HalfEfiLi1EEEvNS_4cuda6detail10TensorInfoIT_T1_EESB_SB_SB_SB_SB_SB_SB_SA_SA_, .Lfunc_end8-_ZN2at6native12_GLOBAL__N_16kernel17lstm_cell_forwardIN3c104HalfEfiLi1EEEvNS_4cuda6detail10TensorInfoIT_T1_EESB_SB_SB_SB_SB_SB_SB_SA_SA_
                                        ; -- End function
	.set _ZN2at6native12_GLOBAL__N_16kernel17lstm_cell_forwardIN3c104HalfEfiLi1EEEvNS_4cuda6detail10TensorInfoIT_T1_EESB_SB_SB_SB_SB_SB_SB_SA_SA_.num_vgpr, 34
	.set _ZN2at6native12_GLOBAL__N_16kernel17lstm_cell_forwardIN3c104HalfEfiLi1EEEvNS_4cuda6detail10TensorInfoIT_T1_EESB_SB_SB_SB_SB_SB_SB_SA_SA_.num_agpr, 0
	.set _ZN2at6native12_GLOBAL__N_16kernel17lstm_cell_forwardIN3c104HalfEfiLi1EEEvNS_4cuda6detail10TensorInfoIT_T1_EESB_SB_SB_SB_SB_SB_SB_SA_SA_.numbered_sgpr, 38
	.set _ZN2at6native12_GLOBAL__N_16kernel17lstm_cell_forwardIN3c104HalfEfiLi1EEEvNS_4cuda6detail10TensorInfoIT_T1_EESB_SB_SB_SB_SB_SB_SB_SA_SA_.num_named_barrier, 0
	.set _ZN2at6native12_GLOBAL__N_16kernel17lstm_cell_forwardIN3c104HalfEfiLi1EEEvNS_4cuda6detail10TensorInfoIT_T1_EESB_SB_SB_SB_SB_SB_SB_SA_SA_.private_seg_size, 0
	.set _ZN2at6native12_GLOBAL__N_16kernel17lstm_cell_forwardIN3c104HalfEfiLi1EEEvNS_4cuda6detail10TensorInfoIT_T1_EESB_SB_SB_SB_SB_SB_SB_SA_SA_.uses_vcc, 1
	.set _ZN2at6native12_GLOBAL__N_16kernel17lstm_cell_forwardIN3c104HalfEfiLi1EEEvNS_4cuda6detail10TensorInfoIT_T1_EESB_SB_SB_SB_SB_SB_SB_SA_SA_.uses_flat_scratch, 0
	.set _ZN2at6native12_GLOBAL__N_16kernel17lstm_cell_forwardIN3c104HalfEfiLi1EEEvNS_4cuda6detail10TensorInfoIT_T1_EESB_SB_SB_SB_SB_SB_SB_SA_SA_.has_dyn_sized_stack, 0
	.set _ZN2at6native12_GLOBAL__N_16kernel17lstm_cell_forwardIN3c104HalfEfiLi1EEEvNS_4cuda6detail10TensorInfoIT_T1_EESB_SB_SB_SB_SB_SB_SB_SA_SA_.has_recursion, 0
	.set _ZN2at6native12_GLOBAL__N_16kernel17lstm_cell_forwardIN3c104HalfEfiLi1EEEvNS_4cuda6detail10TensorInfoIT_T1_EESB_SB_SB_SB_SB_SB_SB_SA_SA_.has_indirect_call, 0
	.section	.AMDGPU.csdata,"",@progbits
; Kernel info:
; codeLenInByte = 3212
; TotalNumSgprs: 40
; NumVgprs: 34
; ScratchSize: 0
; MemoryBound: 0
; FloatMode: 240
; IeeeMode: 1
; LDSByteSize: 0 bytes/workgroup (compile time only)
; SGPRBlocks: 0
; VGPRBlocks: 4
; NumSGPRsForWavesPerEU: 40
; NumVGPRsForWavesPerEU: 34
; Occupancy: 16
; WaveLimiterHint : 1
; COMPUTE_PGM_RSRC2:SCRATCH_EN: 0
; COMPUTE_PGM_RSRC2:USER_SGPR: 2
; COMPUTE_PGM_RSRC2:TRAP_HANDLER: 0
; COMPUTE_PGM_RSRC2:TGID_X_EN: 1
; COMPUTE_PGM_RSRC2:TGID_Y_EN: 0
; COMPUTE_PGM_RSRC2:TGID_Z_EN: 0
; COMPUTE_PGM_RSRC2:TIDIG_COMP_CNT: 0
	.section	.text._ZN2at6native12_GLOBAL__N_16kernel17lstm_cell_forwardIN3c104HalfEfiLi2EEEvNS_4cuda6detail10TensorInfoIT_T1_EESB_SB_SB_SB_SB_SB_SB_SA_SA_,"axG",@progbits,_ZN2at6native12_GLOBAL__N_16kernel17lstm_cell_forwardIN3c104HalfEfiLi2EEEvNS_4cuda6detail10TensorInfoIT_T1_EESB_SB_SB_SB_SB_SB_SB_SA_SA_,comdat
	.globl	_ZN2at6native12_GLOBAL__N_16kernel17lstm_cell_forwardIN3c104HalfEfiLi2EEEvNS_4cuda6detail10TensorInfoIT_T1_EESB_SB_SB_SB_SB_SB_SB_SA_SA_ ; -- Begin function _ZN2at6native12_GLOBAL__N_16kernel17lstm_cell_forwardIN3c104HalfEfiLi2EEEvNS_4cuda6detail10TensorInfoIT_T1_EESB_SB_SB_SB_SB_SB_SB_SA_SA_
	.p2align	8
	.type	_ZN2at6native12_GLOBAL__N_16kernel17lstm_cell_forwardIN3c104HalfEfiLi2EEEvNS_4cuda6detail10TensorInfoIT_T1_EESB_SB_SB_SB_SB_SB_SB_SA_SA_,@function
_ZN2at6native12_GLOBAL__N_16kernel17lstm_cell_forwardIN3c104HalfEfiLi2EEEvNS_4cuda6detail10TensorInfoIT_T1_EESB_SB_SB_SB_SB_SB_SB_SA_SA_: ; @_ZN2at6native12_GLOBAL__N_16kernel17lstm_cell_forwardIN3c104HalfEfiLi2EEEvNS_4cuda6detail10TensorInfoIT_T1_EESB_SB_SB_SB_SB_SB_SB_SA_SA_
; %bb.0:
	s_clause 0x1
	s_load_b32 s2, s[0:1], 0x6d4
	s_load_b64 s[4:5], s[0:1], 0x6c0
	s_mov_b32 s3, exec_lo
	s_wait_kmcnt 0x0
	s_and_b32 s2, s2, 0xffff
	s_delay_alu instid0(SALU_CYCLE_1) | instskip(NEXT) | instid1(VALU_DEP_1)
	v_mad_co_u64_u32 v[0:1], null, ttmp9, s2, v[0:1]
	v_cmpx_gt_i32_e64 s5, v0
	s_cbranch_execz .LBB9_13
; %bb.1:
	s_clause 0xc
	s_load_b64 s[6:7], s[0:1], 0x1b0
	s_load_b32 s3, s[0:1], 0xc
	s_load_b32 s33, s[0:1], 0xe4
	s_load_b64 s[8:9], s[0:1], 0x0
	s_load_b64 s[10:11], s[0:1], 0x6c
	;; [unrolled: 1-line block ×4, first 2 shown]
	s_load_b32 s36, s[0:1], 0x21c
	s_load_b64 s[16:17], s[0:1], 0x288
	s_load_b32 s37, s[0:1], 0x2f4
	s_load_b64 s[18:19], s[0:1], 0x360
	s_load_b32 s65, s[0:1], 0x36c
	s_load_b32 s38, s[0:1], 0x5f4
	s_add_nc_u64 s[20:21], s[0:1], 0x6c8
	s_mov_b32 s43, 0
	s_load_b32 s44, s[20:21], 0x0
	s_clause 0x3
	s_load_b64 s[20:21], s[0:1], 0x3cc
	s_load_b64 s[22:23], s[0:1], 0x438
	s_load_b32 s66, s[0:1], 0x444
	s_load_b64 s[24:25], s[0:1], 0x4a4
	s_mul_i32 s63, s4, 3
	s_mov_b32 s68, 0xbbbac73d
	s_wait_kmcnt 0x0
	s_cmp_lg_u64 s[6:7], 0
	s_cselect_b32 s39, -1, 0
	s_abs_i32 s40, s4
	s_abs_i32 s41, s3
	s_cvt_f32_u32 s26, s40
	s_cvt_f32_u32 s27, s41
	s_abs_i32 s42, s33
	s_abs_i32 s47, s38
	v_rcp_iflag_f32_e32 v1, s26
	v_rcp_iflag_f32_e32 v2, s27
	s_cvt_f32_u32 s45, s42
	s_clause 0x4
	s_load_b64 s[26:27], s[0:1], 0x510
	s_load_b32 s67, s[0:1], 0x51c
	s_load_b64 s[28:29], s[0:1], 0x57c
	s_load_b64 s[30:31], s[0:1], 0x5e8
	;; [unrolled: 1-line block ×3, first 2 shown]
	s_cvt_f32_u32 s48, s47
	s_mul_i32 s44, s44, s2
	v_rcp_iflag_f32_e32 v3, s45
	s_sub_co_i32 s2, 0, s40
	s_sub_co_i32 s50, 0, s41
	s_abs_i32 s53, s66
	v_readfirstlane_b32 s0, v1
	v_readfirstlane_b32 s1, v2
	v_rcp_iflag_f32_e32 v1, s48
	s_ashr_i32 s45, s4, 31
	s_ashr_i32 s46, s3, 31
	s_mul_f32 s0, s0, 0x4f7ffffe
	s_mul_f32 s1, s1, 0x4f7ffffe
	v_readfirstlane_b32 s49, v3
	s_sub_co_i32 s64, 0, s4
	s_wait_alu 0xfffe
	s_cvt_u32_f32 s0, s0
	s_cvt_u32_f32 s1, s1
	s_wait_kmcnt 0x0
	s_abs_i32 s54, s67
	s_mul_f32 s51, s49, 0x4f7ffffe
	s_wait_alu 0xfffe
	s_mul_i32 s2, s2, s0
	s_mul_i32 s50, s50, s1
	s_wait_alu 0xfffe
	s_mul_hi_u32 s2, s0, s2
	s_abs_i32 s49, s65
	s_wait_alu 0xfffe
	s_add_co_i32 s48, s0, s2
	s_mul_hi_u32 s0, s1, s50
	s_cvt_f32_u32 s2, s49
	s_cvt_u32_f32 s52, s51
	s_wait_alu 0xfffe
	s_add_co_i32 s50, s1, s0
	s_sub_co_i32 s0, 0, s42
	v_readfirstlane_b32 s1, v1
	v_rcp_iflag_f32_e32 v2, s2
	s_wait_alu 0xfffe
	s_mul_i32 s0, s0, s52
	s_cvt_f32_u32 s55, s54
	s_wait_alu 0xfffe
	s_mul_hi_u32 s0, s52, s0
	s_sub_co_i32 s57, 0, s49
	s_wait_alu 0xfffe
	s_add_co_i32 s52, s52, s0
	s_mul_f32 s0, s1, 0x4f7ffffe
	s_cvt_f32_u32 s1, s53
	s_sub_co_i32 s60, 0, s54
	s_ashr_i32 s51, s33, 31
	v_readfirstlane_b32 s2, v2
	s_wait_alu 0xfffe
	v_rcp_iflag_f32_e32 v1, s1
	v_rcp_iflag_f32_e32 v2, s55
	s_cvt_u32_f32 s0, s0
	s_sub_co_i32 s1, 0, s47
	s_mul_f32 s2, s2, 0x4f7ffffe
	s_ashr_i32 s55, s38, 31
	s_wait_alu 0xfffe
	s_mul_i32 s1, s1, s0
	s_wait_alu 0xfffe
	s_mul_hi_u32 s1, s0, s1
	s_cvt_u32_f32 s2, s2
	v_readfirstlane_b32 s58, v1
	s_wait_alu 0xfffe
	s_add_co_i32 s56, s0, s1
	v_readfirstlane_b32 s0, v2
	s_mul_i32 s57, s57, s2
	s_mul_f32 s59, s58, 0x4f7ffffe
	s_mul_hi_u32 s1, s2, s57
	s_mul_f32 s0, s0, 0x4f7ffffe
	s_wait_alu 0xfffe
	s_add_co_i32 s58, s2, s1
	s_cvt_u32_f32 s1, s59
	s_sub_co_i32 s2, 0, s53
	s_cvt_u32_f32 s0, s0
	s_ashr_i32 s57, s65, 31
	s_wait_alu 0xfffe
	s_mul_i32 s2, s2, s1
	s_ashr_i32 s59, s66, 31
	s_wait_alu 0xfffe
	s_mul_hi_u32 s2, s1, s2
	s_mul_i32 s61, s60, s0
	s_wait_alu 0xfffe
	s_add_co_i32 s60, s1, s2
	s_mul_hi_u32 s1, s0, s61
	s_ashr_i32 s61, s67, 31
	s_wait_alu 0xfffe
	s_add_co_i32 s62, s0, s1
	s_sub_co_i32 s65, 0, s65
	s_sub_co_i32 s66, 0, s66
	;; [unrolled: 1-line block ×3, first 2 shown]
	s_branch .LBB9_3
.LBB9_2:                                ;   in Loop: Header=BB9_3 Depth=1
	s_wait_alu 0xfffe
	s_or_b32 exec_lo, exec_lo, s0
	v_cvt_f32_f16_e32 v18, v18
	v_cvt_f32_f16_e32 v20, v20
	v_mul_hi_u32 v27, v4, s62
	v_mul_hi_u32 v26, v4, s60
	v_xor_b32_e32 v14, s55, v14
	v_mul_hi_u32 v24, v10, s56
	v_add_f32_e32 v18, v18, v20
	v_mul_hi_u32 v20, v7, s56
	v_xor_b32_e32 v12, s55, v12
	v_xor_b32_e32 v13, s55, v13
	v_mul_lo_u32 v41, v27, s54
	v_mul_lo_u32 v39, v26, s53
	v_add_nc_u32_e32 v40, 1, v26
	v_mul_lo_u32 v35, v24, s47
	v_xor_b32_e32 v11, s55, v11
	v_mul_lo_u32 v29, v20, s47
	v_add_nc_u32_e32 v30, 1, v20
	v_xor_b32_e32 v25, s59, v3
	v_sub_nc_u32_e32 v10, v10, v35
	s_delay_alu instid0(VALU_DEP_4) | instskip(SKIP_1) | instid1(VALU_DEP_3)
	v_sub_nc_u32_e32 v7, v7, v29
	v_sub_nc_u32_e32 v29, v4, v39
	v_cmp_le_u32_e64 s1, s47, v10
	s_delay_alu instid0(VALU_DEP_3)
	v_cmp_le_u32_e32 vcc_lo, s47, v7
	s_wait_alu 0xfffd
	v_cndmask_b32_e32 v20, v20, v30, vcc_lo
	v_subrev_nc_u32_e32 v30, s47, v7
	v_add_f32_e32 v18, v18, v23
	v_mul_hi_u32 v23, v8, s56
	s_delay_alu instid0(VALU_DEP_3) | instskip(NEXT) | instid1(VALU_DEP_3)
	v_cndmask_b32_e32 v7, v7, v30, vcc_lo
	v_add_f32_e32 v18, v21, v18
	v_mul_hi_u32 v21, v9, s56
	v_add_nc_u32_e32 v30, 1, v20
	v_mul_lo_u32 v31, v23, s47
	s_delay_alu instid0(VALU_DEP_4)
	v_cmp_nlt_f32_e64 s2, 0x42ce8ed0, v18
	v_cmp_ngt_f32_e32 vcc_lo, 0xc2b17218, v18
	v_add_nc_u32_e32 v32, 1, v23
	v_mul_lo_u32 v37, v21, s47
	v_sub_nc_u32_e32 v8, v8, v31
	v_sub_nc_u32_e32 v31, v4, v41
	s_delay_alu instid0(VALU_DEP_3) | instskip(SKIP_1) | instid1(VALU_DEP_4)
	v_sub_nc_u32_e32 v9, v9, v37
	v_mul_f32_e32 v28, 0xbfb8aa3b, v18
	v_cmp_le_u32_e64 s0, s47, v8
	s_delay_alu instid0(VALU_DEP_2) | instskip(SKIP_2) | instid1(VALU_DEP_3)
	v_fma_f32 v33, 0xbfb8aa3b, v18, -v28
	v_rndne_f32_e32 v34, v28
	s_wait_alu 0xf1ff
	v_cndmask_b32_e64 v23, v23, v32, s0
	v_subrev_nc_u32_e32 v32, s47, v10
	v_fmac_f32_e32 v33, 0xb2a5705f, v18
	v_sub_f32_e32 v28, v28, v34
	v_cvt_i32_f32_e32 v4, v34
	s_delay_alu instid0(VALU_DEP_4) | instskip(NEXT) | instid1(VALU_DEP_3)
	v_cndmask_b32_e64 v10, v10, v32, s1
	v_dual_add_f32 v28, v28, v33 :: v_dual_add_nc_u32 v33, 1, v27
	s_delay_alu instid0(VALU_DEP_1) | instskip(NEXT) | instid1(TRANS32_DEP_1)
	v_exp_f32_e32 v28, v28
	v_ldexp_f32 v4, v28, v4
	v_subrev_nc_u32_e32 v28, s47, v8
	s_delay_alu instid0(VALU_DEP_2) | instskip(SKIP_2) | instid1(VALU_DEP_2)
	v_cndmask_b32_e64 v4, 0, v4, s2
	v_cmp_le_u32_e64 s2, s47, v7
	s_wait_alu 0xfffd
	v_cndmask_b32_e32 v4, 0x7f800000, v4, vcc_lo
	s_wait_alu 0xf1ff
	s_delay_alu instid0(VALU_DEP_2)
	v_cndmask_b32_e64 v7, v20, v30, s2
	v_cmp_le_u32_e64 s2, s53, v29
	v_cmp_le_u32_e32 vcc_lo, s47, v9
	v_add_f32_e32 v20, 1.0, v4
	v_cndmask_b32_e64 v4, v8, v28, s0
	v_xor_b32_e32 v7, v7, v14
	v_add_nc_u32_e32 v28, 1, v23
	s_wait_alu 0xf1ff
	v_cndmask_b32_e64 v26, v26, v40, s2
	v_div_scale_f32 v8, null, v20, v20, 1.0
	v_sub_nc_u32_e32 v7, v7, v14
	v_cmp_le_u32_e64 s0, s47, v4
	v_add_nc_u32_e32 v38, 1, v21
	s_delay_alu instid0(VALU_DEP_4) | instskip(SKIP_1) | instid1(VALU_DEP_2)
	v_rcp_f32_e32 v14, v8
	s_wait_alu 0xf1ff
	v_cndmask_b32_e64 v4, v23, v28, s0
	v_cmp_le_u32_e64 s0, s47, v10
	v_mul_lo_u32 v23, v7, s38
	s_wait_alu 0xfffd
	v_cndmask_b32_e32 v18, v21, v38, vcc_lo
	v_subrev_nc_u32_e32 v21, s47, v9
	v_xor_b32_e32 v4, v4, v12
	s_delay_alu instid0(TRANS32_DEP_1) | instskip(NEXT) | instid1(VALU_DEP_3)
	v_fma_f32 v28, -v8, v14, 1.0
	v_cndmask_b32_e32 v9, v9, v21, vcc_lo
	s_delay_alu instid0(VALU_DEP_3) | instskip(SKIP_1) | instid1(VALU_DEP_4)
	v_sub_nc_u32_e32 v12, v4, v12
	v_sub_nc_u32_e32 v4, v5, v23
	v_fmac_f32_e32 v14, v28, v14
	v_add_nc_u32_e32 v36, 1, v24
	v_div_scale_f32 v23, vcc_lo, 1.0, v20, 1.0
	v_add_nc_u32_e32 v21, 1, v18
	v_add_nc_u32_e32 v4, v0, v4
	s_delay_alu instid0(VALU_DEP_4) | instskip(NEXT) | instid1(VALU_DEP_2)
	v_cndmask_b32_e64 v24, v24, v36, s1
	v_mul_lo_u32 v4, v4, s35
	s_delay_alu instid0(VALU_DEP_2) | instskip(SKIP_1) | instid1(VALU_DEP_1)
	v_add_nc_u32_e32 v30, 1, v24
	s_wait_alu 0xf1ff
	v_cndmask_b32_e64 v10, v24, v30, s0
	v_cmp_le_u32_e64 s0, s47, v9
	v_subrev_nc_u32_e32 v24, s53, v29
	s_delay_alu instid0(VALU_DEP_3) | instskip(SKIP_1) | instid1(VALU_DEP_3)
	v_xor_b32_e32 v10, v10, v13
	s_wait_alu 0xf1ff
	v_cndmask_b32_e64 v5, v18, v21, s0
	s_delay_alu instid0(VALU_DEP_3)
	v_cndmask_b32_e64 v18, v29, v24, s2
	v_cmp_le_u32_e64 s0, s54, v31
	v_sub_nc_u32_e32 v9, v10, v13
	v_mul_f32_e32 v13, v23, v14
	v_xor_b32_e32 v5, v5, v11
	v_mul_lo_u32 v10, v12, s38
	s_delay_alu instid0(VALU_DEP_4) | instskip(NEXT) | instid1(VALU_DEP_4)
	v_mul_lo_u32 v21, v9, s38
	v_fma_f32 v24, -v8, v13, v23
	s_delay_alu instid0(VALU_DEP_4)
	v_sub_nc_u32_e32 v28, v5, v11
	v_mad_co_u64_u32 v[4:5], null, v7, s34, v[4:5]
	s_wait_alu 0xf1ff
	v_cndmask_b32_e64 v7, v27, v33, s0
	v_fmac_f32_e32 v13, v24, v14
	v_sub_nc_u32_e32 v1, v1, v10
	v_add_nc_u32_e32 v10, 1, v26
	v_sub_nc_u32_e32 v6, v6, v21
	s_delay_alu instid0(VALU_DEP_4) | instskip(SKIP_2) | instid1(VALU_DEP_4)
	v_fma_f32 v5, -v8, v13, v23
	v_subrev_nc_u32_e32 v8, s54, v31
	v_add_nc_u32_e32 v1, v0, v1
	v_add_nc_u32_e32 v6, v0, v6
	s_wait_alu 0xfffd
	v_div_fmas_f32 v11, v5, v14, v13
	v_cmp_le_u32_e32 vcc_lo, s53, v18
	v_cndmask_b32_e64 v8, v31, v8, s0
	v_mul_lo_u32 v13, v28, s38
	v_mul_lo_u32 v1, v1, s35
	v_xor_b32_e32 v14, s61, v3
	s_wait_alu 0xfffd
	v_dual_cndmask_b32 v5, v26, v10 :: v_dual_add_nc_u32 v10, 1, v7
	v_cmp_le_u32_e32 vcc_lo, s54, v8
	v_mul_lo_u32 v3, v6, s35
	v_div_fixup_f32 v23, v11, v20, 1.0
	s_delay_alu instid0(VALU_DEP_4) | instskip(SKIP_3) | instid1(VALU_DEP_3)
	v_xor_b32_e32 v5, v5, v25
	s_wait_alu 0xfffd
	v_cndmask_b32_e32 v7, v7, v10, vcc_lo
	v_sub_nc_u32_e32 v10, v2, v13
	v_sub_nc_u32_e32 v18, v5, v25
	v_ashrrev_i32_e32 v5, 31, v4
	s_delay_alu instid0(VALU_DEP_4) | instskip(NEXT) | instid1(VALU_DEP_3)
	v_xor_b32_e32 v8, v7, v14
	v_mad_co_u64_u32 v[6:7], null, s66, v18, v[0:1]
	v_mad_co_u64_u32 v[1:2], null, v12, s34, v[1:2]
	s_delay_alu instid0(VALU_DEP_3)
	v_sub_nc_u32_e32 v14, v8, v14
	v_mad_co_u64_u32 v[7:8], null, v9, s34, v[3:4]
	v_add_nc_u32_e32 v12, v0, v10
	v_mul_lo_u32 v3, v6, s25
	v_lshlrev_b64_e32 v[4:5], 1, v[4:5]
	v_mad_co_u64_u32 v[9:10], null, s67, v14, v[0:1]
	s_delay_alu instid0(VALU_DEP_4)
	v_mul_lo_u32 v6, v12, s35
	v_ashrrev_i32_e32 v8, 31, v7
	v_ashrrev_i32_e32 v2, 31, v1
	v_add_nc_u32_e32 v0, s44, v0
	v_mad_co_u64_u32 v[10:11], null, v18, s24, v[3:4]
	v_mul_lo_u32 v3, v9, s29
	v_lshlrev_b64_e32 v[7:8], 1, v[7:8]
	v_add_co_u32 v4, vcc_lo, s30, v4
	v_lshlrev_b64_e32 v[1:2], 1, v[1:2]
	s_wait_alu 0xfffd
	v_add_co_ci_u32_e64 v5, null, s31, v5, vcc_lo
	s_delay_alu instid0(VALU_DEP_4)
	v_mad_co_u64_u32 v[12:13], null, v28, s34, v[6:7]
	v_mad_co_u64_u32 v[20:21], null, v14, s28, v[3:4]
	v_ashrrev_i32_e32 v11, 31, v10
	v_add_co_u32 v1, vcc_lo, s30, v1
	s_wait_alu 0xfffd
	v_add_co_ci_u32_e64 v2, null, s31, v2, vcc_lo
	v_ashrrev_i32_e32 v13, 31, v12
	v_ashrrev_i32_e32 v21, 31, v20
	v_lshlrev_b64_e32 v[9:10], 1, v[10:11]
	v_add_co_u32 v6, vcc_lo, s30, v7
	s_delay_alu instid0(VALU_DEP_4) | instskip(NEXT) | instid1(VALU_DEP_4)
	v_lshlrev_b64_e32 v[11:12], 1, v[12:13]
	v_lshlrev_b64_e32 v[13:14], 1, v[20:21]
	v_bfi_b32 v3, 0x7fffffff, v22, v19
	s_wait_alu 0xfffd
	v_add_co_ci_u32_e64 v7, null, s31, v8, vcc_lo
	v_add_co_u32 v8, vcc_lo, s22, v9
	s_wait_alu 0xfffd
	v_add_co_ci_u32_e64 v9, null, s23, v10, vcc_lo
	v_add_co_u32 v13, vcc_lo, s26, v13
	v_fma_mixlo_f16 v3, v23, v3, 0
	s_wait_alu 0xfffd
	v_add_co_ci_u32_e64 v14, null, s27, v14, vcc_lo
	v_cvt_f16_f32_e32 v18, v19
	v_add_co_u32 v10, vcc_lo, s30, v11
	s_wait_alu 0xfffd
	v_add_co_ci_u32_e64 v11, null, s31, v12, vcc_lo
	v_cmp_le_i32_e32 vcc_lo, s5, v0
	global_store_b16 v[8:9], v3, off
	global_store_b16 v[13:14], v18, off
	v_cvt_f16_f32_e32 v3, v16
	v_cvt_f16_f32_e32 v9, v15
	;; [unrolled: 1-line block ×4, first 2 shown]
	s_or_b32 s43, vcc_lo, s43
	s_clause 0x3
	global_store_b16 v[4:5], v3, off
	global_store_b16 v[1:2], v8, off
	;; [unrolled: 1-line block ×4, first 2 shown]
	s_wait_alu 0xfffe
	s_and_not1_b32 exec_lo, exec_lo, s43
	s_cbranch_execz .LBB9_13
.LBB9_3:                                ; =>This Inner Loop Header: Depth=1
	v_sub_nc_u32_e32 v1, 0, v0
	s_delay_alu instid0(VALU_DEP_1) | instskip(NEXT) | instid1(VALU_DEP_1)
	v_max_i32_e32 v4, v0, v1
	v_mul_hi_u32 v1, v4, s48
	s_delay_alu instid0(VALU_DEP_1) | instskip(SKIP_1) | instid1(VALU_DEP_2)
	v_mul_lo_u32 v2, v1, s40
	v_add_nc_u32_e32 v3, 1, v1
	v_sub_nc_u32_e32 v2, v4, v2
	s_delay_alu instid0(VALU_DEP_1) | instskip(SKIP_2) | instid1(VALU_DEP_2)
	v_subrev_nc_u32_e32 v5, s40, v2
	v_cmp_le_u32_e32 vcc_lo, s40, v2
	s_wait_alu 0xfffd
	v_dual_cndmask_b32 v1, v1, v3 :: v_dual_cndmask_b32 v2, v2, v5
	v_ashrrev_i32_e32 v3, 31, v0
	s_delay_alu instid0(VALU_DEP_2) | instskip(NEXT) | instid1(VALU_DEP_3)
	v_add_nc_u32_e32 v5, 1, v1
	v_cmp_le_u32_e32 vcc_lo, s40, v2
	s_delay_alu instid0(VALU_DEP_3) | instskip(SKIP_1) | instid1(VALU_DEP_3)
	v_xor_b32_e32 v15, s45, v3
	s_wait_alu 0xfffd
	v_cndmask_b32_e32 v1, v1, v5, vcc_lo
	s_delay_alu instid0(VALU_DEP_1) | instskip(SKIP_1) | instid1(VALU_DEP_2)
	v_xor_b32_e32 v16, v1, v15
	v_mul_i32_i24_e32 v1, 3, v15
	v_lshl_add_u32 v2, v16, 1, v16
	v_sub_nc_u32_e32 v17, v16, v15
	s_delay_alu instid0(VALU_DEP_2) | instskip(NEXT) | instid1(VALU_DEP_2)
	v_sub_nc_u32_e32 v6, v2, v1
	v_mul_lo_u32 v5, s63, v17
	s_delay_alu instid0(VALU_DEP_2) | instskip(SKIP_2) | instid1(VALU_DEP_2)
	v_mad_co_u64_u32 v[1:2], null, s4, v6, s[4:5]
	v_add_nc_u32_e32 v2, 2, v6
	v_add_nc_u32_e32 v8, 3, v6
	v_mul_lo_u32 v6, s4, v2
	s_delay_alu instid0(VALU_DEP_2) | instskip(NEXT) | instid1(VALU_DEP_2)
	v_mul_lo_u32 v2, s4, v8
	v_add_nc_u32_e32 v9, v0, v6
	s_delay_alu instid0(VALU_DEP_2) | instskip(NEXT) | instid1(VALU_DEP_2)
	v_add_nc_u32_e32 v10, v0, v2
	v_ashrrev_i32_e32 v13, 31, v9
	s_delay_alu instid0(VALU_DEP_2) | instskip(NEXT) | instid1(VALU_DEP_2)
	v_ashrrev_i32_e32 v11, 31, v10
	v_add3_u32 v9, v13, v6, v0
	s_delay_alu instid0(VALU_DEP_2)
	v_add3_u32 v24, v11, v2, v0
	v_xor_b32_e32 v22, s46, v13
	v_xor_b32_e32 v23, s46, v11
	;; [unrolled: 1-line block ×5, first 2 shown]
	s_delay_alu instid0(VALU_DEP_2) | instskip(SKIP_1) | instid1(VALU_DEP_3)
	v_mul_hi_u32 v35, v10, s52
	v_mul_hi_u32 v33, v10, s50
	;; [unrolled: 1-line block ×4, first 2 shown]
	s_delay_alu instid0(VALU_DEP_4) | instskip(NEXT) | instid1(VALU_DEP_4)
	v_mul_lo_u32 v45, v35, s42
	v_mul_lo_u32 v41, v33, s41
	s_delay_alu instid0(VALU_DEP_4) | instskip(NEXT) | instid1(VALU_DEP_4)
	v_mul_lo_u32 v47, v36, s42
	v_mul_lo_u32 v43, v34, s41
	v_add_nc_u32_e32 v44, 1, v34
	v_sub_nc_u32_e32 v45, v10, v45
	v_add_nc_u32_e32 v42, 1, v33
	v_add_nc_u32_e32 v46, 1, v35
	;; [unrolled: 1-line block ×3, first 2 shown]
	v_sub_nc_u32_e32 v47, v9, v47
	v_add_nc_u32_e32 v48, 1, v36
	v_sub_nc_u32_e32 v41, v10, v41
	v_sub_nc_u32_e32 v43, v9, v43
	v_ashrrev_i32_e32 v14, 31, v7
	v_add_nc_u32_e32 v7, v0, v1
	s_delay_alu instid0(VALU_DEP_2) | instskip(NEXT) | instid1(VALU_DEP_2)
	v_add3_u32 v8, v14, v5, v0
	v_ashrrev_i32_e32 v12, 31, v7
	v_xor_b32_e32 v18, s46, v14
	v_xor_b32_e32 v20, s51, v14
	s_delay_alu instid0(VALU_DEP_4) | instskip(NEXT) | instid1(VALU_DEP_4)
	v_xor_b32_e32 v7, v8, v14
	v_add3_u32 v8, v12, v1, v0
	v_xor_b32_e32 v19, s46, v12
	v_xor_b32_e32 v28, s51, v12
	s_delay_alu instid0(VALU_DEP_4) | instskip(NEXT) | instid1(VALU_DEP_4)
	v_mul_hi_u32 v21, v7, s50
	v_xor_b32_e32 v8, v8, v12
	v_mul_hi_u32 v25, v7, s52
	s_delay_alu instid0(VALU_DEP_2) | instskip(SKIP_2) | instid1(VALU_DEP_4)
	v_mul_hi_u32 v26, v8, s50
	v_mul_hi_u32 v24, v8, s52
	v_mul_lo_u32 v27, v21, s41
	v_mul_lo_u32 v31, v25, s42
	s_delay_alu instid0(VALU_DEP_4) | instskip(SKIP_1) | instid1(VALU_DEP_4)
	v_mul_lo_u32 v37, v26, s41
	v_add_nc_u32_e32 v38, 1, v26
	v_sub_nc_u32_e32 v27, v7, v27
	v_mul_lo_u32 v39, v24, s42
	v_sub_nc_u32_e32 v31, v7, v31
	s_delay_alu instid0(VALU_DEP_3)
	v_cmp_le_u32_e32 vcc_lo, s41, v27
	v_sub_nc_u32_e32 v37, v8, v37
	v_add_nc_u32_e32 v30, 1, v21
	v_add_nc_u32_e32 v32, 1, v25
	v_cmp_le_u32_e64 s0, s42, v31
	v_sub_nc_u32_e32 v39, v8, v39
	s_wait_alu 0xfffd
	v_cndmask_b32_e32 v21, v21, v30, vcc_lo
	v_subrev_nc_u32_e32 v30, s41, v27
	v_add_nc_u32_e32 v40, 1, v24
	s_wait_alu 0xf1ff
	v_cndmask_b32_e64 v25, v25, v32, s0
	v_subrev_nc_u32_e32 v32, s42, v31
	v_cndmask_b32_e32 v27, v27, v30, vcc_lo
	v_cmp_le_u32_e32 vcc_lo, s41, v37
	v_add_nc_u32_e32 v30, 1, v21
	s_delay_alu instid0(VALU_DEP_4)
	v_cndmask_b32_e64 v31, v31, v32, s0
	v_add_nc_u32_e32 v32, 1, v25
	v_cmp_le_u32_e64 s1, s41, v27
	s_wait_alu 0xfffd
	v_cndmask_b32_e32 v26, v26, v38, vcc_lo
	v_subrev_nc_u32_e32 v38, s41, v37
	v_cmp_le_u32_e64 s2, s42, v31
	v_cmp_le_u32_e64 s0, s42, v39
	s_wait_alu 0xf1ff
	v_cndmask_b32_e64 v21, v21, v30, s1
	v_add_nc_u32_e32 v30, 1, v26
	v_cndmask_b32_e32 v27, v37, v38, vcc_lo
	v_cmp_le_u32_e32 vcc_lo, s41, v41
	v_subrev_nc_u32_e32 v37, s41, v41
	v_cndmask_b32_e64 v25, v25, v32, s2
	v_cmp_le_u32_e64 s1, s41, v43
	v_cmp_le_u32_e64 s2, s41, v27
	s_wait_alu 0xfffd
	v_cndmask_b32_e32 v33, v33, v42, vcc_lo
	v_subrev_nc_u32_e32 v38, s41, v43
	v_xor_b32_e32 v21, v21, v18
	v_cndmask_b32_e32 v27, v41, v37, vcc_lo
	s_wait_alu 0xf1ff
	v_cndmask_b32_e64 v26, v26, v30, s2
	v_cndmask_b32_e64 v34, v34, v44, s1
	v_add_nc_u32_e32 v30, 1, v33
	v_cndmask_b32_e64 v31, v43, v38, s1
	v_sub_nc_u32_e32 v21, v21, v18
	v_xor_b32_e32 v18, v26, v19
	v_cmp_le_u32_e32 vcc_lo, s41, v27
	v_add_nc_u32_e32 v32, 1, v34
	v_cndmask_b32_e64 v24, v24, v40, s0
	v_subrev_nc_u32_e32 v40, s42, v39
	v_xor_b32_e32 v25, v25, v20
	s_wait_alu 0xfffd
	v_cndmask_b32_e32 v26, v33, v30, vcc_lo
	v_cmp_le_u32_e32 vcc_lo, s41, v31
	v_sub_nc_u32_e32 v31, v18, v19
	v_mul_lo_u32 v30, v21, s3
	v_cndmask_b32_e64 v19, v39, v40, s0
	v_xor_b32_e32 v18, v26, v22
	s_wait_alu 0xfffd
	v_cndmask_b32_e32 v27, v34, v32, vcc_lo
	v_mul_lo_u32 v32, v31, s3
	v_cmp_le_u32_e32 vcc_lo, s42, v45
	v_cmp_le_u32_e64 s0, s42, v19
	v_sub_nc_u32_e32 v33, v18, v22
	v_xor_b32_e32 v27, v27, v23
	v_sub_nc_u32_e32 v18, v5, v30
	s_wait_alu 0xfffd
	v_cndmask_b32_e32 v30, v35, v46, vcc_lo
	v_subrev_nc_u32_e32 v22, s42, v45
	v_sub_nc_u32_e32 v32, v1, v32
	v_sub_nc_u32_e32 v27, v27, v23
	v_add_nc_u32_e32 v18, v0, v18
	v_mul_lo_u32 v23, v33, s3
	s_delay_alu instid0(VALU_DEP_4) | instskip(NEXT) | instid1(VALU_DEP_4)
	v_dual_cndmask_b32 v37, v45, v22 :: v_dual_add_nc_u32 v32, v0, v32
	v_mul_lo_u32 v35, v27, s3
	s_delay_alu instid0(VALU_DEP_4)
	v_mul_lo_u32 v18, v18, s11
	v_add_nc_u32_e32 v26, 1, v24
	v_subrev_nc_u32_e32 v34, s42, v47
	v_mul_lo_u32 v19, v32, s11
	v_sub_nc_u32_e32 v23, v6, v23
	v_sub_nc_u32_e32 v32, v25, v20
	s_wait_alu 0xf1ff
	v_cndmask_b32_e64 v26, v24, v26, s0
	v_sub_nc_u32_e32 v22, v2, v35
	v_add_nc_u32_e32 v35, 1, v30
	v_add_nc_u32_e32 v23, v0, v23
	v_cmp_le_u32_e64 s0, s42, v37
	v_mad_co_u64_u32 v[20:21], null, v21, s10, v[18:19]
	v_add_nc_u32_e32 v21, v0, v22
	s_delay_alu instid0(VALU_DEP_4) | instskip(NEXT) | instid1(VALU_DEP_3)
	v_mul_lo_u32 v18, v23, s11
	v_mad_co_u64_u32 v[22:23], null, v31, s10, v[19:20]
	s_delay_alu instid0(VALU_DEP_3) | instskip(SKIP_2) | instid1(VALU_DEP_4)
	v_mul_lo_u32 v19, v21, s11
	v_ashrrev_i32_e32 v21, 31, v20
	v_mul_lo_u32 v31, v32, s33
	v_ashrrev_i32_e32 v23, 31, v22
	s_delay_alu instid0(VALU_DEP_3) | instskip(SKIP_2) | instid1(VALU_DEP_4)
	v_lshlrev_b64_e32 v[20:21], 1, v[20:21]
	v_mad_co_u64_u32 v[24:25], null, v33, s10, v[18:19]
	v_xor_b32_e32 v33, v26, v28
	v_lshlrev_b64_e32 v[22:23], 1, v[22:23]
	v_sub_nc_u32_e32 v31, v5, v31
	v_mad_co_u64_u32 v[18:19], null, v27, s10, v[19:20]
	v_add_co_u32 v20, vcc_lo, s8, v20
	v_ashrrev_i32_e32 v25, 31, v24
	s_wait_alu 0xfffd
	v_add_co_ci_u32_e64 v21, null, s9, v21, vcc_lo
	v_add_co_u32 v22, vcc_lo, s8, v22
	s_delay_alu instid0(VALU_DEP_3) | instskip(SKIP_2) | instid1(VALU_DEP_2)
	v_lshlrev_b64_e32 v[24:25], 1, v[24:25]
	s_wait_alu 0xfffd
	v_add_co_ci_u32_e64 v23, null, s9, v23, vcc_lo
	v_add_co_u32 v26, vcc_lo, s8, v24
	s_wait_alu 0xfffd
	s_delay_alu instid0(VALU_DEP_3)
	v_add_co_ci_u32_e64 v27, null, s9, v25, vcc_lo
	v_cmp_le_u32_e32 vcc_lo, s42, v47
	s_wait_alu 0xf1ff
	v_cndmask_b32_e64 v24, v30, v35, s0
	v_sub_nc_u32_e32 v30, v33, v28
	v_mul_hi_u32 v33, v4, s58
	v_xor_b32_e32 v35, s51, v11
	s_wait_alu 0xfffd
	v_cndmask_b32_e32 v25, v47, v34, vcc_lo
	v_cndmask_b32_e32 v19, v36, v48, vcc_lo
	v_xor_b32_e32 v24, v24, v29
	v_mul_lo_u32 v34, v30, s33
	s_delay_alu instid0(VALU_DEP_4) | instskip(NEXT) | instid1(VALU_DEP_4)
	v_cmp_le_u32_e32 vcc_lo, s42, v25
	v_add_nc_u32_e32 v28, 1, v19
	s_delay_alu instid0(VALU_DEP_4) | instskip(SKIP_1) | instid1(VALU_DEP_2)
	v_sub_nc_u32_e32 v36, v24, v29
	s_wait_alu 0xfffd
	v_dual_cndmask_b32 v25, v19, v28 :: v_dual_add_nc_u32 v24, v0, v31
	v_mul_lo_u32 v28, v33, s49
	s_delay_alu instid0(VALU_DEP_3) | instskip(NEXT) | instid1(VALU_DEP_3)
	v_mul_lo_u32 v29, v36, s33
	v_mul_lo_u32 v24, v24, s15
	v_sub_nc_u32_e32 v31, v1, v34
	v_xor_b32_e32 v25, v25, v35
	v_ashrrev_i32_e32 v19, 31, v18
	s_delay_alu instid0(VALU_DEP_3) | instskip(NEXT) | instid1(VALU_DEP_3)
	v_add_nc_u32_e32 v31, v0, v31
	v_sub_nc_u32_e32 v37, v25, v35
	v_sub_nc_u32_e32 v25, v4, v28
	v_add_nc_u32_e32 v28, 1, v33
	v_sub_nc_u32_e32 v34, v6, v29
	v_lshlrev_b64_e32 v[18:19], 1, v[18:19]
	v_mul_lo_u32 v35, v37, s33
	v_subrev_nc_u32_e32 v38, s49, v25
	v_cmp_le_u32_e32 vcc_lo, s49, v25
	s_wait_alu 0xfffd
	v_cndmask_b32_e32 v33, v33, v28, vcc_lo
	v_mad_co_u64_u32 v[28:29], null, v32, s14, v[24:25]
	v_cndmask_b32_e32 v25, v25, v38, vcc_lo
	v_mul_lo_u32 v24, v31, s15
	s_delay_alu instid0(VALU_DEP_4) | instskip(SKIP_4) | instid1(VALU_DEP_4)
	v_add_nc_u32_e32 v29, 1, v33
	v_add_nc_u32_e32 v31, v0, v34
	v_xor_b32_e32 v34, s57, v3
	v_cmp_le_u32_e32 vcc_lo, s49, v25
	v_sub_nc_u32_e32 v32, v2, v35
	v_mul_lo_u32 v25, v31, s15
	s_wait_alu 0xfffd
	v_cndmask_b32_e32 v29, v33, v29, vcc_lo
	v_add_co_u32 v18, vcc_lo, s8, v18
	s_wait_alu 0xfffd
	v_add_co_ci_u32_e64 v19, null, s9, v19, vcc_lo
	s_delay_alu instid0(VALU_DEP_3) | instskip(SKIP_3) | instid1(VALU_DEP_4)
	v_xor_b32_e32 v33, v29, v34
	v_add_nc_u32_e32 v35, v0, v32
	v_mad_co_u64_u32 v[30:31], null, v30, s14, v[24:25]
	v_ashrrev_i32_e32 v29, 31, v28
	v_sub_nc_u32_e32 v38, v33, v34
	v_mad_co_u64_u32 v[32:33], null, v36, s14, v[25:26]
	s_clause 0x3
	global_load_u16 v25, v[20:21], off
	global_load_u16 v22, v[22:23], off
	;; [unrolled: 1-line block ×4, first 2 shown]
	v_mul_lo_u32 v24, v35, s15
	v_mad_co_u64_u32 v[34:35], null, s65, v38, v[0:1]
	v_ashrrev_i32_e32 v31, 31, v30
	v_lshlrev_b64_e32 v[19:20], 1, v[28:29]
	v_ashrrev_i32_e32 v33, 31, v32
	s_delay_alu instid0(VALU_DEP_3) | instskip(SKIP_1) | instid1(VALU_DEP_3)
	v_lshlrev_b64_e32 v[28:29], 1, v[30:31]
	v_mul_lo_u32 v21, v34, s21
	v_lshlrev_b64_e32 v[32:33], 1, v[32:33]
	v_add_co_u32 v19, vcc_lo, s12, v19
	s_wait_alu 0xfffd
	v_add_co_ci_u32_e64 v20, null, s13, v20, vcc_lo
	v_add_co_u32 v28, vcc_lo, s12, v28
	s_wait_alu 0xfffd
	v_add_co_ci_u32_e64 v29, null, s13, v29, vcc_lo
	;; [unrolled: 3-line block ×3, first 2 shown]
	s_wait_loadcnt 0x3
	v_mad_co_u64_u32 v[23:24], null, v37, s14, v[24:25]
	s_wait_loadcnt 0x2
	v_mad_co_u64_u32 v[30:31], null, v38, s20, v[21:22]
	v_mov_b32_e32 v21, 0
	s_delay_alu instid0(VALU_DEP_3) | instskip(NEXT) | instid1(VALU_DEP_3)
	v_ashrrev_i32_e32 v24, 31, v23
	v_ashrrev_i32_e32 v31, 31, v30
	s_delay_alu instid0(VALU_DEP_2) | instskip(NEXT) | instid1(VALU_DEP_2)
	v_lshlrev_b64_e32 v[23:24], 1, v[23:24]
	v_lshlrev_b64_e32 v[30:31], 1, v[30:31]
	s_delay_alu instid0(VALU_DEP_2) | instskip(SKIP_1) | instid1(VALU_DEP_3)
	v_add_co_u32 v34, vcc_lo, s12, v23
	s_wait_alu 0xfffd
	v_add_co_ci_u32_e64 v35, null, s13, v24, vcc_lo
	s_delay_alu instid0(VALU_DEP_3)
	v_add_co_u32 v30, vcc_lo, s18, v30
	s_wait_alu 0xfffd
	v_add_co_ci_u32_e64 v31, null, s19, v31, vcc_lo
	s_clause 0x3
	global_load_u16 v26, v[19:20], off
	global_load_u16 v24, v[28:29], off
	;; [unrolled: 1-line block ×5, first 2 shown]
	v_mov_b32_e32 v33, 0
	v_dual_mov_b32 v29, 0 :: v_dual_mov_b32 v30, 0
	v_dual_mov_b32 v23, 0 :: v_dual_mov_b32 v34, 0
	;; [unrolled: 1-line block ×3, first 2 shown]
	s_and_not1_b32 vcc_lo, exec_lo, s39
	s_wait_alu 0xfffe
	s_cbranch_vccnz .LBB9_5
; %bb.4:                                ;   in Loop: Header=BB9_3 Depth=1
	v_sub_nc_u32_e32 v15, v15, v16
	v_mad_co_u64_u32 v[29:30], null, s64, v17, v[0:1]
	s_delay_alu instid0(VALU_DEP_2) | instskip(SKIP_2) | instid1(VALU_DEP_4)
	v_mul_lo_u32 v16, s4, v15
	v_add_nc_u32_e32 v17, 2, v15
	v_add_nc_u32_e32 v21, 3, v15
	v_mul_lo_u32 v15, v29, s36
	v_mul_lo_u32 v29, v29, s37
	s_delay_alu instid0(VALU_DEP_4) | instskip(SKIP_3) | instid1(VALU_DEP_3)
	v_mad_co_u64_u32 v[31:32], null, s4, v17, v[0:1]
	v_add3_u32 v17, v16, s4, v0
	v_mad_co_u64_u32 v[32:33], null, s4, v21, v[0:1]
	v_ashrrev_i32_e32 v16, 31, v15
	v_mul_lo_u32 v33, v17, s36
	v_mul_lo_u32 v35, v31, s36
	v_ashrrev_i32_e32 v30, 31, v29
	v_mul_lo_u32 v39, v17, s37
	v_lshlrev_b64_e32 v[15:16], 1, v[15:16]
	v_mul_lo_u32 v37, v32, s36
	v_mul_lo_u32 v31, v31, s37
	v_lshlrev_b64_e32 v[29:30], 1, v[29:30]
	v_ashrrev_i32_e32 v34, 31, v33
	v_ashrrev_i32_e32 v36, 31, v35
	v_add_co_u32 v15, vcc_lo, s6, v15
	s_wait_alu 0xfffd
	v_add_co_ci_u32_e64 v16, null, s7, v16, vcc_lo
	v_lshlrev_b64_e32 v[33:34], 1, v[33:34]
	v_lshlrev_b64_e32 v[35:36], 1, v[35:36]
	v_ashrrev_i32_e32 v38, 31, v37
	v_ashrrev_i32_e32 v40, 31, v39
	s_delay_alu instid0(VALU_DEP_4)
	v_add_co_u32 v33, vcc_lo, s6, v33
	s_wait_alu 0xfffd
	v_add_co_ci_u32_e64 v34, null, s7, v34, vcc_lo
	v_add_co_u32 v35, vcc_lo, s6, v35
	s_clause 0x1
	global_load_u16 v17, v[15:16], off
	global_load_u16 v21, v[33:34], off
	v_mul_lo_u32 v33, v32, s37
	s_wait_alu 0xfffd
	v_add_co_ci_u32_e64 v36, null, s7, v36, vcc_lo
	v_add_co_u32 v15, vcc_lo, s16, v29
	s_wait_alu 0xfffd
	v_add_co_ci_u32_e64 v16, null, s17, v30, vcc_lo
	v_ashrrev_i32_e32 v32, 31, v31
	v_lshlrev_b64_e32 v[37:38], 1, v[37:38]
	v_ashrrev_i32_e32 v34, 31, v33
	v_lshlrev_b64_e32 v[29:30], 1, v[39:40]
	global_load_u16 v23, v[15:16], off
	v_lshlrev_b64_e32 v[15:16], 1, v[31:32]
	v_add_co_u32 v37, vcc_lo, s6, v37
	v_lshlrev_b64_e32 v[31:32], 1, v[33:34]
	s_wait_alu 0xfffd
	v_add_co_ci_u32_e64 v38, null, s7, v38, vcc_lo
	v_add_co_u32 v29, vcc_lo, s16, v29
	s_wait_alu 0xfffd
	v_add_co_ci_u32_e64 v30, null, s17, v30, vcc_lo
	v_add_co_u32 v15, vcc_lo, s16, v15
	;; [unrolled: 3-line block ×3, first 2 shown]
	s_wait_alu 0xfffd
	v_add_co_ci_u32_e64 v32, null, s17, v32, vcc_lo
	global_load_u16 v29, v[29:30], off
	global_load_u16 v33, v[35:36], off
	global_load_u16 v15, v[15:16], off
	global_load_u16 v16, v[37:38], off
	global_load_u16 v35, v[31:32], off
	s_wait_loadcnt 0x7
	v_cvt_f32_f16_e32 v32, v17
	s_wait_loadcnt 0x6
	v_cvt_f32_f16_e32 v31, v21
	;; [unrolled: 2-line block ×8, first 2 shown]
.LBB9_5:                                ;   in Loop: Header=BB9_3 Depth=1
	s_wait_loadcnt 0x6
	v_cvt_f32_f16_e32 v15, v27
	s_wait_loadcnt 0x2
	v_cvt_f32_f16_e32 v16, v28
                                        ; implicit-def: $vgpr17
	s_delay_alu instid0(VALU_DEP_1) | instskip(NEXT) | instid1(VALU_DEP_1)
	v_add_f32_e32 v15, v15, v16
	v_add_f32_e32 v15, v15, v34
	s_delay_alu instid0(VALU_DEP_1) | instskip(NEXT) | instid1(VALU_DEP_1)
	v_add_f32_e32 v15, v33, v15
	v_cmp_ngt_f32_e64 s0, 0x3f200000, |v15|
	s_and_saveexec_b32 s1, s0
	s_wait_alu 0xfffe
	s_xor_b32 s0, exec_lo, s1
	s_cbranch_execz .LBB9_7
; %bb.6:                                ;   in Loop: Header=BB9_3 Depth=1
	v_add_f32_e64 v16, |v15|, |v15|
	s_delay_alu instid0(VALU_DEP_1) | instskip(SKIP_1) | instid1(VALU_DEP_2)
	v_mul_f32_e32 v17, 0x3fb8aa3b, v16
	v_cmp_ngt_f32_e32 vcc_lo, 0xc2ce8ed0, v16
	v_rndne_f32_e32 v27, v17
	v_fma_f32 v28, 0x3fb8aa3b, v16, -v17
	s_delay_alu instid0(VALU_DEP_1) | instskip(SKIP_1) | instid1(VALU_DEP_2)
	v_dual_sub_f32 v17, v17, v27 :: v_dual_fmac_f32 v28, 0x32a5705f, v16
	v_cvt_i32_f32_e32 v27, v27
	v_add_f32_e32 v17, v17, v28
	s_delay_alu instid0(VALU_DEP_1) | instskip(NEXT) | instid1(TRANS32_DEP_1)
	v_exp_f32_e32 v17, v17
	v_ldexp_f32 v17, v17, v27
	s_wait_alu 0xfffd
	s_delay_alu instid0(VALU_DEP_1) | instskip(SKIP_2) | instid1(VALU_DEP_2)
	v_cndmask_b32_e32 v17, 0, v17, vcc_lo
	v_cmp_nlt_f32_e32 vcc_lo, 0x42b17218, v16
	s_wait_alu 0xfffd
	v_cndmask_b32_e32 v16, 0x7f800000, v17, vcc_lo
	s_delay_alu instid0(VALU_DEP_1) | instskip(NEXT) | instid1(VALU_DEP_1)
	v_add_f32_e32 v16, 1.0, v16
	v_rcp_f32_e32 v16, v16
	s_delay_alu instid0(TRANS32_DEP_1)
	v_fma_f32 v17, v16, -2.0, 1.0
.LBB9_7:                                ;   in Loop: Header=BB9_3 Depth=1
	s_wait_alu 0xfffe
	s_and_not1_saveexec_b32 s0, s0
	s_cbranch_execz .LBB9_9
; %bb.8:                                ;   in Loop: Header=BB9_3 Depth=1
	v_mul_f32_e32 v16, v15, v15
	s_delay_alu instid0(VALU_DEP_1) | instskip(NEXT) | instid1(VALU_DEP_1)
	v_fmaak_f32 v17, s68, v16, 0x3ca908c9
	v_fmaak_f32 v17, v16, v17, 0xbd5c1c4e
	s_delay_alu instid0(VALU_DEP_1) | instskip(NEXT) | instid1(VALU_DEP_1)
	v_fmaak_f32 v17, v16, v17, 0x3e088382
	v_fmaak_f32 v17, v16, v17, 0xbeaaaa99
	s_delay_alu instid0(VALU_DEP_1) | instskip(NEXT) | instid1(VALU_DEP_1)
	v_mul_f32_e64 v17, |v15|, v17
	v_fma_f32 v17, v16, v17, |v15|
.LBB9_9:                                ;   in Loop: Header=BB9_3 Depth=1
	s_wait_alu 0xfffe
	s_or_b32 exec_lo, exec_lo, s0
	v_cvt_f32_f16_e32 v22, v22
	v_cvt_f32_f16_e32 v24, v24
	;; [unrolled: 1-line block ×4, first 2 shown]
	v_bfi_b32 v15, 0x7fffffff, v17, v15
	s_delay_alu instid0(VALU_DEP_4) | instskip(NEXT) | instid1(VALU_DEP_1)
	v_add_f32_e32 v22, v22, v24
	v_add_f32_e32 v22, v22, v31
	s_delay_alu instid0(VALU_DEP_1) | instskip(NEXT) | instid1(VALU_DEP_1)
	v_add_f32_e32 v22, v29, v22
	v_dual_add_f32 v16, v16, v25 :: v_dual_mul_f32 v25, 0xbfb8aa3b, v22
	s_delay_alu instid0(VALU_DEP_1) | instskip(NEXT) | instid1(VALU_DEP_2)
	v_add_f32_e32 v16, v16, v32
	v_fma_f32 v28, 0xbfb8aa3b, v22, -v25
	s_delay_alu instid0(VALU_DEP_2) | instskip(SKIP_1) | instid1(VALU_DEP_3)
	v_add_f32_e32 v16, v30, v16
	v_rndne_f32_e32 v29, v25
	v_fmac_f32_e32 v28, 0xb2a5705f, v22
	s_delay_alu instid0(VALU_DEP_2) | instskip(SKIP_1) | instid1(VALU_DEP_2)
	v_dual_mul_f32 v24, 0xbfb8aa3b, v16 :: v_dual_sub_f32 v25, v25, v29
	v_cmp_nlt_f32_e32 vcc_lo, 0x42ce8ed0, v16
	v_fma_f32 v26, 0xbfb8aa3b, v16, -v24
	v_rndne_f32_e32 v27, v24
	s_delay_alu instid0(VALU_DEP_4) | instskip(NEXT) | instid1(VALU_DEP_3)
	v_add_f32_e32 v25, v25, v28
	v_fmac_f32_e32 v26, 0xb2a5705f, v16
	s_delay_alu instid0(VALU_DEP_3) | instskip(NEXT) | instid1(VALU_DEP_3)
	v_sub_f32_e32 v24, v24, v27
	v_exp_f32_e32 v25, v25
	s_delay_alu instid0(VALU_DEP_1) | instskip(SKIP_2) | instid1(VALU_DEP_3)
	v_add_f32_e32 v24, v24, v26
	v_cvt_i32_f32_e32 v26, v27
	v_cvt_i32_f32_e32 v27, v29
	v_exp_f32_e32 v24, v24
	s_delay_alu instid0(TRANS32_DEP_2) | instid1(VALU_DEP_1)
	v_ldexp_f32 v25, v25, v27
	s_delay_alu instid0(TRANS32_DEP_1) | instskip(SKIP_1) | instid1(VALU_DEP_1)
	v_ldexp_f32 v24, v24, v26
	s_wait_alu 0xfffd
	v_cndmask_b32_e32 v24, 0, v24, vcc_lo
	v_cmp_nlt_f32_e32 vcc_lo, 0x42ce8ed0, v22
	s_wait_alu 0xfffd
	v_cndmask_b32_e32 v25, 0, v25, vcc_lo
	v_cmp_ngt_f32_e32 vcc_lo, 0xc2b17218, v16
	s_wait_alu 0xfffd
	v_cndmask_b32_e32 v16, 0x7f800000, v24, vcc_lo
	v_cmp_ngt_f32_e32 vcc_lo, 0xc2b17218, v22
	s_delay_alu instid0(VALU_DEP_2) | instskip(SKIP_2) | instid1(VALU_DEP_2)
	v_add_f32_e32 v16, 1.0, v16
	s_wait_alu 0xfffd
	v_cndmask_b32_e32 v22, 0x7f800000, v25, vcc_lo
	v_div_scale_f32 v24, null, v16, v16, 1.0
	s_delay_alu instid0(VALU_DEP_2) | instskip(SKIP_1) | instid1(VALU_DEP_3)
	v_add_f32_e32 v22, 1.0, v22
	v_div_scale_f32 v30, vcc_lo, 1.0, v16, 1.0
	v_rcp_f32_e32 v26, v24
	s_delay_alu instid0(VALU_DEP_2) | instskip(NEXT) | instid1(VALU_DEP_1)
	v_div_scale_f32 v25, null, v22, v22, 1.0
	v_rcp_f32_e32 v27, v25
	s_delay_alu instid0(TRANS32_DEP_2) | instskip(NEXT) | instid1(VALU_DEP_1)
	v_fma_f32 v28, -v24, v26, 1.0
	v_fmac_f32_e32 v26, v28, v26
	v_div_scale_f32 v28, s0, 1.0, v22, 1.0
	s_delay_alu instid0(TRANS32_DEP_1) | instskip(NEXT) | instid1(VALU_DEP_1)
	v_fma_f32 v29, -v25, v27, 1.0
	v_fmac_f32_e32 v27, v29, v27
	s_delay_alu instid0(VALU_DEP_4) | instskip(NEXT) | instid1(VALU_DEP_2)
	v_mul_f32_e32 v29, v30, v26
	v_mul_f32_e32 v31, v28, v27
	s_delay_alu instid0(VALU_DEP_2) | instskip(NEXT) | instid1(VALU_DEP_2)
	v_fma_f32 v32, -v24, v29, v30
	v_fma_f32 v33, -v25, v31, v28
	s_delay_alu instid0(VALU_DEP_2) | instskip(NEXT) | instid1(VALU_DEP_2)
	v_fmac_f32_e32 v29, v32, v26
	v_fmac_f32_e32 v31, v33, v27
	s_delay_alu instid0(VALU_DEP_2) | instskip(NEXT) | instid1(VALU_DEP_2)
	v_fma_f32 v24, -v24, v29, v30
	v_fma_f32 v25, -v25, v31, v28
	s_wait_alu 0xfffd
	s_delay_alu instid0(VALU_DEP_2) | instskip(SKIP_3) | instid1(VALU_DEP_2)
	v_div_fmas_f32 v24, v24, v26, v29
	s_mov_b32 vcc_lo, s0
	s_wait_alu 0xfffe
	v_div_fmas_f32 v25, v25, v27, v31
	v_div_fixup_f32 v16, v24, v16, 1.0
	s_delay_alu instid0(VALU_DEP_2) | instskip(NEXT) | instid1(VALU_DEP_2)
	v_div_fixup_f32 v17, v25, v22, 1.0
	v_mul_f32_e32 v22, v16, v15
	s_wait_loadcnt 0x0
	s_delay_alu instid0(VALU_DEP_1) | instskip(NEXT) | instid1(VALU_DEP_1)
	v_fma_mix_f32 v19, v17, v19, v22 op_sel_hi:[0,1,0]
                                        ; implicit-def: $vgpr22
	v_cmp_ngt_f32_e64 s0, 0x3f200000, |v19|
	s_and_saveexec_b32 s1, s0
	s_wait_alu 0xfffe
	s_xor_b32 s0, exec_lo, s1
	s_cbranch_execz .LBB9_11
; %bb.10:                               ;   in Loop: Header=BB9_3 Depth=1
	v_add_f32_e64 v22, |v19|, |v19|
	s_delay_alu instid0(VALU_DEP_1) | instskip(SKIP_1) | instid1(VALU_DEP_2)
	v_mul_f32_e32 v24, 0x3fb8aa3b, v22
	v_cmp_ngt_f32_e32 vcc_lo, 0xc2ce8ed0, v22
	v_rndne_f32_e32 v25, v24
	v_fma_f32 v26, 0x3fb8aa3b, v22, -v24
	s_delay_alu instid0(VALU_DEP_2) | instskip(NEXT) | instid1(VALU_DEP_2)
	v_sub_f32_e32 v24, v24, v25
	v_fmac_f32_e32 v26, 0x32a5705f, v22
	v_cvt_i32_f32_e32 v25, v25
	s_delay_alu instid0(VALU_DEP_2) | instskip(NEXT) | instid1(VALU_DEP_1)
	v_add_f32_e32 v24, v24, v26
	v_exp_f32_e32 v24, v24
	s_delay_alu instid0(TRANS32_DEP_1) | instskip(SKIP_1) | instid1(VALU_DEP_1)
	v_ldexp_f32 v24, v24, v25
	s_wait_alu 0xfffd
	v_cndmask_b32_e32 v24, 0, v24, vcc_lo
	v_cmp_nlt_f32_e32 vcc_lo, 0x42b17218, v22
	s_wait_alu 0xfffd
	s_delay_alu instid0(VALU_DEP_2) | instskip(NEXT) | instid1(VALU_DEP_1)
	v_cndmask_b32_e32 v22, 0x7f800000, v24, vcc_lo
	v_add_f32_e32 v22, 1.0, v22
	s_delay_alu instid0(VALU_DEP_1) | instskip(NEXT) | instid1(TRANS32_DEP_1)
	v_rcp_f32_e32 v22, v22
	v_fma_f32 v22, v22, -2.0, 1.0
.LBB9_11:                               ;   in Loop: Header=BB9_3 Depth=1
	s_wait_alu 0xfffe
	s_and_not1_saveexec_b32 s0, s0
	s_cbranch_execz .LBB9_2
; %bb.12:                               ;   in Loop: Header=BB9_3 Depth=1
	v_mul_f32_e32 v22, v19, v19
	s_delay_alu instid0(VALU_DEP_1) | instskip(NEXT) | instid1(VALU_DEP_1)
	v_fmaak_f32 v24, s68, v22, 0x3ca908c9
	v_fmaak_f32 v24, v22, v24, 0xbd5c1c4e
	s_delay_alu instid0(VALU_DEP_1) | instskip(NEXT) | instid1(VALU_DEP_1)
	v_fmaak_f32 v24, v22, v24, 0x3e088382
	v_fmaak_f32 v24, v22, v24, 0xbeaaaa99
	s_delay_alu instid0(VALU_DEP_1) | instskip(NEXT) | instid1(VALU_DEP_1)
	v_mul_f32_e64 v24, |v19|, v24
	v_fma_f32 v22, v22, v24, |v19|
	s_branch .LBB9_2
.LBB9_13:
	s_endpgm
	.section	.rodata,"a",@progbits
	.p2align	6, 0x0
	.amdhsa_kernel _ZN2at6native12_GLOBAL__N_16kernel17lstm_cell_forwardIN3c104HalfEfiLi2EEEvNS_4cuda6detail10TensorInfoIT_T1_EESB_SB_SB_SB_SB_SB_SB_SA_SA_
		.amdhsa_group_segment_fixed_size 0
		.amdhsa_private_segment_fixed_size 0
		.amdhsa_kernarg_size 1992
		.amdhsa_user_sgpr_count 2
		.amdhsa_user_sgpr_dispatch_ptr 0
		.amdhsa_user_sgpr_queue_ptr 0
		.amdhsa_user_sgpr_kernarg_segment_ptr 1
		.amdhsa_user_sgpr_dispatch_id 0
		.amdhsa_user_sgpr_private_segment_size 0
		.amdhsa_wavefront_size32 1
		.amdhsa_uses_dynamic_stack 0
		.amdhsa_enable_private_segment 0
		.amdhsa_system_sgpr_workgroup_id_x 1
		.amdhsa_system_sgpr_workgroup_id_y 0
		.amdhsa_system_sgpr_workgroup_id_z 0
		.amdhsa_system_sgpr_workgroup_info 0
		.amdhsa_system_vgpr_workitem_id 0
		.amdhsa_next_free_vgpr 49
		.amdhsa_next_free_sgpr 69
		.amdhsa_reserve_vcc 1
		.amdhsa_float_round_mode_32 0
		.amdhsa_float_round_mode_16_64 0
		.amdhsa_float_denorm_mode_32 3
		.amdhsa_float_denorm_mode_16_64 3
		.amdhsa_fp16_overflow 0
		.amdhsa_workgroup_processor_mode 1
		.amdhsa_memory_ordered 1
		.amdhsa_forward_progress 1
		.amdhsa_inst_pref_size 42
		.amdhsa_round_robin_scheduling 0
		.amdhsa_exception_fp_ieee_invalid_op 0
		.amdhsa_exception_fp_denorm_src 0
		.amdhsa_exception_fp_ieee_div_zero 0
		.amdhsa_exception_fp_ieee_overflow 0
		.amdhsa_exception_fp_ieee_underflow 0
		.amdhsa_exception_fp_ieee_inexact 0
		.amdhsa_exception_int_div_zero 0
	.end_amdhsa_kernel
	.section	.text._ZN2at6native12_GLOBAL__N_16kernel17lstm_cell_forwardIN3c104HalfEfiLi2EEEvNS_4cuda6detail10TensorInfoIT_T1_EESB_SB_SB_SB_SB_SB_SB_SA_SA_,"axG",@progbits,_ZN2at6native12_GLOBAL__N_16kernel17lstm_cell_forwardIN3c104HalfEfiLi2EEEvNS_4cuda6detail10TensorInfoIT_T1_EESB_SB_SB_SB_SB_SB_SB_SA_SA_,comdat
.Lfunc_end9:
	.size	_ZN2at6native12_GLOBAL__N_16kernel17lstm_cell_forwardIN3c104HalfEfiLi2EEEvNS_4cuda6detail10TensorInfoIT_T1_EESB_SB_SB_SB_SB_SB_SB_SA_SA_, .Lfunc_end9-_ZN2at6native12_GLOBAL__N_16kernel17lstm_cell_forwardIN3c104HalfEfiLi2EEEvNS_4cuda6detail10TensorInfoIT_T1_EESB_SB_SB_SB_SB_SB_SB_SA_SA_
                                        ; -- End function
	.set _ZN2at6native12_GLOBAL__N_16kernel17lstm_cell_forwardIN3c104HalfEfiLi2EEEvNS_4cuda6detail10TensorInfoIT_T1_EESB_SB_SB_SB_SB_SB_SB_SA_SA_.num_vgpr, 49
	.set _ZN2at6native12_GLOBAL__N_16kernel17lstm_cell_forwardIN3c104HalfEfiLi2EEEvNS_4cuda6detail10TensorInfoIT_T1_EESB_SB_SB_SB_SB_SB_SB_SA_SA_.num_agpr, 0
	.set _ZN2at6native12_GLOBAL__N_16kernel17lstm_cell_forwardIN3c104HalfEfiLi2EEEvNS_4cuda6detail10TensorInfoIT_T1_EESB_SB_SB_SB_SB_SB_SB_SA_SA_.numbered_sgpr, 69
	.set _ZN2at6native12_GLOBAL__N_16kernel17lstm_cell_forwardIN3c104HalfEfiLi2EEEvNS_4cuda6detail10TensorInfoIT_T1_EESB_SB_SB_SB_SB_SB_SB_SA_SA_.num_named_barrier, 0
	.set _ZN2at6native12_GLOBAL__N_16kernel17lstm_cell_forwardIN3c104HalfEfiLi2EEEvNS_4cuda6detail10TensorInfoIT_T1_EESB_SB_SB_SB_SB_SB_SB_SA_SA_.private_seg_size, 0
	.set _ZN2at6native12_GLOBAL__N_16kernel17lstm_cell_forwardIN3c104HalfEfiLi2EEEvNS_4cuda6detail10TensorInfoIT_T1_EESB_SB_SB_SB_SB_SB_SB_SA_SA_.uses_vcc, 1
	.set _ZN2at6native12_GLOBAL__N_16kernel17lstm_cell_forwardIN3c104HalfEfiLi2EEEvNS_4cuda6detail10TensorInfoIT_T1_EESB_SB_SB_SB_SB_SB_SB_SA_SA_.uses_flat_scratch, 0
	.set _ZN2at6native12_GLOBAL__N_16kernel17lstm_cell_forwardIN3c104HalfEfiLi2EEEvNS_4cuda6detail10TensorInfoIT_T1_EESB_SB_SB_SB_SB_SB_SB_SA_SA_.has_dyn_sized_stack, 0
	.set _ZN2at6native12_GLOBAL__N_16kernel17lstm_cell_forwardIN3c104HalfEfiLi2EEEvNS_4cuda6detail10TensorInfoIT_T1_EESB_SB_SB_SB_SB_SB_SB_SA_SA_.has_recursion, 0
	.set _ZN2at6native12_GLOBAL__N_16kernel17lstm_cell_forwardIN3c104HalfEfiLi2EEEvNS_4cuda6detail10TensorInfoIT_T1_EESB_SB_SB_SB_SB_SB_SB_SA_SA_.has_indirect_call, 0
	.section	.AMDGPU.csdata,"",@progbits
; Kernel info:
; codeLenInByte = 5376
; TotalNumSgprs: 71
; NumVgprs: 49
; ScratchSize: 0
; MemoryBound: 0
; FloatMode: 240
; IeeeMode: 1
; LDSByteSize: 0 bytes/workgroup (compile time only)
; SGPRBlocks: 0
; VGPRBlocks: 6
; NumSGPRsForWavesPerEU: 71
; NumVGPRsForWavesPerEU: 49
; Occupancy: 16
; WaveLimiterHint : 1
; COMPUTE_PGM_RSRC2:SCRATCH_EN: 0
; COMPUTE_PGM_RSRC2:USER_SGPR: 2
; COMPUTE_PGM_RSRC2:TRAP_HANDLER: 0
; COMPUTE_PGM_RSRC2:TGID_X_EN: 1
; COMPUTE_PGM_RSRC2:TGID_Y_EN: 0
; COMPUTE_PGM_RSRC2:TGID_Z_EN: 0
; COMPUTE_PGM_RSRC2:TIDIG_COMP_CNT: 0
	.section	.text._ZN2at6native12_GLOBAL__N_16kernel17lstm_cell_forwardIN3c104HalfEflLi1EEEvNS_4cuda6detail10TensorInfoIT_T1_EESB_SB_SB_SB_SB_SB_SB_SA_SA_,"axG",@progbits,_ZN2at6native12_GLOBAL__N_16kernel17lstm_cell_forwardIN3c104HalfEflLi1EEEvNS_4cuda6detail10TensorInfoIT_T1_EESB_SB_SB_SB_SB_SB_SB_SA_SA_,comdat
	.globl	_ZN2at6native12_GLOBAL__N_16kernel17lstm_cell_forwardIN3c104HalfEflLi1EEEvNS_4cuda6detail10TensorInfoIT_T1_EESB_SB_SB_SB_SB_SB_SB_SA_SA_ ; -- Begin function _ZN2at6native12_GLOBAL__N_16kernel17lstm_cell_forwardIN3c104HalfEflLi1EEEvNS_4cuda6detail10TensorInfoIT_T1_EESB_SB_SB_SB_SB_SB_SB_SA_SA_
	.p2align	8
	.type	_ZN2at6native12_GLOBAL__N_16kernel17lstm_cell_forwardIN3c104HalfEflLi1EEEvNS_4cuda6detail10TensorInfoIT_T1_EESB_SB_SB_SB_SB_SB_SB_SA_SA_,@function
_ZN2at6native12_GLOBAL__N_16kernel17lstm_cell_forwardIN3c104HalfEflLi1EEEvNS_4cuda6detail10TensorInfoIT_T1_EESB_SB_SB_SB_SB_SB_SB_SA_SA_: ; @_ZN2at6native12_GLOBAL__N_16kernel17lstm_cell_forwardIN3c104HalfEflLi1EEEvNS_4cuda6detail10TensorInfoIT_T1_EESB_SB_SB_SB_SB_SB_SB_SA_SA_
; %bb.0:
	s_clause 0x1
	s_load_b32 s2, s[0:1], 0xd1c
	s_load_b128 s[4:7], s[0:1], 0xd00
	v_mov_b32_e32 v1, 0
	s_wait_kmcnt 0x0
	s_and_b32 s22, s2, 0xffff
	s_mov_b32 s2, exec_lo
	s_delay_alu instid0(VALU_DEP_1) | instskip(SKIP_1) | instid1(VALU_DEP_1)
	v_mad_co_u64_u32 v[3:4], null, ttmp9, s22, v[0:1]
	v_mov_b32_e32 v4, v1
	v_cmpx_gt_i64_e64 s[6:7], v[3:4]
	s_cbranch_execz .LBB10_18
; %bb.1:
	s_load_b64 s[36:37], s[0:1], 0x750
	s_add_nc_u64 s[8:9], s[0:1], 0xd10
	s_clause 0x3
	s_load_b64 s[2:3], s[0:1], 0x340
	s_load_b64 s[38:39], s[0:1], 0x680
	s_load_b64 s[40:41], s[0:1], 0x820
	s_load_b64 s[42:43], s[0:1], 0x8f0
	s_load_b32 s28, s[8:9], 0x0
	s_clause 0xa
	s_load_b64 s[8:9], s[0:1], 0x0
	s_load_b64 s[10:11], s[0:1], 0xd0
	;; [unrolled: 1-line block ×11, first 2 shown]
	s_mov_b32 s23, 0
	s_mul_u64 s[30:31], s[4:5], 3
	s_wait_alu 0xfffe
	s_mov_b32 s29, s23
	s_sub_nc_u64 s[34:35], 0, s[4:5]
	s_wait_kmcnt 0x0
	s_cmp_lg_u64 s[2:3], 0
	s_cselect_b32 s33, -1, 0
	v_mul_lo_u32 v11, 0, s42
	v_mad_co_u64_u32 v[7:8], null, v3, s42, 0
	s_mul_i32 s28, s28, s22
	v_mul_lo_u32 v0, 0, s36
	v_mul_lo_u32 v2, v3, s37
	v_mad_co_u64_u32 v[5:6], null, v3, s36, 0
	v_mul_lo_u32 v12, v3, s45
	v_mad_co_u64_u32 v[9:10], null, v3, s44, 0
	s_mul_u64 s[0:1], s[28:29], s[36:37]
	s_wait_alu 0xfffe
	s_lshl_b64 s[36:37], s[0:1], 1
	v_add3_u32 v6, v6, v2, v0
	v_mul_lo_u32 v0, v3, s43
	v_mul_lo_u32 v2, 0, s44
	s_mul_u64 s[0:1], s[28:29], s[42:43]
	s_ashr_i32 s42, s5, 31
	v_lshlrev_b64_e32 v[5:6], 1, v[5:6]
	s_delay_alu instid0(VALU_DEP_3) | instskip(SKIP_1) | instid1(VALU_DEP_4)
	v_add3_u32 v8, v8, v0, v11
	v_cvt_f32_u32_e32 v0, s4
	v_add3_u32 v10, v10, v12, v2
	s_delay_alu instid0(VALU_DEP_4) | instskip(NEXT) | instid1(VALU_DEP_4)
	v_add_co_u32 v5, vcc_lo, s38, v5
	v_lshlrev_b64_e32 v[7:8], 1, v[7:8]
	s_delay_alu instid0(VALU_DEP_4) | instskip(NEXT) | instid1(VALU_DEP_3)
	v_rcp_iflag_f32_e32 v0, v0
	v_lshlrev_b64_e32 v[9:10], 1, v[9:10]
	v_add_co_ci_u32_e64 v6, null, s39, v6, vcc_lo
	s_wait_alu 0xfffe
	s_lshl_b64 s[38:39], s[0:1], 1
	v_add_co_u32 v7, vcc_lo, s40, v7
	s_wait_alu 0xfffd
	v_add_co_ci_u32_e64 v8, null, s41, v8, vcc_lo
	v_add_co_u32 v9, vcc_lo, s46, v9
	s_delay_alu instid0(TRANS32_DEP_1)
	v_mul_f32_e32 v0, 0x4f7ffffe, v0
	s_wait_alu 0xfffd
	v_add_co_ci_u32_e64 v10, null, s47, v10, vcc_lo
	s_mul_u64 s[0:1], s[28:29], s[44:45]
	s_mov_b32 s29, 0xbbbac73d
	v_cvt_u32_f32_e32 v0, v0
	s_wait_alu 0xfffe
	s_lshl_b64 s[40:41], s[0:1], 1
	s_mov_b32 s46, 0
	s_branch .LBB10_3
.LBB10_2:                               ;   in Loop: Header=BB10_3 Depth=1
	s_wait_alu 0xfffe
	s_or_b32 exec_lo, exec_lo, s0
	v_cvt_f32_f16_e32 v16, v16
	v_cvt_f32_f16_e32 v21, v21
	v_mul_lo_u32 v28, v20, s26
	v_mul_lo_u32 v29, v14, s27
	;; [unrolled: 1-line block ×4, first 2 shown]
	v_add_f32_e32 v16, v16, v21
	v_mul_lo_u32 v2, v2, s26
	v_mul_lo_u32 v19, v19, s26
	;; [unrolled: 1-line block ×3, first 2 shown]
	v_bfi_b32 v26, 0x7fffffff, v26, v22
	v_add_f32_e32 v16, v16, v18
	v_add_co_u32 v3, s0, v3, s28
	v_cvt_f16_f32_e32 v22, v22
	s_wait_alu 0xf1ff
	v_add_co_ci_u32_e64 v4, null, 0, v4, s0
	v_add_f32_e32 v16, v17, v16
	v_cvt_f16_f32_e32 v24, v24
	v_add_co_u32 v5, s0, v5, s36
	s_wait_alu 0xf1ff
	v_add_co_ci_u32_e64 v6, null, s37, v6, s0
	v_mul_f32_e32 v17, 0xbfb8aa3b, v16
	v_cmp_nlt_f32_e32 vcc_lo, 0x42ce8ed0, v16
	v_cmp_le_i64_e64 s0, s[6:7], v[3:4]
	v_cvt_f16_f32_e32 v25, v25
	v_cvt_f16_f32_e32 v23, v23
	v_fma_f32 v18, 0xbfb8aa3b, v16, -v17
	v_rndne_f32_e32 v21, v17
	s_or_b32 s46, s0, s46
	s_delay_alu instid0(VALU_DEP_1) | instskip(NEXT) | instid1(VALU_DEP_1)
	v_dual_fmac_f32 v18, 0xb2a5705f, v16 :: v_dual_sub_f32 v17, v17, v21
	v_add_f32_e32 v17, v17, v18
	v_cvt_i32_f32_e32 v18, v21
	v_mad_co_u64_u32 v[20:21], null, v14, s26, 0
	v_mad_co_u64_u32 v[13:14], null, v15, s26, 0
	s_delay_alu instid0(VALU_DEP_4) | instskip(NEXT) | instid1(VALU_DEP_2)
	v_exp_f32_e32 v17, v17
	v_add3_u32 v21, v21, v29, v28
	s_delay_alu instid0(VALU_DEP_2) | instskip(NEXT) | instid1(TRANS32_DEP_1)
	v_add3_u32 v14, v14, v34, v33
	v_ldexp_f32 v17, v17, v18
	v_mul_lo_u32 v18, v11, s27
	s_delay_alu instid0(VALU_DEP_3) | instskip(SKIP_1) | instid1(VALU_DEP_3)
	v_lshlrev_b64_e32 v[13:14], 1, v[13:14]
	s_wait_alu 0xfffd
	v_cndmask_b32_e32 v17, 0, v17, vcc_lo
	v_cmp_ngt_f32_e32 vcc_lo, 0xc2b17218, v16
	s_wait_alu 0xfffd
	s_delay_alu instid0(VALU_DEP_2) | instskip(NEXT) | instid1(VALU_DEP_1)
	v_cndmask_b32_e32 v16, 0x7f800000, v17, vcc_lo
	v_add_f32_e32 v27, 1.0, v16
	v_mad_co_u64_u32 v[16:17], null, v11, s26, 0
	v_mad_co_u64_u32 v[11:12], null, v12, s26, 0
	s_delay_alu instid0(VALU_DEP_3) | instskip(SKIP_1) | instid1(VALU_DEP_4)
	v_div_scale_f32 v30, null, v27, v27, 1.0
	v_div_scale_f32 v35, vcc_lo, 1.0, v27, 1.0
	v_add3_u32 v17, v17, v18, v2
	s_delay_alu instid0(VALU_DEP_3) | instskip(NEXT) | instid1(VALU_DEP_4)
	v_rcp_f32_e32 v32, v30
	v_add3_u32 v12, v12, v31, v19
	s_delay_alu instid0(VALU_DEP_1) | instskip(NEXT) | instid1(TRANS32_DEP_1)
	v_lshlrev_b64_e32 v[11:12], 1, v[11:12]
	v_fma_f32 v15, -v30, v32, 1.0
	s_delay_alu instid0(VALU_DEP_1) | instskip(NEXT) | instid1(VALU_DEP_1)
	v_fmac_f32_e32 v32, v15, v32
	v_mul_f32_e32 v36, v35, v32
	s_delay_alu instid0(VALU_DEP_1) | instskip(NEXT) | instid1(VALU_DEP_1)
	v_fma_f32 v15, -v30, v36, v35
	v_fmac_f32_e32 v36, v15, v32
	v_lshlrev_b64_e32 v[15:16], 1, v[16:17]
	v_lshlrev_b64_e32 v[17:18], 1, v[20:21]
	s_delay_alu instid0(VALU_DEP_3) | instskip(NEXT) | instid1(VALU_DEP_3)
	v_fma_f32 v2, -v30, v36, v35
	v_add_co_u32 v15, s1, s24, v15
	s_wait_alu 0xf1ff
	s_delay_alu instid0(VALU_DEP_4)
	v_add_co_ci_u32_e64 v16, null, s25, v16, s1
	s_wait_alu 0xfffd
	v_div_fmas_f32 v2, v2, v32, v36
	v_add_co_u32 v17, vcc_lo, s24, v17
	s_wait_alu 0xfffd
	v_add_co_ci_u32_e64 v18, null, s25, v18, vcc_lo
	s_delay_alu instid0(VALU_DEP_3) | instskip(SKIP_3) | instid1(VALU_DEP_3)
	v_div_fixup_f32 v2, v2, v27, 1.0
	v_add_co_u32 v11, vcc_lo, s24, v11
	s_wait_alu 0xfffd
	v_add_co_ci_u32_e64 v12, null, s25, v12, vcc_lo
	v_fma_mixlo_f16 v19, v2, v26, 0
	v_add_co_u32 v13, vcc_lo, s24, v13
	s_wait_alu 0xfffd
	v_add_co_ci_u32_e64 v14, null, s25, v14, vcc_lo
	global_store_b16 v[7:8], v19, off
	global_store_b16 v[9:10], v22, off
	global_store_b16 v[15:16], v24, off
	v_add_co_u32 v7, vcc_lo, v7, s38
	s_wait_alu 0xfffd
	v_add_co_ci_u32_e64 v8, null, s39, v8, vcc_lo
	v_add_co_u32 v9, vcc_lo, v9, s40
	s_wait_alu 0xfffd
	v_add_co_ci_u32_e64 v10, null, s41, v10, vcc_lo
	v_cvt_f16_f32_e32 v2, v2
	s_clause 0x2
	global_store_b16 v[17:18], v25, off
	global_store_b16 v[11:12], v23, off
	;; [unrolled: 1-line block ×3, first 2 shown]
	s_wait_alu 0xfffe
	s_and_not1_b32 exec_lo, exec_lo, s46
	s_cbranch_execz .LBB10_18
.LBB10_3:                               ; =>This Inner Loop Header: Depth=1
	v_or_b32_e32 v2, s5, v4
                                        ; implicit-def: $vgpr17_vgpr18
	s_mov_b32 s0, exec_lo
	s_delay_alu instid0(VALU_DEP_1)
	v_cmpx_ne_u64_e32 0, v[1:2]
	s_wait_alu 0xfffe
	s_xor_b32 s1, exec_lo, s0
	s_cbranch_execz .LBB10_5
; %bb.4:                                ;   in Loop: Header=BB10_3 Depth=1
	s_mov_b32 s43, s42
	v_ashrrev_i32_e32 v2, 31, v4
	s_wait_alu 0xfffe
	s_add_nc_u64 s[44:45], s[4:5], s[42:43]
	s_wait_alu 0xfffe
	s_xor_b64 s[44:45], s[44:45], s[42:43]
	v_add_co_u32 v11, vcc_lo, v3, v2
	s_wait_alu 0xfffe
	s_cvt_f32_u32 s0, s44
	s_cvt_f32_u32 s22, s45
	s_sub_nc_u64 s[50:51], 0, s[44:45]
	s_wait_alu 0xfffd
	v_add_co_ci_u32_e64 v12, null, v4, v2, vcc_lo
	s_wait_alu 0xfffe
	s_fmamk_f32 s0, s22, 0x4f800000, s0
	v_xor_b32_e32 v17, v11, v2
	s_delay_alu instid0(VALU_DEP_2) | instskip(SKIP_3) | instid1(TRANS32_DEP_1)
	v_xor_b32_e32 v18, v12, v2
	s_wait_alu 0xfffe
	v_s_rcp_f32 s0, s0
	v_xor_b32_e32 v2, s42, v2
	s_mul_f32 s0, s0, 0x5f7ffffc
	s_wait_alu 0xfffe
	s_delay_alu instid0(SALU_CYCLE_2) | instskip(SKIP_1) | instid1(SALU_CYCLE_2)
	s_mul_f32 s22, s0, 0x2f800000
	s_wait_alu 0xfffe
	s_trunc_f32 s22, s22
	s_wait_alu 0xfffe
	s_delay_alu instid0(SALU_CYCLE_2) | instskip(SKIP_2) | instid1(SALU_CYCLE_1)
	s_fmamk_f32 s0, s22, 0xcf800000, s0
	s_cvt_u32_f32 s49, s22
	s_wait_alu 0xfffe
	s_cvt_u32_f32 s48, s0
	s_delay_alu instid0(SALU_CYCLE_3) | instskip(NEXT) | instid1(SALU_CYCLE_1)
	s_mul_u64 s[52:53], s[50:51], s[48:49]
	s_mul_hi_u32 s55, s48, s53
	s_mul_i32 s54, s48, s53
	s_mul_hi_u32 s22, s48, s52
	s_mul_i32 s43, s49, s52
	s_wait_alu 0xfffe
	s_add_nc_u64 s[54:55], s[22:23], s[54:55]
	s_mul_hi_u32 s0, s49, s52
	s_mul_hi_u32 s47, s49, s53
	s_add_co_u32 s22, s54, s43
	s_wait_alu 0xfffe
	s_add_co_ci_u32 s22, s55, s0
	s_mul_i32 s52, s49, s53
	s_add_co_ci_u32 s53, s47, 0
	s_wait_alu 0xfffe
	s_add_nc_u64 s[52:53], s[22:23], s[52:53]
	s_delay_alu instid0(SALU_CYCLE_1) | instskip(SKIP_4) | instid1(SALU_CYCLE_1)
	s_add_co_u32 s48, s48, s52
	s_cselect_b32 s0, -1, 0
	s_wait_alu 0xfffe
	s_cmp_lg_u32 s0, 0
	s_add_co_ci_u32 s49, s49, s53
	s_mul_u64 s[50:51], s[50:51], s[48:49]
	s_delay_alu instid0(SALU_CYCLE_1)
	s_mul_hi_u32 s53, s48, s51
	s_mul_i32 s52, s48, s51
	s_mul_hi_u32 s22, s48, s50
	s_mul_i32 s43, s49, s50
	s_wait_alu 0xfffe
	s_add_nc_u64 s[52:53], s[22:23], s[52:53]
	s_mul_hi_u32 s0, s49, s50
	s_mul_hi_u32 s47, s49, s51
	s_add_co_u32 s22, s52, s43
	s_wait_alu 0xfffe
	s_add_co_ci_u32 s22, s53, s0
	s_mul_i32 s50, s49, s51
	s_add_co_ci_u32 s51, s47, 0
	s_wait_alu 0xfffe
	s_add_nc_u64 s[50:51], s[22:23], s[50:51]
	s_delay_alu instid0(SALU_CYCLE_1)
	s_add_co_u32 s0, s48, s50
	s_cselect_b32 s22, -1, 0
	s_wait_alu 0xfffe
	v_mul_hi_u32 v19, v17, s0
	s_cmp_lg_u32 s22, 0
	v_mad_co_u64_u32 v[13:14], null, v18, s0, 0
	s_add_co_ci_u32 s22, s49, s51
	s_wait_alu 0xfffe
	v_mad_co_u64_u32 v[11:12], null, v17, s22, 0
	v_mad_co_u64_u32 v[15:16], null, v18, s22, 0
	s_delay_alu instid0(VALU_DEP_2) | instskip(SKIP_1) | instid1(VALU_DEP_3)
	v_add_co_u32 v11, vcc_lo, v19, v11
	s_wait_alu 0xfffd
	v_add_co_ci_u32_e64 v12, null, 0, v12, vcc_lo
	s_delay_alu instid0(VALU_DEP_2) | instskip(SKIP_1) | instid1(VALU_DEP_2)
	v_add_co_u32 v11, vcc_lo, v11, v13
	s_wait_alu 0xfffd
	v_add_co_ci_u32_e32 v11, vcc_lo, v12, v14, vcc_lo
	s_wait_alu 0xfffd
	v_add_co_ci_u32_e32 v12, vcc_lo, 0, v16, vcc_lo
	s_delay_alu instid0(VALU_DEP_2) | instskip(SKIP_1) | instid1(VALU_DEP_2)
	v_add_co_u32 v13, vcc_lo, v11, v15
	s_wait_alu 0xfffd
	v_add_co_ci_u32_e64 v14, null, 0, v12, vcc_lo
	s_delay_alu instid0(VALU_DEP_2) | instskip(SKIP_1) | instid1(VALU_DEP_3)
	v_mul_lo_u32 v15, s45, v13
	v_mad_co_u64_u32 v[11:12], null, s44, v13, 0
	v_mul_lo_u32 v16, s44, v14
	s_delay_alu instid0(VALU_DEP_2) | instskip(NEXT) | instid1(VALU_DEP_2)
	v_sub_co_u32 v11, vcc_lo, v17, v11
	v_add3_u32 v12, v12, v16, v15
	v_add_co_u32 v16, s0, v13, 2
	s_wait_alu 0xf1ff
	v_add_co_ci_u32_e64 v17, null, 0, v14, s0
	s_delay_alu instid0(VALU_DEP_3) | instskip(SKIP_3) | instid1(VALU_DEP_3)
	v_sub_nc_u32_e32 v15, v18, v12
	v_sub_co_u32 v19, s0, v11, s44
	s_wait_alu 0xfffd
	v_sub_co_ci_u32_e64 v12, null, v18, v12, vcc_lo
	v_subrev_co_ci_u32_e64 v15, null, s45, v15, vcc_lo
	s_delay_alu instid0(VALU_DEP_3) | instskip(SKIP_1) | instid1(VALU_DEP_2)
	v_cmp_le_u32_e32 vcc_lo, s44, v19
	s_wait_alu 0xf1ff
	v_subrev_co_ci_u32_e64 v15, null, 0, v15, s0
	s_wait_alu 0xfffd
	v_cndmask_b32_e64 v18, 0, -1, vcc_lo
	s_delay_alu instid0(VALU_DEP_2)
	v_cmp_le_u32_e32 vcc_lo, s45, v15
	s_wait_alu 0xfffd
	v_cndmask_b32_e64 v19, 0, -1, vcc_lo
	v_cmp_le_u32_e32 vcc_lo, s44, v11
	s_wait_alu 0xfffd
	v_cndmask_b32_e64 v11, 0, -1, vcc_lo
	;; [unrolled: 3-line block ×3, first 2 shown]
	v_cmp_eq_u32_e32 vcc_lo, s45, v15
	s_wait_alu 0xfffd
	v_cndmask_b32_e32 v15, v19, v18, vcc_lo
	v_add_co_u32 v18, vcc_lo, v13, 1
	s_wait_alu 0xfffd
	v_add_co_ci_u32_e64 v19, null, 0, v14, vcc_lo
	v_cmp_eq_u32_e32 vcc_lo, s45, v12
	s_wait_alu 0xfffd
	v_cndmask_b32_e32 v11, v20, v11, vcc_lo
	v_cmp_ne_u32_e32 vcc_lo, 0, v15
	s_wait_alu 0xfffd
	v_cndmask_b32_e32 v12, v19, v17, vcc_lo
	s_delay_alu instid0(VALU_DEP_3) | instskip(SKIP_2) | instid1(VALU_DEP_2)
	v_cmp_ne_u32_e64 s0, 0, v11
	v_cndmask_b32_e32 v11, v18, v16, vcc_lo
	s_wait_alu 0xf1ff
	v_cndmask_b32_e64 v12, v14, v12, s0
	s_delay_alu instid0(VALU_DEP_2) | instskip(NEXT) | instid1(VALU_DEP_2)
	v_cndmask_b32_e64 v11, v13, v11, s0
	v_xor_b32_e32 v12, v12, v2
	s_delay_alu instid0(VALU_DEP_2) | instskip(NEXT) | instid1(VALU_DEP_1)
	v_xor_b32_e32 v11, v11, v2
	v_sub_co_u32 v17, vcc_lo, v11, v2
	s_wait_alu 0xfffd
	s_delay_alu instid0(VALU_DEP_3)
	v_sub_co_ci_u32_e64 v18, null, v12, v2, vcc_lo
.LBB10_5:                               ;   in Loop: Header=BB10_3 Depth=1
	s_wait_alu 0xfffe
	s_and_not1_saveexec_b32 s0, s1
	s_cbranch_execz .LBB10_7
; %bb.6:                                ;   in Loop: Header=BB10_3 Depth=1
	s_sub_co_i32 s1, 0, s4
	v_mov_b32_e32 v18, v1
	s_wait_alu 0xfffe
	v_mul_lo_u32 v2, s1, v0
	s_delay_alu instid0(VALU_DEP_1) | instskip(NEXT) | instid1(VALU_DEP_1)
	v_mul_hi_u32 v2, v0, v2
	v_add_nc_u32_e32 v2, v0, v2
	s_delay_alu instid0(VALU_DEP_1) | instskip(NEXT) | instid1(VALU_DEP_1)
	v_mul_hi_u32 v2, v3, v2
	v_mul_lo_u32 v11, v2, s4
	v_add_nc_u32_e32 v12, 1, v2
	s_delay_alu instid0(VALU_DEP_2) | instskip(NEXT) | instid1(VALU_DEP_1)
	v_sub_nc_u32_e32 v11, v3, v11
	v_subrev_nc_u32_e32 v13, s4, v11
	v_cmp_le_u32_e32 vcc_lo, s4, v11
	s_wait_alu 0xfffd
	s_delay_alu instid0(VALU_DEP_2) | instskip(NEXT) | instid1(VALU_DEP_1)
	v_dual_cndmask_b32 v11, v11, v13 :: v_dual_cndmask_b32 v2, v2, v12
	v_cmp_le_u32_e32 vcc_lo, s4, v11
	s_delay_alu instid0(VALU_DEP_2) | instskip(SKIP_1) | instid1(VALU_DEP_1)
	v_add_nc_u32_e32 v12, 1, v2
	s_wait_alu 0xfffd
	v_cndmask_b32_e32 v17, v2, v12, vcc_lo
.LBB10_7:                               ;   in Loop: Header=BB10_3 Depth=1
	s_wait_alu 0xfffe
	s_or_b32 exec_lo, exec_lo, s0
	s_delay_alu instid0(VALU_DEP_1) | instskip(SKIP_3) | instid1(VALU_DEP_4)
	v_mad_co_u64_u32 v[19:20], null, v17, 3, 0
	v_mul_lo_u32 v14, s31, v17
	v_mad_co_u64_u32 v[11:12], null, s30, v17, v[3:4]
	v_mul_lo_u32 v2, s30, v18
	v_mov_b32_e32 v13, v20
	s_delay_alu instid0(VALU_DEP_3) | instskip(NEXT) | instid1(VALU_DEP_3)
	v_mul_lo_u32 v27, v11, s11
	v_add3_u32 v2, v14, v12, v2
	s_delay_alu instid0(VALU_DEP_3) | instskip(SKIP_4) | instid1(VALU_DEP_4)
	v_mad_co_u64_u32 v[20:21], null, v18, 3, v[13:14]
	v_add_co_u32 v12, vcc_lo, v19, 1
	v_add_co_u32 v13, s0, v19, 2
	v_mad_co_u64_u32 v[21:22], null, v11, s10, 0
	s_wait_alu 0xfffd
	v_add_co_ci_u32_e64 v16, null, 0, v20, vcc_lo
	v_mul_lo_u32 v23, s5, v12
	v_mad_co_u64_u32 v[14:15], null, s4, v12, v[3:4]
	s_wait_alu 0xf1ff
	v_add_co_ci_u32_e64 v24, null, 0, v20, s0
	v_mul_lo_u32 v16, s4, v16
	v_mul_lo_u32 v25, s5, v13
	v_mad_co_u64_u32 v[12:13], null, s4, v13, v[3:4]
	s_delay_alu instid0(VALU_DEP_4)
	v_mul_lo_u32 v26, s4, v24
	v_add_co_u32 v29, vcc_lo, v19, 3
	s_wait_alu 0xfffd
	v_add_co_ci_u32_e64 v30, null, 0, v20, vcc_lo
	v_add3_u32 v20, v23, v15, v16
	v_mul_lo_u32 v31, v14, s11
	v_mad_co_u64_u32 v[23:24], null, v14, s10, 0
	v_add3_u32 v19, v25, v13, v26
	s_delay_alu instid0(VALU_DEP_4)
	v_mul_lo_u32 v13, v20, s10
	v_mul_lo_u32 v30, s4, v30
	;; [unrolled: 1-line block ×3, first 2 shown]
	v_mad_co_u64_u32 v[15:16], null, s4, v29, v[3:4]
	v_mul_lo_u32 v28, v2, s10
	v_mul_lo_u32 v29, v19, s10
	v_mul_lo_u32 v33, v12, s11
	v_mad_co_u64_u32 v[25:26], null, v12, s10, 0
	v_add3_u32 v24, v24, v31, v13
	v_add3_u32 v13, v32, v16, v30
	v_mul_lo_u32 v35, v2, s14
	v_add3_u32 v22, v22, v27, v28
	v_mad_co_u64_u32 v[27:28], null, v15, s10, 0
	v_add3_u32 v26, v26, v33, v29
	v_mul_lo_u32 v16, v13, s10
	v_mul_lo_u32 v29, v15, s11
	v_lshlrev_b64_e32 v[21:22], 1, v[21:22]
	v_lshlrev_b64_e32 v[23:24], 1, v[23:24]
	;; [unrolled: 1-line block ×3, first 2 shown]
	v_mul_lo_u32 v36, v20, s14
	v_mul_lo_u32 v37, v14, s15
	v_mad_co_u64_u32 v[31:32], null, v14, s14, 0
	v_add_co_u32 v21, vcc_lo, s8, v21
	v_add3_u32 v28, v28, v29, v16
	s_wait_alu 0xfffd
	v_add_co_ci_u32_e64 v22, null, s9, v22, vcc_lo
	v_add_co_u32 v23, vcc_lo, s8, v23
	s_wait_alu 0xfffd
	v_add_co_ci_u32_e64 v24, null, s9, v24, vcc_lo
	v_add_co_u32 v29, vcc_lo, s8, v25
	s_wait_alu 0xfffd
	v_add_co_ci_u32_e64 v30, null, s9, v26, vcc_lo
	v_lshlrev_b64_e32 v[25:26], 1, v[27:28]
	v_mul_lo_u32 v16, v11, s15
	v_mad_co_u64_u32 v[27:28], null, v11, s14, 0
	v_mul_lo_u32 v38, v12, s15
	v_add3_u32 v32, v32, v37, v36
	v_add_co_u32 v33, vcc_lo, s8, v25
	s_wait_alu 0xfffd
	v_add_co_ci_u32_e64 v34, null, s9, v26, vcc_lo
	v_add3_u32 v28, v28, v16, v35
	v_mul_lo_u32 v16, v19, s14
	v_mad_co_u64_u32 v[25:26], null, v12, s14, 0
	v_mul_lo_u32 v39, v13, s14
	v_mul_lo_u32 v40, v15, s15
	v_mad_co_u64_u32 v[35:36], null, v15, s14, 0
	v_lshlrev_b64_e32 v[27:28], 1, v[27:28]
	v_lshlrev_b64_e32 v[31:32], 1, v[31:32]
	v_add3_u32 v26, v26, v38, v16
	s_delay_alu instid0(VALU_DEP_4) | instskip(NEXT) | instid1(VALU_DEP_4)
	v_add3_u32 v36, v36, v40, v39
	v_add_co_u32 v37, vcc_lo, s12, v27
	s_delay_alu instid0(VALU_DEP_3)
	v_lshlrev_b64_e32 v[25:26], 1, v[25:26]
	s_wait_alu 0xfffd
	v_add_co_ci_u32_e64 v38, null, s13, v28, vcc_lo
	v_lshlrev_b64_e32 v[27:28], 1, v[35:36]
	v_add_co_u32 v31, vcc_lo, s12, v31
	s_wait_alu 0xfffd
	v_add_co_ci_u32_e64 v32, null, s13, v32, vcc_lo
	v_add_co_u32 v35, vcc_lo, s12, v25
	s_wait_alu 0xfffd
	v_add_co_ci_u32_e64 v36, null, s13, v26, vcc_lo
	v_add_co_u32 v39, vcc_lo, s12, v27
	s_wait_alu 0xfffd
	v_add_co_ci_u32_e64 v40, null, s13, v28, vcc_lo
	s_clause 0x3
	global_load_u16 v25, v[21:22], off
	global_load_u16 v23, v[23:24], off
	;; [unrolled: 1-line block ×4, first 2 shown]
	s_clause 0x3
	global_load_u16 v26, v[37:38], off
	global_load_u16 v24, v[31:32], off
	;; [unrolled: 1-line block ×5, first 2 shown]
	s_and_not1_b32 vcc_lo, exec_lo, s33
	s_wait_alu 0xfffe
	s_cbranch_vccnz .LBB10_9
; %bb.8:                                ;   in Loop: Header=BB10_3 Depth=1
	v_mad_co_u64_u32 v[29:30], null, s34, v17, v[3:4]
	v_mul_lo_u32 v31, s34, v18
	v_mul_lo_u32 v32, s35, v17
	v_sub_co_u32 v33, vcc_lo, 1, v17
	s_wait_alu 0xfffd
	v_sub_co_ci_u32_e64 v34, null, 0, v18, vcc_lo
	v_mul_lo_u32 v38, v29, s17
	s_delay_alu instid0(VALU_DEP_3)
	v_mul_lo_u32 v35, s5, v33
	v_mul_lo_u32 v46, v29, s21
	v_add3_u32 v39, v32, v30, v31
	v_mul_lo_u32 v34, s4, v34
	v_mad_co_u64_u32 v[30:31], null, s4, v33, v[3:4]
	v_mad_co_u64_u32 v[32:33], null, v29, s16, 0
	s_delay_alu instid0(VALU_DEP_4) | instskip(SKIP_1) | instid1(VALU_DEP_4)
	v_mul_lo_u32 v40, v39, s16
	v_mul_lo_u32 v47, v39, s20
	v_add3_u32 v41, v35, v31, v34
	v_sub_co_u32 v31, vcc_lo, 2, v17
	s_wait_alu 0xfffd
	v_sub_co_ci_u32_e64 v36, null, 0, v18, vcc_lo
	s_delay_alu instid0(VALU_DEP_3) | instskip(SKIP_2) | instid1(VALU_DEP_4)
	v_mul_lo_u32 v42, v41, s16
	v_mul_lo_u32 v43, v30, s17
	v_mad_co_u64_u32 v[34:35], null, v30, s16, 0
	v_mul_lo_u32 v44, s4, v36
	v_mul_lo_u32 v45, s5, v31
	v_mad_co_u64_u32 v[36:37], null, s4, v31, v[3:4]
	v_add3_u32 v33, v33, v38, v40
	v_add3_u32 v35, v35, v43, v42
	s_delay_alu instid0(VALU_DEP_3)
	v_add3_u32 v42, v45, v37, v44
	v_sub_co_u32 v37, vcc_lo, 3, v17
	s_wait_alu 0xfffd
	v_sub_co_ci_u32_e64 v38, null, 0, v18, vcc_lo
	v_lshlrev_b64_e32 v[17:18], 1, v[32:33]
	v_lshlrev_b64_e32 v[31:32], 1, v[34:35]
	v_mul_lo_u32 v43, s5, v37
	s_delay_alu instid0(VALU_DEP_4)
	v_mul_lo_u32 v40, s4, v38
	v_mad_co_u64_u32 v[33:34], null, s4, v37, v[3:4]
	v_mul_lo_u32 v35, v42, s16
	v_mul_lo_u32 v44, v36, s17
	v_mad_co_u64_u32 v[37:38], null, v36, s16, 0
	v_add_co_u32 v17, vcc_lo, s2, v17
	v_add3_u32 v43, v43, v34, v40
	s_wait_alu 0xfffd
	v_add_co_ci_u32_e64 v18, null, s3, v18, vcc_lo
	v_add_co_u32 v31, vcc_lo, s2, v31
	v_add3_u32 v38, v38, v44, v35
	v_mul_lo_u32 v44, v43, s16
	v_mul_lo_u32 v45, v33, s17
	v_mad_co_u64_u32 v[34:35], null, v33, s16, 0
	v_mad_co_u64_u32 v[39:40], null, v29, s20, 0
	s_wait_alu 0xfffd
	v_add_co_ci_u32_e64 v32, null, s3, v32, vcc_lo
	s_clause 0x1
	global_load_u16 v48, v[17:18], off
	global_load_u16 v49, v[31:32], off
	v_lshlrev_b64_e32 v[17:18], 1, v[37:38]
	v_mul_lo_u32 v37, v41, s20
	v_mul_lo_u32 v38, v30, s21
	v_mad_co_u64_u32 v[29:30], null, v30, s20, 0
	v_add3_u32 v35, v35, v45, v44
	v_add3_u32 v40, v40, v46, v47
	v_mul_lo_u32 v41, v36, s21
	v_add_co_u32 v17, vcc_lo, s2, v17
	s_delay_alu instid0(VALU_DEP_4) | instskip(NEXT) | instid1(VALU_DEP_4)
	v_lshlrev_b64_e32 v[31:32], 1, v[34:35]
	v_lshlrev_b64_e32 v[34:35], 1, v[39:40]
	v_add3_u32 v30, v30, v38, v37
	v_mul_lo_u32 v40, v42, s20
	v_mad_co_u64_u32 v[36:37], null, v36, s20, 0
	v_mul_lo_u32 v42, v43, s20
	v_mul_lo_u32 v43, v33, s21
	v_mad_co_u64_u32 v[38:39], null, v33, s20, 0
	s_wait_alu 0xfffd
	v_add_co_ci_u32_e64 v18, null, s3, v18, vcc_lo
	v_add_co_u32 v34, vcc_lo, s18, v34
	s_wait_alu 0xfffd
	v_add_co_ci_u32_e64 v35, null, s19, v35, vcc_lo
	v_add3_u32 v37, v37, v41, v40
	v_add3_u32 v39, v39, v43, v42
	v_lshlrev_b64_e32 v[29:30], 1, v[29:30]
	global_load_u16 v40, v[34:35], off
	v_add_co_u32 v31, vcc_lo, s2, v31
	v_lshlrev_b64_e32 v[33:34], 1, v[36:37]
	v_lshlrev_b64_e32 v[35:36], 1, v[38:39]
	s_wait_alu 0xfffd
	v_add_co_ci_u32_e64 v32, null, s3, v32, vcc_lo
	v_add_co_u32 v29, vcc_lo, s18, v29
	s_wait_alu 0xfffd
	v_add_co_ci_u32_e64 v30, null, s19, v30, vcc_lo
	v_add_co_u32 v33, vcc_lo, s18, v33
	;; [unrolled: 3-line block ×3, first 2 shown]
	s_wait_alu 0xfffd
	v_add_co_ci_u32_e64 v36, null, s19, v36, vcc_lo
	global_load_u16 v29, v[29:30], off
	global_load_u16 v17, v[17:18], off
	;; [unrolled: 1-line block ×5, first 2 shown]
	s_wait_loadcnt 0x7
	v_cvt_f32_f16_e32 v32, v48
	s_wait_loadcnt 0x6
	v_cvt_f32_f16_e32 v31, v49
	;; [unrolled: 2-line block ×8, first 2 shown]
	s_branch .LBB10_10
.LBB10_9:                               ;   in Loop: Header=BB10_3 Depth=1
	v_dual_mov_b32 v17, 0 :: v_dual_mov_b32 v30, 0
	v_dual_mov_b32 v33, 0 :: v_dual_mov_b32 v18, 0
	v_dual_mov_b32 v29, 0 :: v_dual_mov_b32 v34, 0
	v_dual_mov_b32 v31, 0 :: v_dual_mov_b32 v32, 0
.LBB10_10:                              ;   in Loop: Header=BB10_3 Depth=1
	s_wait_loadcnt 0x6
	v_cvt_f32_f16_e32 v27, v27
	s_wait_loadcnt 0x2
	v_cvt_f32_f16_e32 v28, v28
	s_delay_alu instid0(VALU_DEP_1) | instskip(NEXT) | instid1(VALU_DEP_1)
	v_add_f32_e32 v27, v27, v28
                                        ; implicit-def: $vgpr28
	v_add_f32_e32 v27, v27, v34
	s_delay_alu instid0(VALU_DEP_1) | instskip(NEXT) | instid1(VALU_DEP_1)
	v_add_f32_e32 v27, v33, v27
	v_cmp_ngt_f32_e64 s0, 0x3f200000, |v27|
	s_and_saveexec_b32 s1, s0
	s_wait_alu 0xfffe
	s_xor_b32 s0, exec_lo, s1
	s_cbranch_execz .LBB10_12
; %bb.11:                               ;   in Loop: Header=BB10_3 Depth=1
	v_add_f32_e64 v28, |v27|, |v27|
	s_delay_alu instid0(VALU_DEP_1) | instskip(SKIP_1) | instid1(VALU_DEP_2)
	v_mul_f32_e32 v33, 0x3fb8aa3b, v28
	v_cmp_ngt_f32_e32 vcc_lo, 0xc2ce8ed0, v28
	v_rndne_f32_e32 v34, v33
	v_fma_f32 v35, 0x3fb8aa3b, v28, -v33
	s_delay_alu instid0(VALU_DEP_2) | instskip(NEXT) | instid1(VALU_DEP_2)
	v_sub_f32_e32 v33, v33, v34
	v_fmac_f32_e32 v35, 0x32a5705f, v28
	v_cvt_i32_f32_e32 v34, v34
	s_delay_alu instid0(VALU_DEP_2) | instskip(NEXT) | instid1(VALU_DEP_1)
	v_add_f32_e32 v33, v33, v35
	v_exp_f32_e32 v33, v33
	s_delay_alu instid0(TRANS32_DEP_1) | instskip(SKIP_1) | instid1(VALU_DEP_1)
	v_ldexp_f32 v33, v33, v34
	s_wait_alu 0xfffd
	v_cndmask_b32_e32 v33, 0, v33, vcc_lo
	v_cmp_nlt_f32_e32 vcc_lo, 0x42b17218, v28
	s_wait_alu 0xfffd
	s_delay_alu instid0(VALU_DEP_2) | instskip(NEXT) | instid1(VALU_DEP_1)
	v_cndmask_b32_e32 v28, 0x7f800000, v33, vcc_lo
	v_add_f32_e32 v28, 1.0, v28
	s_delay_alu instid0(VALU_DEP_1) | instskip(NEXT) | instid1(TRANS32_DEP_1)
	v_rcp_f32_e32 v28, v28
	v_fma_f32 v28, v28, -2.0, 1.0
.LBB10_12:                              ;   in Loop: Header=BB10_3 Depth=1
	s_wait_alu 0xfffe
	s_and_not1_saveexec_b32 s0, s0
	s_cbranch_execz .LBB10_14
; %bb.13:                               ;   in Loop: Header=BB10_3 Depth=1
	v_mul_f32_e32 v28, v27, v27
	s_delay_alu instid0(VALU_DEP_1) | instskip(NEXT) | instid1(VALU_DEP_1)
	v_fmaak_f32 v33, s29, v28, 0x3ca908c9
	v_fmaak_f32 v33, v28, v33, 0xbd5c1c4e
	s_delay_alu instid0(VALU_DEP_1) | instskip(NEXT) | instid1(VALU_DEP_1)
	v_fmaak_f32 v33, v28, v33, 0x3e088382
	v_fmaak_f32 v33, v28, v33, 0xbeaaaa99
	s_delay_alu instid0(VALU_DEP_1) | instskip(NEXT) | instid1(VALU_DEP_1)
	v_mul_f32_e64 v33, |v27|, v33
	v_fma_f32 v28, v28, v33, |v27|
.LBB10_14:                              ;   in Loop: Header=BB10_3 Depth=1
	s_wait_alu 0xfffe
	s_or_b32 exec_lo, exec_lo, s0
	v_cvt_f32_f16_e32 v25, v25
	v_cvt_f32_f16_e32 v26, v26
	v_cvt_f32_f16_e32 v23, v23
	v_cvt_f32_f16_e32 v24, v24
	s_delay_alu instid0(VALU_DEP_3) | instskip(NEXT) | instid1(VALU_DEP_2)
	v_add_f32_e32 v25, v25, v26
	v_add_f32_e32 v23, v23, v24
	s_delay_alu instid0(VALU_DEP_1) | instskip(NEXT) | instid1(VALU_DEP_1)
	v_dual_add_f32 v24, v25, v32 :: v_dual_add_f32 v23, v23, v31
	v_dual_add_f32 v24, v30, v24 :: v_dual_add_f32 v23, v29, v23
	s_delay_alu instid0(VALU_DEP_1) | instskip(SKIP_1) | instid1(VALU_DEP_3)
	v_mul_f32_e32 v25, 0xbfb8aa3b, v24
	v_cmp_nlt_f32_e32 vcc_lo, 0x42ce8ed0, v24
	v_mul_f32_e32 v26, 0xbfb8aa3b, v23
	s_delay_alu instid0(VALU_DEP_3) | instskip(SKIP_1) | instid1(VALU_DEP_3)
	v_fma_f32 v29, 0xbfb8aa3b, v24, -v25
	v_rndne_f32_e32 v30, v25
	v_fma_f32 v31, 0xbfb8aa3b, v23, -v26
	v_rndne_f32_e32 v32, v26
	s_delay_alu instid0(VALU_DEP_4) | instskip(NEXT) | instid1(VALU_DEP_2)
	v_fmac_f32_e32 v29, 0xb2a5705f, v24
	v_dual_sub_f32 v25, v25, v30 :: v_dual_sub_f32 v26, v26, v32
	s_delay_alu instid0(VALU_DEP_4) | instskip(NEXT) | instid1(VALU_DEP_2)
	v_fmac_f32_e32 v31, 0xb2a5705f, v23
	v_add_f32_e32 v25, v25, v29
	v_cvt_i32_f32_e32 v29, v30
	v_cvt_i32_f32_e32 v30, v32
	s_delay_alu instid0(VALU_DEP_4) | instskip(NEXT) | instid1(VALU_DEP_4)
	v_add_f32_e32 v26, v26, v31
	v_exp_f32_e32 v25, v25
	s_delay_alu instid0(VALU_DEP_1) | instskip(NEXT) | instid1(TRANS32_DEP_2)
	v_exp_f32_e32 v26, v26
	v_ldexp_f32 v25, v25, v29
	s_delay_alu instid0(TRANS32_DEP_1) | instskip(SKIP_1) | instid1(VALU_DEP_2)
	v_ldexp_f32 v26, v26, v30
	s_wait_alu 0xfffd
	v_cndmask_b32_e32 v25, 0, v25, vcc_lo
	v_cmp_nlt_f32_e32 vcc_lo, 0x42ce8ed0, v23
	s_wait_alu 0xfffd
	v_cndmask_b32_e32 v26, 0, v26, vcc_lo
	v_cmp_ngt_f32_e32 vcc_lo, 0xc2b17218, v24
	s_wait_alu 0xfffd
	v_cndmask_b32_e32 v24, 0x7f800000, v25, vcc_lo
	v_cmp_ngt_f32_e32 vcc_lo, 0xc2b17218, v23
	s_wait_alu 0xfffd
	v_cndmask_b32_e32 v23, 0x7f800000, v26, vcc_lo
	s_delay_alu instid0(VALU_DEP_1) | instskip(NEXT) | instid1(VALU_DEP_1)
	v_dual_add_f32 v25, 1.0, v23 :: v_dual_add_f32 v24, 1.0, v24
	v_div_scale_f32 v26, null, v25, v25, 1.0
	s_delay_alu instid0(VALU_DEP_2) | instskip(SKIP_1) | instid1(VALU_DEP_3)
	v_div_scale_f32 v23, null, v24, v24, 1.0
	v_div_scale_f32 v33, vcc_lo, 1.0, v24, 1.0
	v_rcp_f32_e32 v30, v26
	s_delay_alu instid0(VALU_DEP_2) | instskip(NEXT) | instid1(TRANS32_DEP_2)
	v_rcp_f32_e32 v29, v23
	v_fma_f32 v32, -v26, v30, 1.0
	s_delay_alu instid0(TRANS32_DEP_1) | instskip(NEXT) | instid1(VALU_DEP_1)
	v_fma_f32 v31, -v23, v29, 1.0
	v_dual_fmac_f32 v30, v32, v30 :: v_dual_fmac_f32 v29, v31, v29
	v_div_scale_f32 v31, s0, 1.0, v25, 1.0
	s_delay_alu instid0(VALU_DEP_2) | instskip(NEXT) | instid1(VALU_DEP_2)
	v_mul_f32_e32 v32, v33, v29
	v_mul_f32_e32 v34, v31, v30
	s_delay_alu instid0(VALU_DEP_2) | instskip(NEXT) | instid1(VALU_DEP_2)
	v_fma_f32 v35, -v23, v32, v33
	v_fma_f32 v36, -v26, v34, v31
	s_delay_alu instid0(VALU_DEP_2) | instskip(NEXT) | instid1(VALU_DEP_2)
	v_fmac_f32_e32 v32, v35, v29
	v_fmac_f32_e32 v34, v36, v30
	s_delay_alu instid0(VALU_DEP_2) | instskip(NEXT) | instid1(VALU_DEP_2)
	v_fma_f32 v23, -v23, v32, v33
	v_fma_f32 v26, -v26, v34, v31
	s_wait_alu 0xfffd
	s_delay_alu instid0(VALU_DEP_2) | instskip(SKIP_3) | instid1(VALU_DEP_2)
	v_div_fmas_f32 v23, v23, v29, v32
	s_mov_b32 vcc_lo, s0
	s_wait_alu 0xfffe
	v_div_fmas_f32 v26, v26, v30, v34
	v_div_fixup_f32 v24, v23, v24, 1.0
	v_bfi_b32 v23, 0x7fffffff, v28, v27
	s_delay_alu instid0(VALU_DEP_3) | instskip(NEXT) | instid1(VALU_DEP_2)
	v_div_fixup_f32 v25, v26, v25, 1.0
	v_mul_f32_e32 v26, v24, v23
	s_wait_loadcnt 0x0
	s_delay_alu instid0(VALU_DEP_1) | instskip(NEXT) | instid1(VALU_DEP_1)
	v_fma_mix_f32 v22, v25, v22, v26 op_sel_hi:[0,1,0]
                                        ; implicit-def: $vgpr26
	v_cmp_ngt_f32_e64 s0, 0x3f200000, |v22|
	s_and_saveexec_b32 s1, s0
	s_wait_alu 0xfffe
	s_xor_b32 s0, exec_lo, s1
	s_cbranch_execz .LBB10_16
; %bb.15:                               ;   in Loop: Header=BB10_3 Depth=1
	v_add_f32_e64 v26, |v22|, |v22|
	s_delay_alu instid0(VALU_DEP_1) | instskip(SKIP_1) | instid1(VALU_DEP_2)
	v_mul_f32_e32 v27, 0x3fb8aa3b, v26
	v_cmp_ngt_f32_e32 vcc_lo, 0xc2ce8ed0, v26
	v_rndne_f32_e32 v28, v27
	v_fma_f32 v29, 0x3fb8aa3b, v26, -v27
	s_delay_alu instid0(VALU_DEP_2) | instskip(NEXT) | instid1(VALU_DEP_2)
	v_sub_f32_e32 v27, v27, v28
	v_fmac_f32_e32 v29, 0x32a5705f, v26
	v_cvt_i32_f32_e32 v28, v28
	s_delay_alu instid0(VALU_DEP_2) | instskip(NEXT) | instid1(VALU_DEP_1)
	v_add_f32_e32 v27, v27, v29
	v_exp_f32_e32 v27, v27
	s_delay_alu instid0(TRANS32_DEP_1) | instskip(SKIP_1) | instid1(VALU_DEP_1)
	v_ldexp_f32 v27, v27, v28
	s_wait_alu 0xfffd
	v_cndmask_b32_e32 v27, 0, v27, vcc_lo
	v_cmp_nlt_f32_e32 vcc_lo, 0x42b17218, v26
	s_wait_alu 0xfffd
	s_delay_alu instid0(VALU_DEP_2) | instskip(NEXT) | instid1(VALU_DEP_1)
	v_cndmask_b32_e32 v26, 0x7f800000, v27, vcc_lo
	v_add_f32_e32 v26, 1.0, v26
	s_delay_alu instid0(VALU_DEP_1) | instskip(NEXT) | instid1(TRANS32_DEP_1)
	v_rcp_f32_e32 v26, v26
	v_fma_f32 v26, v26, -2.0, 1.0
.LBB10_16:                              ;   in Loop: Header=BB10_3 Depth=1
	s_wait_alu 0xfffe
	s_and_not1_saveexec_b32 s0, s0
	s_cbranch_execz .LBB10_2
; %bb.17:                               ;   in Loop: Header=BB10_3 Depth=1
	v_mul_f32_e32 v26, v22, v22
	s_delay_alu instid0(VALU_DEP_1) | instskip(NEXT) | instid1(VALU_DEP_1)
	v_fmaak_f32 v27, s29, v26, 0x3ca908c9
	v_fmaak_f32 v27, v26, v27, 0xbd5c1c4e
	s_delay_alu instid0(VALU_DEP_1) | instskip(NEXT) | instid1(VALU_DEP_1)
	v_fmaak_f32 v27, v26, v27, 0x3e088382
	v_fmaak_f32 v27, v26, v27, 0xbeaaaa99
	s_delay_alu instid0(VALU_DEP_1) | instskip(NEXT) | instid1(VALU_DEP_1)
	v_mul_f32_e64 v27, |v22|, v27
	v_fma_f32 v26, v26, v27, |v22|
	s_branch .LBB10_2
.LBB10_18:
	s_endpgm
	.section	.rodata,"a",@progbits
	.p2align	6, 0x0
	.amdhsa_kernel _ZN2at6native12_GLOBAL__N_16kernel17lstm_cell_forwardIN3c104HalfEflLi1EEEvNS_4cuda6detail10TensorInfoIT_T1_EESB_SB_SB_SB_SB_SB_SB_SA_SA_
		.amdhsa_group_segment_fixed_size 0
		.amdhsa_private_segment_fixed_size 0
		.amdhsa_kernarg_size 3600
		.amdhsa_user_sgpr_count 2
		.amdhsa_user_sgpr_dispatch_ptr 0
		.amdhsa_user_sgpr_queue_ptr 0
		.amdhsa_user_sgpr_kernarg_segment_ptr 1
		.amdhsa_user_sgpr_dispatch_id 0
		.amdhsa_user_sgpr_private_segment_size 0
		.amdhsa_wavefront_size32 1
		.amdhsa_uses_dynamic_stack 0
		.amdhsa_enable_private_segment 0
		.amdhsa_system_sgpr_workgroup_id_x 1
		.amdhsa_system_sgpr_workgroup_id_y 0
		.amdhsa_system_sgpr_workgroup_id_z 0
		.amdhsa_system_sgpr_workgroup_info 0
		.amdhsa_system_vgpr_workitem_id 0
		.amdhsa_next_free_vgpr 50
		.amdhsa_next_free_sgpr 56
		.amdhsa_reserve_vcc 1
		.amdhsa_float_round_mode_32 0
		.amdhsa_float_round_mode_16_64 0
		.amdhsa_float_denorm_mode_32 3
		.amdhsa_float_denorm_mode_16_64 3
		.amdhsa_fp16_overflow 0
		.amdhsa_workgroup_processor_mode 1
		.amdhsa_memory_ordered 1
		.amdhsa_forward_progress 1
		.amdhsa_inst_pref_size 38
		.amdhsa_round_robin_scheduling 0
		.amdhsa_exception_fp_ieee_invalid_op 0
		.amdhsa_exception_fp_denorm_src 0
		.amdhsa_exception_fp_ieee_div_zero 0
		.amdhsa_exception_fp_ieee_overflow 0
		.amdhsa_exception_fp_ieee_underflow 0
		.amdhsa_exception_fp_ieee_inexact 0
		.amdhsa_exception_int_div_zero 0
	.end_amdhsa_kernel
	.section	.text._ZN2at6native12_GLOBAL__N_16kernel17lstm_cell_forwardIN3c104HalfEflLi1EEEvNS_4cuda6detail10TensorInfoIT_T1_EESB_SB_SB_SB_SB_SB_SB_SA_SA_,"axG",@progbits,_ZN2at6native12_GLOBAL__N_16kernel17lstm_cell_forwardIN3c104HalfEflLi1EEEvNS_4cuda6detail10TensorInfoIT_T1_EESB_SB_SB_SB_SB_SB_SB_SA_SA_,comdat
.Lfunc_end10:
	.size	_ZN2at6native12_GLOBAL__N_16kernel17lstm_cell_forwardIN3c104HalfEflLi1EEEvNS_4cuda6detail10TensorInfoIT_T1_EESB_SB_SB_SB_SB_SB_SB_SA_SA_, .Lfunc_end10-_ZN2at6native12_GLOBAL__N_16kernel17lstm_cell_forwardIN3c104HalfEflLi1EEEvNS_4cuda6detail10TensorInfoIT_T1_EESB_SB_SB_SB_SB_SB_SB_SA_SA_
                                        ; -- End function
	.set _ZN2at6native12_GLOBAL__N_16kernel17lstm_cell_forwardIN3c104HalfEflLi1EEEvNS_4cuda6detail10TensorInfoIT_T1_EESB_SB_SB_SB_SB_SB_SB_SA_SA_.num_vgpr, 50
	.set _ZN2at6native12_GLOBAL__N_16kernel17lstm_cell_forwardIN3c104HalfEflLi1EEEvNS_4cuda6detail10TensorInfoIT_T1_EESB_SB_SB_SB_SB_SB_SB_SA_SA_.num_agpr, 0
	.set _ZN2at6native12_GLOBAL__N_16kernel17lstm_cell_forwardIN3c104HalfEflLi1EEEvNS_4cuda6detail10TensorInfoIT_T1_EESB_SB_SB_SB_SB_SB_SB_SA_SA_.numbered_sgpr, 56
	.set _ZN2at6native12_GLOBAL__N_16kernel17lstm_cell_forwardIN3c104HalfEflLi1EEEvNS_4cuda6detail10TensorInfoIT_T1_EESB_SB_SB_SB_SB_SB_SB_SA_SA_.num_named_barrier, 0
	.set _ZN2at6native12_GLOBAL__N_16kernel17lstm_cell_forwardIN3c104HalfEflLi1EEEvNS_4cuda6detail10TensorInfoIT_T1_EESB_SB_SB_SB_SB_SB_SB_SA_SA_.private_seg_size, 0
	.set _ZN2at6native12_GLOBAL__N_16kernel17lstm_cell_forwardIN3c104HalfEflLi1EEEvNS_4cuda6detail10TensorInfoIT_T1_EESB_SB_SB_SB_SB_SB_SB_SA_SA_.uses_vcc, 1
	.set _ZN2at6native12_GLOBAL__N_16kernel17lstm_cell_forwardIN3c104HalfEflLi1EEEvNS_4cuda6detail10TensorInfoIT_T1_EESB_SB_SB_SB_SB_SB_SB_SA_SA_.uses_flat_scratch, 0
	.set _ZN2at6native12_GLOBAL__N_16kernel17lstm_cell_forwardIN3c104HalfEflLi1EEEvNS_4cuda6detail10TensorInfoIT_T1_EESB_SB_SB_SB_SB_SB_SB_SA_SA_.has_dyn_sized_stack, 0
	.set _ZN2at6native12_GLOBAL__N_16kernel17lstm_cell_forwardIN3c104HalfEflLi1EEEvNS_4cuda6detail10TensorInfoIT_T1_EESB_SB_SB_SB_SB_SB_SB_SA_SA_.has_recursion, 0
	.set _ZN2at6native12_GLOBAL__N_16kernel17lstm_cell_forwardIN3c104HalfEflLi1EEEvNS_4cuda6detail10TensorInfoIT_T1_EESB_SB_SB_SB_SB_SB_SB_SA_SA_.has_indirect_call, 0
	.section	.AMDGPU.csdata,"",@progbits
; Kernel info:
; codeLenInByte = 4852
; TotalNumSgprs: 58
; NumVgprs: 50
; ScratchSize: 0
; MemoryBound: 0
; FloatMode: 240
; IeeeMode: 1
; LDSByteSize: 0 bytes/workgroup (compile time only)
; SGPRBlocks: 0
; VGPRBlocks: 6
; NumSGPRsForWavesPerEU: 58
; NumVGPRsForWavesPerEU: 50
; Occupancy: 16
; WaveLimiterHint : 1
; COMPUTE_PGM_RSRC2:SCRATCH_EN: 0
; COMPUTE_PGM_RSRC2:USER_SGPR: 2
; COMPUTE_PGM_RSRC2:TRAP_HANDLER: 0
; COMPUTE_PGM_RSRC2:TGID_X_EN: 1
; COMPUTE_PGM_RSRC2:TGID_Y_EN: 0
; COMPUTE_PGM_RSRC2:TGID_Z_EN: 0
; COMPUTE_PGM_RSRC2:TIDIG_COMP_CNT: 0
	.section	.text._ZN2at6native12_GLOBAL__N_16kernel17lstm_cell_forwardIN3c104HalfEflLi2EEEvNS_4cuda6detail10TensorInfoIT_T1_EESB_SB_SB_SB_SB_SB_SB_SA_SA_,"axG",@progbits,_ZN2at6native12_GLOBAL__N_16kernel17lstm_cell_forwardIN3c104HalfEflLi2EEEvNS_4cuda6detail10TensorInfoIT_T1_EESB_SB_SB_SB_SB_SB_SB_SA_SA_,comdat
	.globl	_ZN2at6native12_GLOBAL__N_16kernel17lstm_cell_forwardIN3c104HalfEflLi2EEEvNS_4cuda6detail10TensorInfoIT_T1_EESB_SB_SB_SB_SB_SB_SB_SA_SA_ ; -- Begin function _ZN2at6native12_GLOBAL__N_16kernel17lstm_cell_forwardIN3c104HalfEflLi2EEEvNS_4cuda6detail10TensorInfoIT_T1_EESB_SB_SB_SB_SB_SB_SB_SA_SA_
	.p2align	8
	.type	_ZN2at6native12_GLOBAL__N_16kernel17lstm_cell_forwardIN3c104HalfEflLi2EEEvNS_4cuda6detail10TensorInfoIT_T1_EESB_SB_SB_SB_SB_SB_SB_SA_SA_,@function
_ZN2at6native12_GLOBAL__N_16kernel17lstm_cell_forwardIN3c104HalfEflLi2EEEvNS_4cuda6detail10TensorInfoIT_T1_EESB_SB_SB_SB_SB_SB_SB_SA_SA_: ; @_ZN2at6native12_GLOBAL__N_16kernel17lstm_cell_forwardIN3c104HalfEflLi2EEEvNS_4cuda6detail10TensorInfoIT_T1_EESB_SB_SB_SB_SB_SB_SB_SA_SA_
; %bb.0:
	s_clause 0x1
	s_load_b32 s2, s[0:1], 0xd1c
	s_load_b128 s[4:7], s[0:1], 0xd00
	v_mov_b32_e32 v1, 0
	s_wait_kmcnt 0x0
	s_and_b32 s64, s2, 0xffff
	s_mov_b32 s2, exec_lo
	s_delay_alu instid0(VALU_DEP_1) | instskip(SKIP_1) | instid1(VALU_DEP_1)
	v_mad_co_u64_u32 v[3:4], null, ttmp9, s64, v[0:1]
	v_mov_b32_e32 v4, v1
	v_cmpx_gt_i64_e64 s[6:7], v[3:4]
	s_cbranch_execz .LBB11_78
; %bb.1:
	s_clause 0x1
	s_load_b64 s[2:3], s[0:1], 0x0
	s_load_b64 s[34:35], s[0:1], 0x10
	v_cvt_f32_u32_e32 v0, s4
	s_add_nc_u64 s[16:17], s[0:1], 0xd10
	s_clause 0x9
	s_load_b128 s[8:11], s[0:1], 0xd0
	s_load_b64 s[36:37], s[0:1], 0x1a0
	s_load_b64 s[38:39], s[0:1], 0x1b0
	s_load_b128 s[12:15], s[0:1], 0x270
	s_load_b64 s[40:41], s[0:1], 0x340
	s_load_b64 s[42:43], s[0:1], 0x410
	s_load_b64 s[44:45], s[0:1], 0x4e0
	s_load_b64 s[46:47], s[0:1], 0x5b0
	s_load_b64 s[48:49], s[0:1], 0x680
	s_load_b64 s[50:51], s[0:1], 0x690
	s_load_b32 s65, s[16:17], 0x0
	s_clause 0x9
	s_load_b128 s[16:19], s[0:1], 0x750
	s_load_b64 s[52:53], s[0:1], 0x820
	s_load_b64 s[54:55], s[0:1], 0x830
	s_load_b128 s[20:23], s[0:1], 0x8f0
	s_load_b64 s[56:57], s[0:1], 0x9c0
	s_load_b64 s[58:59], s[0:1], 0x9d0
	;; [unrolled: 3-line block ×3, first 2 shown]
	s_load_b128 s[28:31], s[0:1], 0xc30
	s_mov_b32 s1, 0
	v_rcp_iflag_f32_e32 v0, v0
	s_sub_nc_u64 s[66:67], 0, s[4:5]
	s_mov_b32 s79, 0xbbbac73d
	s_mov_b32 s80, 0
	s_wait_kmcnt 0x0
	s_cmp_lg_u64 s[40:41], 0
	s_cselect_b32 s33, -1, 0
	s_sub_nc_u64 s[68:69], 0, s[50:51]
	s_delay_alu instid0(TRANS32_DEP_1)
	v_mul_f32_e32 v0, 0x4f7ffffe, v0
	s_mul_i32 s78, s65, s64
	s_mul_u64 s[64:65], s[4:5], 3
	v_cvt_f32_u32_e32 v2, s34
	s_sub_nc_u64 s[70:71], 0, s[54:55]
	v_cvt_u32_f32_e32 v0, v0
	s_sub_nc_u64 s[72:73], 0, s[58:59]
	s_delay_alu instid0(VALU_DEP_2) | instskip(NEXT) | instid1(TRANS32_DEP_1)
	v_rcp_iflag_f32_e32 v2, v2
	v_mul_f32_e32 v2, 0x4f7ffffe, v2
	s_delay_alu instid0(VALU_DEP_1)
	v_cvt_u32_f32_e32 v27, v2
	s_branch .LBB11_3
.LBB11_2:                               ;   in Loop: Header=BB11_3 Depth=1
	s_wait_alu 0xfffe
	s_or_b32 exec_lo, exec_lo, s0
	v_cvt_f32_f16_e32 v30, v32
	v_cvt_f32_f16_e32 v31, v38
	v_mul_lo_u32 v40, s73, v25
	v_mul_lo_u32 v41, v26, s24
	v_mul_lo_u32 v42, v25, s25
	v_mul_lo_u32 v43, s70, v24
	v_add_f32_e32 v30, v30, v31
	v_mul_lo_u32 v44, s71, v23
	v_mul_lo_u32 v51, v20, s62
	v_mul_lo_u32 v52, v19, s63
	v_mul_lo_u32 v47, v22, s62
	v_add_f32_e32 v30, v30, v39
	;; [unrolled: 5-line block ×3, first 2 shown]
	v_mad_co_u64_u32 v[30:31], null, s72, v25, v[3:4]
	v_mad_co_u64_u32 v[25:26], null, v25, s24, 0
	s_delay_alu instid0(VALU_DEP_3)
	v_mul_f32_e32 v32, 0xbfb8aa3b, v38
	v_cmp_nlt_f32_e32 vcc_lo, 0x42ce8ed0, v38
	v_mul_lo_u32 v45, v24, s20
	v_mul_lo_u32 v46, v23, s21
	v_add3_u32 v39, v40, v31, v39
	v_fma_f32 v34, 0xbfb8aa3b, v38, -v32
	v_rndne_f32_e32 v35, v32
	v_add3_u32 v26, v26, v42, v41
	v_mul_lo_u32 v40, v30, s27
	v_mad_co_u64_u32 v[30:31], null, v30, s26, 0
	v_fmac_f32_e32 v34, 0xb2a5705f, v38
	v_sub_f32_e32 v36, v32, v35
	v_cvt_i32_f32_e32 v37, v35
	v_mad_co_u64_u32 v[32:33], null, s70, v23, v[3:4]
	v_mad_co_u64_u32 v[23:24], null, v23, s20, 0
	s_delay_alu instid0(VALU_DEP_4)
	v_add_f32_e32 v34, v36, v34
	v_mul_lo_u32 v39, v39, s26
	v_lshlrev_b64_e32 v[25:26], 1, v[25:26]
	v_cvt_f16_f32_e32 v9, v9
	v_add3_u32 v41, v44, v33, v43
	v_exp_f32_e32 v36, v34
	v_mad_co_u64_u32 v[34:35], null, v21, s62, 0
	v_mad_co_u64_u32 v[21:22], null, v21, s28, 0
	v_mul_lo_u32 v42, v32, s23
	v_mad_co_u64_u32 v[32:33], null, v32, s22, 0
	v_add3_u32 v24, v24, v46, v45
	v_add3_u32 v35, v35, v48, v47
	s_delay_alu instid0(TRANS32_DEP_1)
	v_ldexp_f32 v36, v36, v37
	v_add3_u32 v22, v22, v50, v49
	v_mul_lo_u32 v41, v41, s22
	v_add3_u32 v31, v31, v40, v39
	v_lshlrev_b64_e32 v[23:24], 1, v[23:24]
	s_wait_alu 0xfffd
	v_cndmask_b32_e32 v53, 0, v36, vcc_lo
	v_cmp_ngt_f32_e32 vcc_lo, 0xc2b17218, v38
	v_mad_co_u64_u32 v[36:37], null, v19, s62, 0
	v_cvt_f16_f32_e32 v2, v2
	v_add3_u32 v33, v33, v42, v41
	s_wait_alu 0xfffd
	v_cndmask_b32_e32 v38, 0x7f800000, v53, vcc_lo
	v_sub_co_u32 v13, vcc_lo, v13, v34
	s_wait_alu 0xfffd
	v_sub_co_ci_u32_e64 v35, null, v14, v35, vcc_lo
	s_delay_alu instid0(VALU_DEP_3) | instskip(SKIP_3) | instid1(VALU_DEP_4)
	v_add_f32_e32 v38, 1.0, v38
	v_add3_u32 v34, v37, v52, v51
	v_add_co_u32 v44, vcc_lo, v3, v13
	v_lshlrev_b64_e32 v[13:14], 1, v[21:22]
	v_div_scale_f32 v43, null, v38, v38, 1.0
	v_sub_co_u32 v22, s0, v11, v36
	s_wait_alu 0xf1ff
	v_sub_co_ci_u32_e64 v34, null, v12, v34, s0
	s_delay_alu instid0(VALU_DEP_3) | instskip(SKIP_3) | instid1(TRANS32_DEP_1)
	v_rcp_f32_e32 v37, v43
	v_div_scale_f32 v36, s0, 1.0, v38, 1.0
	v_mad_co_u64_u32 v[11:12], null, v44, s30, 0
	v_cvt_f16_f32_e32 v10, v10
	v_fma_f32 v21, -v43, v37, 1.0
	s_delay_alu instid0(VALU_DEP_1)
	v_fmac_f32_e32 v37, v21, v37
	s_wait_alu 0xfffd
	v_add_co_ci_u32_e64 v21, null, v4, v35, vcc_lo
	v_mul_lo_u32 v35, v44, s31
	v_add_co_u32 v45, vcc_lo, v3, v22
	v_mul_f32_e32 v44, v36, v37
	s_delay_alu instid0(VALU_DEP_4)
	v_mul_lo_u32 v40, v21, s30
	v_lshlrev_b64_e32 v[21:22], 1, v[30:31]
	s_wait_alu 0xfffd
	v_add_co_ci_u32_e64 v34, null, v4, v34, vcc_lo
	v_fma_f32 v39, -v43, v44, v36
	v_add_co_u32 v25, vcc_lo, s56, v25
	s_wait_alu 0xfffd
	v_add_co_ci_u32_e64 v26, null, s57, v26, vcc_lo
	s_delay_alu instid0(VALU_DEP_3)
	v_fmac_f32_e32 v44, v39, v37
	v_add_co_u32 v30, vcc_lo, s52, v23
	s_wait_alu 0xfffd
	v_add_co_ci_u32_e64 v31, null, s53, v24, vcc_lo
	v_lshlrev_b64_e32 v[23:24], 1, v[32:33]
	v_fma_f32 v32, -v43, v44, v36
	v_add_co_u32 v21, vcc_lo, v25, v21
	s_wait_alu 0xfffd
	v_add_co_ci_u32_e64 v22, null, v26, v22, vcc_lo
	s_mov_b32 vcc_lo, s0
	v_add3_u32 v12, v12, v35, v40
	s_wait_alu 0xfffe
	v_div_fmas_f32 v25, v32, v37, v44
	v_add_co_u32 v23, vcc_lo, v30, v23
	v_mul_lo_u32 v36, v18, s62
	v_mul_lo_u32 v37, v17, s63
	s_delay_alu instid0(VALU_DEP_4)
	v_div_fixup_f32 v30, v25, v38, 1.0
	v_mad_co_u64_u32 v[25:26], null, v17, s62, 0
	v_lshlrev_b64_e32 v[11:12], 1, v[11:12]
	s_wait_alu 0xfffd
	v_add_co_ci_u32_e64 v24, null, v31, v24, vcc_lo
	v_add_co_u32 v31, vcc_lo, s60, v13
	s_wait_alu 0xfffd
	v_add_co_ci_u32_e64 v32, null, s61, v14, vcc_lo
	v_add3_u32 v26, v26, v37, v36
	s_delay_alu instid0(VALU_DEP_3) | instskip(SKIP_1) | instid1(VALU_DEP_3)
	v_add_co_u32 v11, vcc_lo, v31, v11
	s_wait_alu 0xfffd
	v_add_co_ci_u32_e64 v12, null, v32, v12, vcc_lo
	v_sub_co_u32 v7, vcc_lo, v7, v25
	s_wait_alu 0xfffd
	v_sub_co_ci_u32_e64 v8, null, v8, v26, vcc_lo
	v_mul_lo_u32 v31, v16, s62
	s_delay_alu instid0(VALU_DEP_3) | instskip(SKIP_1) | instid1(VALU_DEP_3)
	v_add_co_u32 v25, vcc_lo, v3, v7
	s_wait_alu 0xfffd
	v_add_co_ci_u32_e64 v26, null, v4, v8, vcc_lo
	v_mul_lo_u32 v32, v15, s63
	v_mad_co_u64_u32 v[7:8], null, v15, s62, 0
	v_mul_lo_u32 v33, v34, s30
	v_mul_lo_u32 v34, v45, s31
	v_mad_co_u64_u32 v[13:14], null, v45, s30, 0
	v_mul_lo_u32 v35, v20, s28
	v_mul_lo_u32 v38, v19, s29
	v_mad_co_u64_u32 v[19:20], null, v19, s28, 0
	v_add3_u32 v8, v8, v32, v31
	v_mul_lo_u32 v36, v17, s29
	v_add3_u32 v14, v14, v34, v33
	v_mul_lo_u32 v33, v26, s30
	v_mul_lo_u32 v34, v25, s31
	v_mad_co_u64_u32 v[25:26], null, v25, s30, 0
	v_add3_u32 v20, v20, v38, v35
	v_mul_lo_u32 v35, v18, s28
	v_mad_co_u64_u32 v[17:18], null, v17, s28, 0
	v_sub_co_u32 v5, vcc_lo, v5, v7
	s_wait_alu 0xfffd
	v_sub_co_ci_u32_e64 v6, null, v6, v8, vcc_lo
	v_lshlrev_b64_e32 v[19:20], 1, v[19:20]
	s_delay_alu instid0(VALU_DEP_3)
	v_add_co_u32 v31, vcc_lo, v3, v5
	v_add3_u32 v18, v18, v36, v35
	s_wait_alu 0xfffd
	v_add_co_ci_u32_e64 v32, null, v4, v6, vcc_lo
	v_lshlrev_b64_e32 v[5:6], 1, v[13:14]
	v_add3_u32 v26, v26, v34, v33
	v_mul_lo_u32 v34, v16, s28
	v_mul_lo_u32 v35, v15, s29
	v_mad_co_u64_u32 v[13:14], null, v15, s28, 0
	v_add_co_u32 v19, vcc_lo, s60, v19
	v_lshlrev_b64_e32 v[7:8], 1, v[17:18]
	v_mul_lo_u32 v32, v32, s30
	v_mul_lo_u32 v33, v31, s31
	v_mad_co_u64_u32 v[15:16], null, v31, s30, 0
	s_wait_alu 0xfffd
	v_add_co_ci_u32_e64 v20, null, s61, v20, vcc_lo
	v_add3_u32 v14, v14, v35, v34
	v_add_co_u32 v5, vcc_lo, v19, v5
	s_wait_alu 0xfffd
	s_delay_alu instid0(VALU_DEP_3)
	v_add_co_ci_u32_e64 v6, null, v20, v6, vcc_lo
	v_lshlrev_b64_e32 v[17:18], 1, v[25:26]
	v_add_co_u32 v19, vcc_lo, s60, v7
	s_wait_alu 0xfffd
	v_add_co_ci_u32_e64 v20, null, s61, v8, vcc_lo
	v_add3_u32 v16, v16, v33, v32
	v_lshlrev_b64_e32 v[7:8], 1, v[13:14]
	v_add_co_u32 v13, vcc_lo, v19, v17
	s_wait_alu 0xfffd
	v_add_co_ci_u32_e64 v14, null, v20, v18, vcc_lo
	v_lshlrev_b64_e32 v[15:16], 1, v[15:16]
	s_delay_alu instid0(VALU_DEP_4) | instskip(SKIP_3) | instid1(VALU_DEP_3)
	v_add_co_u32 v7, vcc_lo, s60, v7
	s_wait_alu 0xfffd
	v_add_co_ci_u32_e64 v8, null, s61, v8, vcc_lo
	v_bfi_b32 v17, 0x7fffffff, v29, v28
	v_add_co_u32 v7, vcc_lo, v7, v15
	s_wait_alu 0xfffd
	s_delay_alu instid0(VALU_DEP_3)
	v_add_co_ci_u32_e64 v8, null, v8, v16, vcc_lo
	v_add_co_u32 v3, vcc_lo, v3, s78
	s_wait_alu 0xfffd
	v_add_co_ci_u32_e64 v4, null, 0, v4, vcc_lo
	v_fma_mixlo_f16 v15, v30, v17, 0
	v_cvt_f16_f32_e32 v16, v28
	s_delay_alu instid0(VALU_DEP_3)
	v_cmp_le_i64_e32 vcc_lo, s[6:7], v[3:4]
	global_store_b16 v[23:24], v15, off
	v_cvt_f16_f32_e32 v15, v30
	global_store_b16 v[21:22], v16, off
	s_clause 0x1
	global_store_b16 v[7:8], v9, off
	global_store_b16 v[13:14], v10, off
	s_or_b32 s80, vcc_lo, s80
	s_clause 0x1
	global_store_b16 v[5:6], v2, off
	global_store_b16 v[11:12], v15, off
	s_and_not1_b32 exec_lo, exec_lo, s80
	s_cbranch_execz .LBB11_78
.LBB11_3:                               ; =>This Inner Loop Header: Depth=1
	v_or_b32_e32 v2, s5, v4
	v_ashrrev_i32_e32 v28, 31, v4
                                        ; implicit-def: $vgpr9_vgpr10
	s_mov_b32 s0, exec_lo
	s_delay_alu instid0(VALU_DEP_2)
	v_cmpx_ne_u64_e32 0, v[1:2]
	s_wait_alu 0xfffe
	s_xor_b32 s81, exec_lo, s0
	s_cbranch_execz .LBB11_5
; %bb.4:                                ;   in Loop: Header=BB11_3 Depth=1
	s_ashr_i32 s74, s5, 31
	v_add_co_u32 v2, vcc_lo, v3, v28
	s_wait_alu 0xfffe
	s_mov_b32 s75, s74
	s_wait_alu 0xfffd
	v_add_co_ci_u32_e64 v5, null, v4, v28, vcc_lo
	s_wait_alu 0xfffe
	s_add_nc_u64 s[76:77], s[4:5], s[74:75]
	v_xor_b32_e32 v2, v2, v28
	s_wait_alu 0xfffe
	s_xor_b64 s[76:77], s[76:77], s[74:75]
	v_xor_b32_e32 v11, v5, v28
	s_wait_alu 0xfffe
	s_cvt_f32_u32 s0, s76
	s_cvt_f32_u32 s75, s77
	s_sub_nc_u64 s[84:85], 0, s[76:77]
	s_wait_alu 0xfffe
	s_delay_alu instid0(SALU_CYCLE_1) | instskip(SKIP_1) | instid1(SALU_CYCLE_2)
	s_fmamk_f32 s0, s75, 0x4f800000, s0
	s_wait_alu 0xfffe
	v_s_rcp_f32 s0, s0
	s_delay_alu instid0(TRANS32_DEP_1) | instskip(SKIP_1) | instid1(SALU_CYCLE_2)
	s_mul_f32 s0, s0, 0x5f7ffffc
	s_wait_alu 0xfffe
	s_mul_f32 s75, s0, 0x2f800000
	s_wait_alu 0xfffe
	s_delay_alu instid0(SALU_CYCLE_2) | instskip(SKIP_1) | instid1(SALU_CYCLE_2)
	s_trunc_f32 s75, s75
	s_wait_alu 0xfffe
	s_fmamk_f32 s0, s75, 0xcf800000, s0
	s_cvt_u32_f32 s83, s75
	s_wait_alu 0xfffe
	s_delay_alu instid0(SALU_CYCLE_1) | instskip(NEXT) | instid1(SALU_CYCLE_3)
	s_cvt_u32_f32 s82, s0
	s_mul_u64 s[86:87], s[84:85], s[82:83]
	s_delay_alu instid0(SALU_CYCLE_1)
	s_mul_hi_u32 s89, s82, s87
	s_mul_i32 s88, s82, s87
	s_mul_hi_u32 s0, s82, s86
	s_mul_i32 s90, s83, s86
	s_wait_alu 0xfffe
	s_add_nc_u64 s[88:89], s[0:1], s[88:89]
	s_mul_hi_u32 s75, s83, s86
	s_mul_hi_u32 s91, s83, s87
	s_add_co_u32 s0, s88, s90
	s_wait_alu 0xfffe
	s_add_co_ci_u32 s0, s89, s75
	s_mul_i32 s86, s83, s87
	s_add_co_ci_u32 s87, s91, 0
	s_wait_alu 0xfffe
	s_add_nc_u64 s[86:87], s[0:1], s[86:87]
	s_delay_alu instid0(SALU_CYCLE_1) | instskip(SKIP_4) | instid1(SALU_CYCLE_1)
	s_add_co_u32 s82, s82, s86
	s_cselect_b32 s0, -1, 0
	s_wait_alu 0xfffe
	s_cmp_lg_u32 s0, 0
	s_add_co_ci_u32 s83, s83, s87
	s_mul_u64 s[84:85], s[84:85], s[82:83]
	s_delay_alu instid0(SALU_CYCLE_1)
	s_mul_hi_u32 s87, s82, s85
	s_mul_i32 s86, s82, s85
	s_mul_hi_u32 s0, s82, s84
	s_mul_i32 s88, s83, s84
	s_wait_alu 0xfffe
	s_add_nc_u64 s[86:87], s[0:1], s[86:87]
	s_mul_hi_u32 s75, s83, s84
	s_mul_hi_u32 s89, s83, s85
	s_add_co_u32 s0, s86, s88
	s_wait_alu 0xfffe
	s_add_co_ci_u32 s0, s87, s75
	s_mul_i32 s84, s83, s85
	s_add_co_ci_u32 s85, s89, 0
	s_wait_alu 0xfffe
	s_add_nc_u64 s[84:85], s[0:1], s[84:85]
	s_delay_alu instid0(SALU_CYCLE_1)
	s_add_co_u32 s0, s82, s84
	s_cselect_b32 s75, -1, 0
	s_wait_alu 0xfffe
	v_mul_hi_u32 v12, v2, s0
	s_cmp_lg_u32 s75, 0
	v_mad_co_u64_u32 v[7:8], null, v11, s0, 0
	s_add_co_ci_u32 s75, s83, s85
	s_wait_alu 0xfffe
	v_mad_co_u64_u32 v[5:6], null, v2, s75, 0
	v_mad_co_u64_u32 v[9:10], null, v11, s75, 0
	s_delay_alu instid0(VALU_DEP_2) | instskip(SKIP_1) | instid1(VALU_DEP_3)
	v_add_co_u32 v5, vcc_lo, v12, v5
	s_wait_alu 0xfffd
	v_add_co_ci_u32_e64 v6, null, 0, v6, vcc_lo
	s_delay_alu instid0(VALU_DEP_2) | instskip(SKIP_1) | instid1(VALU_DEP_2)
	v_add_co_u32 v5, vcc_lo, v5, v7
	s_wait_alu 0xfffd
	v_add_co_ci_u32_e32 v5, vcc_lo, v6, v8, vcc_lo
	s_wait_alu 0xfffd
	v_add_co_ci_u32_e32 v6, vcc_lo, 0, v10, vcc_lo
	s_delay_alu instid0(VALU_DEP_2) | instskip(SKIP_1) | instid1(VALU_DEP_2)
	v_add_co_u32 v7, vcc_lo, v5, v9
	s_wait_alu 0xfffd
	v_add_co_ci_u32_e64 v8, null, 0, v6, vcc_lo
	s_delay_alu instid0(VALU_DEP_2) | instskip(SKIP_1) | instid1(VALU_DEP_3)
	v_mul_lo_u32 v9, s77, v7
	v_mad_co_u64_u32 v[5:6], null, s76, v7, 0
	v_mul_lo_u32 v10, s76, v8
	s_delay_alu instid0(VALU_DEP_2) | instskip(NEXT) | instid1(VALU_DEP_2)
	v_sub_co_u32 v2, vcc_lo, v2, v5
	v_add3_u32 v6, v6, v10, v9
	s_delay_alu instid0(VALU_DEP_1) | instskip(SKIP_2) | instid1(VALU_DEP_2)
	v_sub_nc_u32_e32 v9, v11, v6
	s_wait_alu 0xfffd
	v_sub_co_ci_u32_e64 v6, null, v11, v6, vcc_lo
	v_subrev_co_ci_u32_e64 v5, null, s77, v9, vcc_lo
	v_add_co_u32 v9, s0, v7, 2
	s_wait_alu 0xf1ff
	v_add_co_ci_u32_e64 v10, null, 0, v8, s0
	v_sub_co_u32 v12, s0, v2, s76
	s_wait_alu 0xf1ff
	v_subrev_co_ci_u32_e64 v5, null, 0, v5, s0
	s_delay_alu instid0(VALU_DEP_2) | instskip(SKIP_2) | instid1(VALU_DEP_3)
	v_cmp_le_u32_e32 vcc_lo, s76, v12
	s_wait_alu 0xfffd
	v_cndmask_b32_e64 v11, 0, -1, vcc_lo
	v_cmp_le_u32_e32 vcc_lo, s77, v5
	s_wait_alu 0xfffd
	v_cndmask_b32_e64 v12, 0, -1, vcc_lo
	;; [unrolled: 3-line block ×4, first 2 shown]
	v_cmp_eq_u32_e32 vcc_lo, s77, v5
	s_wait_alu 0xfffd
	v_cndmask_b32_e32 v5, v12, v11, vcc_lo
	v_add_co_u32 v11, vcc_lo, v7, 1
	s_wait_alu 0xfffd
	v_add_co_ci_u32_e64 v12, null, 0, v8, vcc_lo
	v_cmp_eq_u32_e32 vcc_lo, s77, v6
	v_xor_b32_e32 v6, s74, v28
	s_wait_alu 0xfffd
	v_cndmask_b32_e32 v2, v13, v2, vcc_lo
	v_cmp_ne_u32_e32 vcc_lo, 0, v5
	s_delay_alu instid0(VALU_DEP_2) | instskip(SKIP_3) | instid1(VALU_DEP_1)
	v_cmp_ne_u32_e64 s0, 0, v2
	s_wait_alu 0xfffd
	v_dual_cndmask_b32 v5, v12, v10 :: v_dual_cndmask_b32 v2, v11, v9
	s_wait_alu 0xf1ff
	v_cndmask_b32_e64 v5, v8, v5, s0
	s_delay_alu instid0(VALU_DEP_2) | instskip(NEXT) | instid1(VALU_DEP_2)
	v_cndmask_b32_e64 v2, v7, v2, s0
	v_xor_b32_e32 v5, v5, v6
	s_delay_alu instid0(VALU_DEP_2) | instskip(NEXT) | instid1(VALU_DEP_1)
	v_xor_b32_e32 v2, v2, v6
	v_sub_co_u32 v9, vcc_lo, v2, v6
	s_wait_alu 0xfffd
	s_delay_alu instid0(VALU_DEP_3)
	v_sub_co_ci_u32_e64 v10, null, v5, v6, vcc_lo
.LBB11_5:                               ;   in Loop: Header=BB11_3 Depth=1
	s_and_not1_saveexec_b32 s0, s81
	s_cbranch_execz .LBB11_7
; %bb.6:                                ;   in Loop: Header=BB11_3 Depth=1
	s_sub_co_i32 s74, 0, s4
	v_mov_b32_e32 v10, v1
	s_wait_alu 0xfffe
	v_mul_lo_u32 v2, s74, v0
	s_delay_alu instid0(VALU_DEP_1) | instskip(NEXT) | instid1(VALU_DEP_1)
	v_mul_hi_u32 v2, v0, v2
	v_add_nc_u32_e32 v2, v0, v2
	s_delay_alu instid0(VALU_DEP_1) | instskip(NEXT) | instid1(VALU_DEP_1)
	v_mul_hi_u32 v2, v3, v2
	v_mul_lo_u32 v5, v2, s4
	v_add_nc_u32_e32 v6, 1, v2
	s_delay_alu instid0(VALU_DEP_2) | instskip(NEXT) | instid1(VALU_DEP_1)
	v_sub_nc_u32_e32 v5, v3, v5
	v_subrev_nc_u32_e32 v7, s4, v5
	v_cmp_le_u32_e32 vcc_lo, s4, v5
	s_wait_alu 0xfffd
	s_delay_alu instid0(VALU_DEP_2) | instskip(NEXT) | instid1(VALU_DEP_1)
	v_dual_cndmask_b32 v5, v5, v7 :: v_dual_cndmask_b32 v2, v2, v6
	v_cmp_le_u32_e32 vcc_lo, s4, v5
	s_delay_alu instid0(VALU_DEP_2) | instskip(SKIP_1) | instid1(VALU_DEP_1)
	v_add_nc_u32_e32 v6, 1, v2
	s_wait_alu 0xfffd
	v_cndmask_b32_e32 v9, v2, v6, vcc_lo
.LBB11_7:                               ;   in Loop: Header=BB11_3 Depth=1
	s_wait_alu 0xfffe
	s_or_b32 exec_lo, exec_lo, s0
	s_delay_alu instid0(VALU_DEP_1)
	v_mul_lo_u32 v2, s65, v9
	v_mul_lo_u32 v7, s64, v10
	v_mad_co_u64_u32 v[5:6], null, s64, v9, 0
	s_mov_b32 s0, exec_lo
	v_add3_u32 v6, v6, v7, v2
	v_add_co_u32 v18, vcc_lo, v3, v5
                                        ; implicit-def: $vgpr7_vgpr8
	s_wait_alu 0xfffd
	s_delay_alu instid0(VALU_DEP_2) | instskip(NEXT) | instid1(VALU_DEP_1)
	v_add_co_ci_u32_e64 v20, null, v4, v6, vcc_lo
	v_or_b32_e32 v2, s35, v20
	v_ashrrev_i32_e32 v17, 31, v20
	s_delay_alu instid0(VALU_DEP_2)
	v_cmpx_ne_u64_e32 0, v[1:2]
	s_wait_alu 0xfffe
	s_xor_b32 s81, exec_lo, s0
	s_cbranch_execz .LBB11_9
; %bb.8:                                ;   in Loop: Header=BB11_3 Depth=1
	s_ashr_i32 s74, s35, 31
	v_add_co_u32 v2, vcc_lo, v18, v17
	s_wait_alu 0xfffe
	s_mov_b32 s75, s74
	s_wait_alu 0xfffd
	v_add_co_ci_u32_e64 v7, null, v20, v17, vcc_lo
	s_wait_alu 0xfffe
	s_add_nc_u64 s[76:77], s[34:35], s[74:75]
	v_xor_b32_e32 v2, v2, v17
	s_wait_alu 0xfffe
	s_xor_b64 s[76:77], s[76:77], s[74:75]
	v_xor_b32_e32 v15, v7, v17
	s_wait_alu 0xfffe
	s_cvt_f32_u32 s0, s76
	s_cvt_f32_u32 s75, s77
	s_sub_nc_u64 s[84:85], 0, s[76:77]
	s_wait_alu 0xfffe
	s_delay_alu instid0(SALU_CYCLE_1) | instskip(SKIP_1) | instid1(SALU_CYCLE_2)
	s_fmamk_f32 s0, s75, 0x4f800000, s0
	s_wait_alu 0xfffe
	v_s_rcp_f32 s0, s0
	s_delay_alu instid0(TRANS32_DEP_1) | instskip(SKIP_1) | instid1(SALU_CYCLE_2)
	s_mul_f32 s0, s0, 0x5f7ffffc
	s_wait_alu 0xfffe
	s_mul_f32 s75, s0, 0x2f800000
	s_wait_alu 0xfffe
	s_delay_alu instid0(SALU_CYCLE_2) | instskip(SKIP_1) | instid1(SALU_CYCLE_2)
	s_trunc_f32 s75, s75
	s_wait_alu 0xfffe
	s_fmamk_f32 s0, s75, 0xcf800000, s0
	s_cvt_u32_f32 s83, s75
	s_wait_alu 0xfffe
	s_delay_alu instid0(SALU_CYCLE_1) | instskip(NEXT) | instid1(SALU_CYCLE_3)
	s_cvt_u32_f32 s82, s0
	s_mul_u64 s[86:87], s[84:85], s[82:83]
	s_delay_alu instid0(SALU_CYCLE_1)
	s_mul_hi_u32 s89, s82, s87
	s_mul_i32 s88, s82, s87
	s_mul_hi_u32 s0, s82, s86
	s_mul_i32 s90, s83, s86
	s_wait_alu 0xfffe
	s_add_nc_u64 s[88:89], s[0:1], s[88:89]
	s_mul_hi_u32 s75, s83, s86
	s_mul_hi_u32 s91, s83, s87
	s_add_co_u32 s0, s88, s90
	s_wait_alu 0xfffe
	s_add_co_ci_u32 s0, s89, s75
	s_mul_i32 s86, s83, s87
	s_add_co_ci_u32 s87, s91, 0
	s_wait_alu 0xfffe
	s_add_nc_u64 s[86:87], s[0:1], s[86:87]
	s_delay_alu instid0(SALU_CYCLE_1) | instskip(SKIP_4) | instid1(SALU_CYCLE_1)
	s_add_co_u32 s82, s82, s86
	s_cselect_b32 s0, -1, 0
	s_wait_alu 0xfffe
	s_cmp_lg_u32 s0, 0
	s_add_co_ci_u32 s83, s83, s87
	s_mul_u64 s[84:85], s[84:85], s[82:83]
	s_delay_alu instid0(SALU_CYCLE_1)
	s_mul_hi_u32 s87, s82, s85
	s_mul_i32 s86, s82, s85
	s_mul_hi_u32 s0, s82, s84
	s_mul_i32 s88, s83, s84
	s_wait_alu 0xfffe
	s_add_nc_u64 s[86:87], s[0:1], s[86:87]
	s_mul_hi_u32 s75, s83, s84
	s_mul_hi_u32 s89, s83, s85
	s_add_co_u32 s0, s86, s88
	s_wait_alu 0xfffe
	s_add_co_ci_u32 s0, s87, s75
	s_mul_i32 s84, s83, s85
	s_add_co_ci_u32 s85, s89, 0
	s_wait_alu 0xfffe
	s_add_nc_u64 s[84:85], s[0:1], s[84:85]
	s_delay_alu instid0(SALU_CYCLE_1)
	s_add_co_u32 s0, s82, s84
	s_cselect_b32 s75, -1, 0
	s_wait_alu 0xfffe
	v_mul_hi_u32 v16, v2, s0
	s_cmp_lg_u32 s75, 0
	v_mad_co_u64_u32 v[11:12], null, v15, s0, 0
	s_add_co_ci_u32 s75, s83, s85
	s_wait_alu 0xfffe
	v_mad_co_u64_u32 v[7:8], null, v2, s75, 0
	v_mad_co_u64_u32 v[13:14], null, v15, s75, 0
	s_delay_alu instid0(VALU_DEP_2) | instskip(SKIP_1) | instid1(VALU_DEP_3)
	v_add_co_u32 v7, vcc_lo, v16, v7
	s_wait_alu 0xfffd
	v_add_co_ci_u32_e64 v8, null, 0, v8, vcc_lo
	s_delay_alu instid0(VALU_DEP_2) | instskip(SKIP_1) | instid1(VALU_DEP_2)
	v_add_co_u32 v7, vcc_lo, v7, v11
	s_wait_alu 0xfffd
	v_add_co_ci_u32_e32 v7, vcc_lo, v8, v12, vcc_lo
	s_wait_alu 0xfffd
	v_add_co_ci_u32_e32 v8, vcc_lo, 0, v14, vcc_lo
	s_delay_alu instid0(VALU_DEP_2) | instskip(SKIP_1) | instid1(VALU_DEP_2)
	v_add_co_u32 v11, vcc_lo, v7, v13
	s_wait_alu 0xfffd
	v_add_co_ci_u32_e64 v12, null, 0, v8, vcc_lo
	s_delay_alu instid0(VALU_DEP_2) | instskip(SKIP_1) | instid1(VALU_DEP_3)
	v_mul_lo_u32 v13, s77, v11
	v_mad_co_u64_u32 v[7:8], null, s76, v11, 0
	v_mul_lo_u32 v14, s76, v12
	s_delay_alu instid0(VALU_DEP_2) | instskip(NEXT) | instid1(VALU_DEP_2)
	v_sub_co_u32 v2, vcc_lo, v2, v7
	v_add3_u32 v8, v8, v14, v13
	s_delay_alu instid0(VALU_DEP_1) | instskip(SKIP_2) | instid1(VALU_DEP_2)
	v_sub_nc_u32_e32 v13, v15, v8
	s_wait_alu 0xfffd
	v_sub_co_ci_u32_e64 v8, null, v15, v8, vcc_lo
	v_subrev_co_ci_u32_e64 v7, null, s77, v13, vcc_lo
	v_add_co_u32 v13, s0, v11, 2
	s_wait_alu 0xf1ff
	v_add_co_ci_u32_e64 v14, null, 0, v12, s0
	v_sub_co_u32 v16, s0, v2, s76
	s_wait_alu 0xf1ff
	v_subrev_co_ci_u32_e64 v7, null, 0, v7, s0
	s_delay_alu instid0(VALU_DEP_2) | instskip(SKIP_2) | instid1(VALU_DEP_3)
	v_cmp_le_u32_e32 vcc_lo, s76, v16
	s_wait_alu 0xfffd
	v_cndmask_b32_e64 v15, 0, -1, vcc_lo
	v_cmp_le_u32_e32 vcc_lo, s77, v7
	s_wait_alu 0xfffd
	v_cndmask_b32_e64 v16, 0, -1, vcc_lo
	;; [unrolled: 3-line block ×4, first 2 shown]
	v_cmp_eq_u32_e32 vcc_lo, s77, v7
	s_wait_alu 0xfffd
	v_cndmask_b32_e32 v7, v16, v15, vcc_lo
	v_add_co_u32 v15, vcc_lo, v11, 1
	s_wait_alu 0xfffd
	v_add_co_ci_u32_e64 v16, null, 0, v12, vcc_lo
	v_cmp_eq_u32_e32 vcc_lo, s77, v8
	v_xor_b32_e32 v8, s74, v17
	s_wait_alu 0xfffd
	v_cndmask_b32_e32 v2, v19, v2, vcc_lo
	v_cmp_ne_u32_e32 vcc_lo, 0, v7
	s_delay_alu instid0(VALU_DEP_2) | instskip(SKIP_3) | instid1(VALU_DEP_1)
	v_cmp_ne_u32_e64 s0, 0, v2
	s_wait_alu 0xfffd
	v_dual_cndmask_b32 v7, v16, v14 :: v_dual_cndmask_b32 v2, v15, v13
	s_wait_alu 0xf1ff
	v_cndmask_b32_e64 v7, v12, v7, s0
	s_delay_alu instid0(VALU_DEP_2) | instskip(NEXT) | instid1(VALU_DEP_2)
	v_cndmask_b32_e64 v2, v11, v2, s0
	v_xor_b32_e32 v11, v7, v8
	s_delay_alu instid0(VALU_DEP_2) | instskip(NEXT) | instid1(VALU_DEP_1)
	v_xor_b32_e32 v2, v2, v8
	v_sub_co_u32 v7, vcc_lo, v2, v8
	s_wait_alu 0xfffd
	s_delay_alu instid0(VALU_DEP_3)
	v_sub_co_ci_u32_e64 v8, null, v11, v8, vcc_lo
.LBB11_9:                               ;   in Loop: Header=BB11_3 Depth=1
	s_and_not1_saveexec_b32 s0, s81
	s_cbranch_execz .LBB11_11
; %bb.10:                               ;   in Loop: Header=BB11_3 Depth=1
	s_sub_co_i32 s74, 0, s34
	s_wait_alu 0xfffe
	v_mul_lo_u32 v2, s74, v27
	s_delay_alu instid0(VALU_DEP_1) | instskip(NEXT) | instid1(VALU_DEP_1)
	v_mul_hi_u32 v2, v27, v2
	v_add_nc_u32_e32 v2, v27, v2
	s_delay_alu instid0(VALU_DEP_1) | instskip(NEXT) | instid1(VALU_DEP_1)
	v_mul_hi_u32 v2, v18, v2
	v_mul_lo_u32 v7, v2, s34
	s_delay_alu instid0(VALU_DEP_1) | instskip(NEXT) | instid1(VALU_DEP_1)
	v_sub_nc_u32_e32 v7, v18, v7
	v_subrev_nc_u32_e32 v11, s34, v7
	v_cmp_le_u32_e32 vcc_lo, s34, v7
	s_wait_alu 0xfffd
	s_delay_alu instid0(VALU_DEP_2) | instskip(NEXT) | instid1(VALU_DEP_1)
	v_dual_cndmask_b32 v7, v7, v11 :: v_dual_add_nc_u32 v8, 1, v2
	v_cndmask_b32_e32 v2, v2, v8, vcc_lo
	s_delay_alu instid0(VALU_DEP_2) | instskip(NEXT) | instid1(VALU_DEP_2)
	v_cmp_le_u32_e32 vcc_lo, s34, v7
	v_add_nc_u32_e32 v8, 1, v2
	s_wait_alu 0xfffd
	s_delay_alu instid0(VALU_DEP_1)
	v_dual_cndmask_b32 v7, v2, v8 :: v_dual_mov_b32 v8, v1
.LBB11_11:                              ;   in Loop: Header=BB11_3 Depth=1
	s_wait_alu 0xfffe
	s_or_b32 exec_lo, exec_lo, s0
	s_delay_alu instid0(VALU_DEP_1) | instskip(NEXT) | instid1(VALU_DEP_2)
	v_mul_lo_u32 v2, v8, s34
	v_mul_lo_u32 v13, v7, s35
	v_mad_co_u64_u32 v[11:12], null, v7, s34, 0
	v_mul_lo_u32 v14, v7, s9
	s_mov_b32 s0, exec_lo
	s_delay_alu instid0(VALU_DEP_2) | instskip(SKIP_1) | instid1(VALU_DEP_4)
	v_add3_u32 v2, v12, v13, v2
	v_mul_lo_u32 v13, v8, s8
	v_sub_co_u32 v8, vcc_lo, v5, v11
	s_wait_alu 0xfffd
	s_delay_alu instid0(VALU_DEP_3) | instskip(NEXT) | instid1(VALU_DEP_2)
	v_sub_co_ci_u32_e64 v2, null, v6, v2, vcc_lo
	v_add_co_u32 v11, vcc_lo, v3, v8
	v_mad_co_u64_u32 v[7:8], null, v7, s8, 0
	s_wait_alu 0xfffd
	s_delay_alu instid0(VALU_DEP_3) | instskip(NEXT) | instid1(VALU_DEP_3)
	v_add_co_ci_u32_e64 v2, null, v4, v2, vcc_lo
	v_mul_lo_u32 v15, v11, s11
	v_mad_co_u64_u32 v[11:12], null, v11, s10, 0
	s_delay_alu instid0(VALU_DEP_3) | instskip(SKIP_2) | instid1(VALU_DEP_2)
	v_mul_lo_u32 v2, v2, s10
	v_add3_u32 v8, v8, v14, v13
	v_mad_co_u64_u32 v[13:14], null, v9, 3, 0
	v_lshlrev_b64_e32 v[7:8], 1, v[7:8]
	s_delay_alu instid0(VALU_DEP_4) | instskip(NEXT) | instid1(VALU_DEP_2)
	v_add3_u32 v12, v12, v15, v2
	v_add_co_u32 v2, vcc_lo, s2, v7
	s_delay_alu instid0(VALU_DEP_2) | instskip(SKIP_1) | instid1(VALU_DEP_4)
	v_lshlrev_b64_e32 v[11:12], 1, v[11:12]
	s_wait_alu 0xfffd
	v_add_co_ci_u32_e64 v8, null, s3, v8, vcc_lo
	s_delay_alu instid0(VALU_DEP_2) | instskip(SKIP_1) | instid1(VALU_DEP_2)
	v_add_co_u32 v7, vcc_lo, v2, v11
	s_wait_alu 0xfffd
	v_add_co_ci_u32_e64 v8, null, v8, v12, vcc_lo
	v_mov_b32_e32 v2, v14
	global_load_u16 v29, v[7:8], off
	v_mad_co_u64_u32 v[7:8], null, s4, v13, s[4:5]
	v_mad_co_u64_u32 v[14:15], null, v10, 3, v[2:3]
	v_mul_lo_u32 v2, s5, v13
	s_delay_alu instid0(VALU_DEP_3) | instskip(NEXT) | instid1(VALU_DEP_3)
	v_add_co_u32 v22, vcc_lo, v3, v7
	v_mul_lo_u32 v11, s4, v14
	s_delay_alu instid0(VALU_DEP_1) | instskip(SKIP_1) | instid1(VALU_DEP_1)
	v_add3_u32 v8, v2, v8, v11
                                        ; implicit-def: $vgpr11_vgpr12
	s_wait_alu 0xfffd
	v_add_co_ci_u32_e64 v23, null, v4, v8, vcc_lo
	s_delay_alu instid0(VALU_DEP_1) | instskip(SKIP_1) | instid1(VALU_DEP_2)
	v_or_b32_e32 v2, s35, v23
	v_ashrrev_i32_e32 v19, 31, v23
	v_cmpx_ne_u64_e32 0, v[1:2]
	s_wait_alu 0xfffe
	s_xor_b32 s81, exec_lo, s0
	s_cbranch_execz .LBB11_13
; %bb.12:                               ;   in Loop: Header=BB11_3 Depth=1
	s_ashr_i32 s74, s35, 31
	v_add_co_u32 v2, vcc_lo, v22, v19
	s_wait_alu 0xfffe
	s_mov_b32 s75, s74
	s_wait_alu 0xfffd
	v_add_co_ci_u32_e64 v11, null, v23, v19, vcc_lo
	s_wait_alu 0xfffe
	s_add_nc_u64 s[76:77], s[34:35], s[74:75]
	v_xor_b32_e32 v2, v2, v19
	s_wait_alu 0xfffe
	s_xor_b64 s[76:77], s[76:77], s[74:75]
	v_xor_b32_e32 v21, v11, v19
	s_wait_alu 0xfffe
	s_cvt_f32_u32 s0, s76
	s_cvt_f32_u32 s75, s77
	s_sub_nc_u64 s[84:85], 0, s[76:77]
	s_wait_alu 0xfffe
	s_delay_alu instid0(SALU_CYCLE_1) | instskip(SKIP_1) | instid1(SALU_CYCLE_2)
	s_fmamk_f32 s0, s75, 0x4f800000, s0
	s_wait_alu 0xfffe
	v_s_rcp_f32 s0, s0
	s_delay_alu instid0(TRANS32_DEP_1) | instskip(SKIP_1) | instid1(SALU_CYCLE_2)
	s_mul_f32 s0, s0, 0x5f7ffffc
	s_wait_alu 0xfffe
	s_mul_f32 s75, s0, 0x2f800000
	s_wait_alu 0xfffe
	s_delay_alu instid0(SALU_CYCLE_2) | instskip(SKIP_1) | instid1(SALU_CYCLE_2)
	s_trunc_f32 s75, s75
	s_wait_alu 0xfffe
	s_fmamk_f32 s0, s75, 0xcf800000, s0
	s_cvt_u32_f32 s83, s75
	s_wait_alu 0xfffe
	s_delay_alu instid0(SALU_CYCLE_1) | instskip(NEXT) | instid1(SALU_CYCLE_3)
	s_cvt_u32_f32 s82, s0
	s_mul_u64 s[86:87], s[84:85], s[82:83]
	s_delay_alu instid0(SALU_CYCLE_1)
	s_mul_hi_u32 s89, s82, s87
	s_mul_i32 s88, s82, s87
	s_mul_hi_u32 s0, s82, s86
	s_mul_i32 s90, s83, s86
	s_wait_alu 0xfffe
	s_add_nc_u64 s[88:89], s[0:1], s[88:89]
	s_mul_hi_u32 s75, s83, s86
	s_mul_hi_u32 s91, s83, s87
	s_add_co_u32 s0, s88, s90
	s_wait_alu 0xfffe
	s_add_co_ci_u32 s0, s89, s75
	s_mul_i32 s86, s83, s87
	s_add_co_ci_u32 s87, s91, 0
	s_wait_alu 0xfffe
	s_add_nc_u64 s[86:87], s[0:1], s[86:87]
	s_delay_alu instid0(SALU_CYCLE_1) | instskip(SKIP_4) | instid1(SALU_CYCLE_1)
	s_add_co_u32 s82, s82, s86
	s_cselect_b32 s0, -1, 0
	s_wait_alu 0xfffe
	s_cmp_lg_u32 s0, 0
	s_add_co_ci_u32 s83, s83, s87
	s_mul_u64 s[84:85], s[84:85], s[82:83]
	s_delay_alu instid0(SALU_CYCLE_1)
	s_mul_hi_u32 s87, s82, s85
	s_mul_i32 s86, s82, s85
	s_mul_hi_u32 s0, s82, s84
	s_mul_i32 s88, s83, s84
	s_wait_alu 0xfffe
	s_add_nc_u64 s[86:87], s[0:1], s[86:87]
	s_mul_hi_u32 s75, s83, s84
	s_mul_hi_u32 s89, s83, s85
	s_add_co_u32 s0, s86, s88
	s_wait_alu 0xfffe
	s_add_co_ci_u32 s0, s87, s75
	s_mul_i32 s84, s83, s85
	s_add_co_ci_u32 s85, s89, 0
	s_wait_alu 0xfffe
	s_add_nc_u64 s[84:85], s[0:1], s[84:85]
	s_delay_alu instid0(SALU_CYCLE_1)
	s_add_co_u32 s0, s82, s84
	s_cselect_b32 s75, -1, 0
	s_wait_alu 0xfffe
	v_mul_hi_u32 v26, v2, s0
	s_cmp_lg_u32 s75, 0
	v_mad_co_u64_u32 v[15:16], null, v21, s0, 0
	s_add_co_ci_u32 s75, s83, s85
	s_wait_alu 0xfffe
	v_mad_co_u64_u32 v[11:12], null, v2, s75, 0
	v_mad_co_u64_u32 v[24:25], null, v21, s75, 0
	s_delay_alu instid0(VALU_DEP_2) | instskip(SKIP_1) | instid1(VALU_DEP_3)
	v_add_co_u32 v11, vcc_lo, v26, v11
	s_wait_alu 0xfffd
	v_add_co_ci_u32_e64 v12, null, 0, v12, vcc_lo
	s_delay_alu instid0(VALU_DEP_2) | instskip(SKIP_1) | instid1(VALU_DEP_2)
	v_add_co_u32 v11, vcc_lo, v11, v15
	s_wait_alu 0xfffd
	v_add_co_ci_u32_e32 v11, vcc_lo, v12, v16, vcc_lo
	s_wait_alu 0xfffd
	v_add_co_ci_u32_e32 v12, vcc_lo, 0, v25, vcc_lo
	s_delay_alu instid0(VALU_DEP_2) | instskip(SKIP_1) | instid1(VALU_DEP_2)
	v_add_co_u32 v15, vcc_lo, v11, v24
	s_wait_alu 0xfffd
	v_add_co_ci_u32_e64 v16, null, 0, v12, vcc_lo
	s_delay_alu instid0(VALU_DEP_2) | instskip(SKIP_1) | instid1(VALU_DEP_3)
	v_mul_lo_u32 v24, s77, v15
	v_mad_co_u64_u32 v[11:12], null, s76, v15, 0
	v_mul_lo_u32 v25, s76, v16
	s_delay_alu instid0(VALU_DEP_2) | instskip(NEXT) | instid1(VALU_DEP_2)
	v_sub_co_u32 v2, vcc_lo, v2, v11
	v_add3_u32 v12, v12, v25, v24
	s_delay_alu instid0(VALU_DEP_1) | instskip(SKIP_2) | instid1(VALU_DEP_2)
	v_sub_nc_u32_e32 v24, v21, v12
	s_wait_alu 0xfffd
	v_sub_co_ci_u32_e64 v12, null, v21, v12, vcc_lo
	v_subrev_co_ci_u32_e64 v11, null, s77, v24, vcc_lo
	v_add_co_u32 v24, s0, v15, 2
	s_wait_alu 0xf1ff
	v_add_co_ci_u32_e64 v25, null, 0, v16, s0
	v_sub_co_u32 v26, s0, v2, s76
	s_wait_alu 0xf1ff
	v_subrev_co_ci_u32_e64 v11, null, 0, v11, s0
	s_delay_alu instid0(VALU_DEP_2) | instskip(SKIP_2) | instid1(VALU_DEP_3)
	v_cmp_le_u32_e32 vcc_lo, s76, v26
	s_wait_alu 0xfffd
	v_cndmask_b32_e64 v21, 0, -1, vcc_lo
	v_cmp_le_u32_e32 vcc_lo, s77, v11
	s_wait_alu 0xfffd
	v_cndmask_b32_e64 v26, 0, -1, vcc_lo
	;; [unrolled: 3-line block ×4, first 2 shown]
	v_cmp_eq_u32_e32 vcc_lo, s77, v11
	s_wait_alu 0xfffd
	v_cndmask_b32_e32 v11, v26, v21, vcc_lo
	v_add_co_u32 v21, vcc_lo, v15, 1
	s_wait_alu 0xfffd
	v_add_co_ci_u32_e64 v26, null, 0, v16, vcc_lo
	v_cmp_eq_u32_e32 vcc_lo, s77, v12
	v_xor_b32_e32 v12, s74, v19
	s_wait_alu 0xfffd
	v_cndmask_b32_e32 v2, v30, v2, vcc_lo
	v_cmp_ne_u32_e32 vcc_lo, 0, v11
	s_delay_alu instid0(VALU_DEP_2) | instskip(SKIP_3) | instid1(VALU_DEP_1)
	v_cmp_ne_u32_e64 s0, 0, v2
	s_wait_alu 0xfffd
	v_dual_cndmask_b32 v2, v21, v24 :: v_dual_cndmask_b32 v11, v26, v25
	s_wait_alu 0xf1ff
	v_cndmask_b32_e64 v2, v15, v2, s0
	s_delay_alu instid0(VALU_DEP_2) | instskip(NEXT) | instid1(VALU_DEP_2)
	v_cndmask_b32_e64 v11, v16, v11, s0
	v_xor_b32_e32 v2, v2, v12
	s_delay_alu instid0(VALU_DEP_2) | instskip(NEXT) | instid1(VALU_DEP_2)
	v_xor_b32_e32 v15, v11, v12
	v_sub_co_u32 v11, vcc_lo, v2, v12
	s_wait_alu 0xfffd
	s_delay_alu instid0(VALU_DEP_2)
	v_sub_co_ci_u32_e64 v12, null, v15, v12, vcc_lo
.LBB11_13:                              ;   in Loop: Header=BB11_3 Depth=1
	s_and_not1_saveexec_b32 s0, s81
	s_cbranch_execz .LBB11_15
; %bb.14:                               ;   in Loop: Header=BB11_3 Depth=1
	s_sub_co_i32 s74, 0, s34
	s_wait_alu 0xfffe
	v_mul_lo_u32 v2, s74, v27
	s_delay_alu instid0(VALU_DEP_1) | instskip(NEXT) | instid1(VALU_DEP_1)
	v_mul_hi_u32 v2, v27, v2
	v_add_nc_u32_e32 v2, v27, v2
	s_delay_alu instid0(VALU_DEP_1) | instskip(NEXT) | instid1(VALU_DEP_1)
	v_mul_hi_u32 v2, v22, v2
	v_mul_lo_u32 v11, v2, s34
	s_delay_alu instid0(VALU_DEP_1) | instskip(NEXT) | instid1(VALU_DEP_1)
	v_sub_nc_u32_e32 v11, v22, v11
	v_subrev_nc_u32_e32 v15, s34, v11
	v_cmp_le_u32_e32 vcc_lo, s34, v11
	s_wait_alu 0xfffd
	s_delay_alu instid0(VALU_DEP_2) | instskip(NEXT) | instid1(VALU_DEP_1)
	v_dual_cndmask_b32 v11, v11, v15 :: v_dual_add_nc_u32 v12, 1, v2
	v_cndmask_b32_e32 v2, v2, v12, vcc_lo
	s_delay_alu instid0(VALU_DEP_2) | instskip(NEXT) | instid1(VALU_DEP_2)
	v_cmp_le_u32_e32 vcc_lo, s34, v11
	v_add_nc_u32_e32 v12, 1, v2
	s_wait_alu 0xfffd
	s_delay_alu instid0(VALU_DEP_1)
	v_dual_cndmask_b32 v11, v2, v12 :: v_dual_mov_b32 v12, v1
.LBB11_15:                              ;   in Loop: Header=BB11_3 Depth=1
	s_wait_alu 0xfffe
	s_or_b32 exec_lo, exec_lo, s0
	s_delay_alu instid0(VALU_DEP_1) | instskip(NEXT) | instid1(VALU_DEP_2)
	v_mul_lo_u32 v2, v12, s34
	v_mul_lo_u32 v21, v11, s35
	v_mad_co_u64_u32 v[15:16], null, v11, s34, 0
	v_mul_lo_u32 v24, v11, s9
	s_mov_b32 s0, exec_lo
	s_delay_alu instid0(VALU_DEP_2) | instskip(SKIP_1) | instid1(VALU_DEP_4)
	v_add3_u32 v2, v16, v21, v2
	v_mul_lo_u32 v21, v12, s8
	v_sub_co_u32 v12, vcc_lo, v7, v15
	s_wait_alu 0xfffd
	s_delay_alu instid0(VALU_DEP_3) | instskip(NEXT) | instid1(VALU_DEP_2)
	v_sub_co_ci_u32_e64 v2, null, v8, v2, vcc_lo
	v_add_co_u32 v15, vcc_lo, v3, v12
	v_mad_co_u64_u32 v[11:12], null, v11, s8, 0
	s_wait_alu 0xfffd
	s_delay_alu instid0(VALU_DEP_3) | instskip(NEXT) | instid1(VALU_DEP_3)
	v_add_co_ci_u32_e64 v2, null, v4, v2, vcc_lo
	v_mul_lo_u32 v25, v15, s11
	v_mad_co_u64_u32 v[15:16], null, v15, s10, 0
	s_delay_alu instid0(VALU_DEP_3) | instskip(SKIP_1) | instid1(VALU_DEP_1)
	v_mul_lo_u32 v2, v2, s10
	v_add3_u32 v12, v12, v24, v21
	v_lshlrev_b64_e32 v[11:12], 1, v[11:12]
	s_delay_alu instid0(VALU_DEP_3) | instskip(NEXT) | instid1(VALU_DEP_2)
	v_add3_u32 v16, v16, v25, v2
	v_add_co_u32 v2, vcc_lo, s2, v11
	s_delay_alu instid0(VALU_DEP_2) | instskip(SKIP_1) | instid1(VALU_DEP_4)
	v_lshlrev_b64_e32 v[15:16], 1, v[15:16]
	s_wait_alu 0xfffd
	v_add_co_ci_u32_e64 v12, null, s3, v12, vcc_lo
	s_delay_alu instid0(VALU_DEP_2) | instskip(SKIP_1) | instid1(VALU_DEP_2)
	v_add_co_u32 v11, vcc_lo, v2, v15
	s_wait_alu 0xfffd
	v_add_co_ci_u32_e64 v12, null, v12, v16, vcc_lo
	v_add_co_u32 v2, vcc_lo, v13, 2
	global_load_u16 v30, v[11:12], off
	s_wait_alu 0xfffd
	v_add_co_ci_u32_e64 v11, null, 0, v14, vcc_lo
	v_mul_lo_u32 v15, s5, v2
	s_delay_alu instid0(VALU_DEP_2) | instskip(SKIP_1) | instid1(VALU_DEP_1)
	v_mul_lo_u32 v16, s4, v11
	v_mad_co_u64_u32 v[11:12], null, s4, v2, 0
	v_add3_u32 v12, v12, v16, v15
	s_delay_alu instid0(VALU_DEP_2) | instskip(SKIP_1) | instid1(VALU_DEP_2)
	v_add_co_u32 v25, vcc_lo, v3, v11
                                        ; implicit-def: $vgpr15_vgpr16
	s_wait_alu 0xfffd
	v_add_co_ci_u32_e64 v26, null, v4, v12, vcc_lo
	s_delay_alu instid0(VALU_DEP_1) | instskip(SKIP_1) | instid1(VALU_DEP_2)
	v_or_b32_e32 v2, s35, v26
	v_ashrrev_i32_e32 v21, 31, v26
	v_cmpx_ne_u64_e32 0, v[1:2]
	s_wait_alu 0xfffe
	s_xor_b32 s81, exec_lo, s0
	s_cbranch_execz .LBB11_17
; %bb.16:                               ;   in Loop: Header=BB11_3 Depth=1
	s_ashr_i32 s74, s35, 31
	v_add_co_u32 v2, vcc_lo, v25, v21
	s_wait_alu 0xfffe
	s_mov_b32 s75, s74
	s_wait_alu 0xfffd
	v_add_co_ci_u32_e64 v15, null, v26, v21, vcc_lo
	s_wait_alu 0xfffe
	s_add_nc_u64 s[76:77], s[34:35], s[74:75]
	v_xor_b32_e32 v2, v2, v21
	s_wait_alu 0xfffe
	s_xor_b64 s[76:77], s[76:77], s[74:75]
	v_xor_b32_e32 v24, v15, v21
	s_wait_alu 0xfffe
	s_cvt_f32_u32 s0, s76
	s_cvt_f32_u32 s75, s77
	s_sub_nc_u64 s[84:85], 0, s[76:77]
	s_wait_alu 0xfffe
	s_delay_alu instid0(SALU_CYCLE_1) | instskip(SKIP_1) | instid1(SALU_CYCLE_2)
	s_fmamk_f32 s0, s75, 0x4f800000, s0
	s_wait_alu 0xfffe
	v_s_rcp_f32 s0, s0
	s_delay_alu instid0(TRANS32_DEP_1) | instskip(SKIP_1) | instid1(SALU_CYCLE_2)
	s_mul_f32 s0, s0, 0x5f7ffffc
	s_wait_alu 0xfffe
	s_mul_f32 s75, s0, 0x2f800000
	s_wait_alu 0xfffe
	s_delay_alu instid0(SALU_CYCLE_2) | instskip(SKIP_1) | instid1(SALU_CYCLE_2)
	s_trunc_f32 s75, s75
	s_wait_alu 0xfffe
	s_fmamk_f32 s0, s75, 0xcf800000, s0
	s_cvt_u32_f32 s83, s75
	s_wait_alu 0xfffe
	s_delay_alu instid0(SALU_CYCLE_1) | instskip(NEXT) | instid1(SALU_CYCLE_3)
	s_cvt_u32_f32 s82, s0
	s_mul_u64 s[86:87], s[84:85], s[82:83]
	s_delay_alu instid0(SALU_CYCLE_1)
	s_mul_hi_u32 s89, s82, s87
	s_mul_i32 s88, s82, s87
	s_mul_hi_u32 s0, s82, s86
	s_mul_i32 s90, s83, s86
	s_wait_alu 0xfffe
	s_add_nc_u64 s[88:89], s[0:1], s[88:89]
	s_mul_hi_u32 s75, s83, s86
	s_mul_hi_u32 s91, s83, s87
	s_add_co_u32 s0, s88, s90
	s_wait_alu 0xfffe
	s_add_co_ci_u32 s0, s89, s75
	s_mul_i32 s86, s83, s87
	s_add_co_ci_u32 s87, s91, 0
	s_wait_alu 0xfffe
	s_add_nc_u64 s[86:87], s[0:1], s[86:87]
	s_delay_alu instid0(SALU_CYCLE_1) | instskip(SKIP_4) | instid1(SALU_CYCLE_1)
	s_add_co_u32 s82, s82, s86
	s_cselect_b32 s0, -1, 0
	s_wait_alu 0xfffe
	s_cmp_lg_u32 s0, 0
	s_add_co_ci_u32 s83, s83, s87
	s_mul_u64 s[84:85], s[84:85], s[82:83]
	s_delay_alu instid0(SALU_CYCLE_1)
	s_mul_hi_u32 s87, s82, s85
	s_mul_i32 s86, s82, s85
	s_mul_hi_u32 s0, s82, s84
	s_mul_i32 s88, s83, s84
	s_wait_alu 0xfffe
	s_add_nc_u64 s[86:87], s[0:1], s[86:87]
	s_mul_hi_u32 s75, s83, s84
	s_mul_hi_u32 s89, s83, s85
	s_add_co_u32 s0, s86, s88
	s_wait_alu 0xfffe
	s_add_co_ci_u32 s0, s87, s75
	s_mul_i32 s84, s83, s85
	s_add_co_ci_u32 s85, s89, 0
	s_wait_alu 0xfffe
	s_add_nc_u64 s[84:85], s[0:1], s[84:85]
	s_delay_alu instid0(SALU_CYCLE_1)
	s_add_co_u32 s0, s82, s84
	s_cselect_b32 s75, -1, 0
	s_wait_alu 0xfffe
	v_mul_hi_u32 v35, v2, s0
	s_cmp_lg_u32 s75, 0
	v_mad_co_u64_u32 v[31:32], null, v24, s0, 0
	s_add_co_ci_u32 s75, s83, s85
	s_wait_alu 0xfffe
	v_mad_co_u64_u32 v[15:16], null, v2, s75, 0
	v_mad_co_u64_u32 v[33:34], null, v24, s75, 0
	s_delay_alu instid0(VALU_DEP_2) | instskip(SKIP_1) | instid1(VALU_DEP_3)
	v_add_co_u32 v15, vcc_lo, v35, v15
	s_wait_alu 0xfffd
	v_add_co_ci_u32_e64 v16, null, 0, v16, vcc_lo
	s_delay_alu instid0(VALU_DEP_2) | instskip(SKIP_1) | instid1(VALU_DEP_2)
	v_add_co_u32 v15, vcc_lo, v15, v31
	s_wait_alu 0xfffd
	v_add_co_ci_u32_e32 v15, vcc_lo, v16, v32, vcc_lo
	s_wait_alu 0xfffd
	v_add_co_ci_u32_e32 v16, vcc_lo, 0, v34, vcc_lo
	s_delay_alu instid0(VALU_DEP_2) | instskip(SKIP_1) | instid1(VALU_DEP_2)
	v_add_co_u32 v31, vcc_lo, v15, v33
	s_wait_alu 0xfffd
	v_add_co_ci_u32_e64 v32, null, 0, v16, vcc_lo
	s_delay_alu instid0(VALU_DEP_2) | instskip(SKIP_1) | instid1(VALU_DEP_3)
	v_mul_lo_u32 v33, s77, v31
	v_mad_co_u64_u32 v[15:16], null, s76, v31, 0
	v_mul_lo_u32 v34, s76, v32
	s_delay_alu instid0(VALU_DEP_2) | instskip(NEXT) | instid1(VALU_DEP_2)
	v_sub_co_u32 v2, vcc_lo, v2, v15
	v_add3_u32 v16, v16, v34, v33
	s_delay_alu instid0(VALU_DEP_1) | instskip(SKIP_2) | instid1(VALU_DEP_2)
	v_sub_nc_u32_e32 v33, v24, v16
	s_wait_alu 0xfffd
	v_sub_co_ci_u32_e64 v16, null, v24, v16, vcc_lo
	v_subrev_co_ci_u32_e64 v15, null, s77, v33, vcc_lo
	v_add_co_u32 v33, s0, v31, 2
	s_wait_alu 0xf1ff
	v_add_co_ci_u32_e64 v34, null, 0, v32, s0
	v_sub_co_u32 v35, s0, v2, s76
	s_wait_alu 0xf1ff
	v_subrev_co_ci_u32_e64 v15, null, 0, v15, s0
	s_delay_alu instid0(VALU_DEP_2) | instskip(SKIP_2) | instid1(VALU_DEP_3)
	v_cmp_le_u32_e32 vcc_lo, s76, v35
	s_wait_alu 0xfffd
	v_cndmask_b32_e64 v24, 0, -1, vcc_lo
	v_cmp_le_u32_e32 vcc_lo, s77, v15
	s_wait_alu 0xfffd
	v_cndmask_b32_e64 v35, 0, -1, vcc_lo
	v_cmp_le_u32_e32 vcc_lo, s76, v2
	s_wait_alu 0xfffd
	v_cndmask_b32_e64 v2, 0, -1, vcc_lo
	v_cmp_le_u32_e32 vcc_lo, s77, v16
	s_wait_alu 0xfffd
	v_cndmask_b32_e64 v36, 0, -1, vcc_lo
	v_cmp_eq_u32_e32 vcc_lo, s77, v15
	s_wait_alu 0xfffd
	v_cndmask_b32_e32 v15, v35, v24, vcc_lo
	v_add_co_u32 v24, vcc_lo, v31, 1
	s_wait_alu 0xfffd
	v_add_co_ci_u32_e64 v35, null, 0, v32, vcc_lo
	v_cmp_eq_u32_e32 vcc_lo, s77, v16
	v_xor_b32_e32 v16, s74, v21
	s_wait_alu 0xfffd
	v_cndmask_b32_e32 v2, v36, v2, vcc_lo
	v_cmp_ne_u32_e32 vcc_lo, 0, v15
	s_delay_alu instid0(VALU_DEP_2) | instskip(SKIP_3) | instid1(VALU_DEP_1)
	v_cmp_ne_u32_e64 s0, 0, v2
	s_wait_alu 0xfffd
	v_dual_cndmask_b32 v15, v35, v34 :: v_dual_cndmask_b32 v2, v24, v33
	s_wait_alu 0xf1ff
	v_cndmask_b32_e64 v15, v32, v15, s0
	s_delay_alu instid0(VALU_DEP_2) | instskip(NEXT) | instid1(VALU_DEP_2)
	v_cndmask_b32_e64 v2, v31, v2, s0
	v_xor_b32_e32 v24, v15, v16
	s_delay_alu instid0(VALU_DEP_2) | instskip(NEXT) | instid1(VALU_DEP_1)
	v_xor_b32_e32 v2, v2, v16
	v_sub_co_u32 v15, vcc_lo, v2, v16
	s_wait_alu 0xfffd
	s_delay_alu instid0(VALU_DEP_3)
	v_sub_co_ci_u32_e64 v16, null, v24, v16, vcc_lo
.LBB11_17:                              ;   in Loop: Header=BB11_3 Depth=1
	s_and_not1_saveexec_b32 s0, s81
	s_cbranch_execz .LBB11_19
; %bb.18:                               ;   in Loop: Header=BB11_3 Depth=1
	s_sub_co_i32 s74, 0, s34
	s_wait_alu 0xfffe
	v_mul_lo_u32 v2, s74, v27
	s_delay_alu instid0(VALU_DEP_1) | instskip(NEXT) | instid1(VALU_DEP_1)
	v_mul_hi_u32 v2, v27, v2
	v_add_nc_u32_e32 v2, v27, v2
	s_delay_alu instid0(VALU_DEP_1) | instskip(NEXT) | instid1(VALU_DEP_1)
	v_mul_hi_u32 v2, v25, v2
	v_mul_lo_u32 v15, v2, s34
	s_delay_alu instid0(VALU_DEP_1) | instskip(NEXT) | instid1(VALU_DEP_1)
	v_sub_nc_u32_e32 v15, v25, v15
	v_subrev_nc_u32_e32 v24, s34, v15
	v_cmp_le_u32_e32 vcc_lo, s34, v15
	s_wait_alu 0xfffd
	s_delay_alu instid0(VALU_DEP_2) | instskip(NEXT) | instid1(VALU_DEP_1)
	v_dual_cndmask_b32 v15, v15, v24 :: v_dual_add_nc_u32 v16, 1, v2
	v_cndmask_b32_e32 v2, v2, v16, vcc_lo
	s_delay_alu instid0(VALU_DEP_2) | instskip(NEXT) | instid1(VALU_DEP_2)
	v_cmp_le_u32_e32 vcc_lo, s34, v15
	v_add_nc_u32_e32 v16, 1, v2
	s_wait_alu 0xfffd
	s_delay_alu instid0(VALU_DEP_1)
	v_dual_cndmask_b32 v15, v2, v16 :: v_dual_mov_b32 v16, v1
.LBB11_19:                              ;   in Loop: Header=BB11_3 Depth=1
	s_wait_alu 0xfffe
	s_or_b32 exec_lo, exec_lo, s0
	s_delay_alu instid0(VALU_DEP_1) | instskip(NEXT) | instid1(VALU_DEP_2)
	v_mul_lo_u32 v2, v16, s34
	v_mul_lo_u32 v24, v15, s35
	v_mad_co_u64_u32 v[31:32], null, v15, s34, 0
	v_mul_lo_u32 v33, v15, s9
	s_mov_b32 s0, exec_lo
	s_delay_alu instid0(VALU_DEP_2) | instskip(SKIP_1) | instid1(VALU_DEP_4)
	v_add3_u32 v2, v32, v24, v2
	v_mul_lo_u32 v24, v16, s8
	v_sub_co_u32 v16, vcc_lo, v11, v31
	s_wait_alu 0xfffd
	s_delay_alu instid0(VALU_DEP_3) | instskip(NEXT) | instid1(VALU_DEP_2)
	v_sub_co_ci_u32_e64 v2, null, v12, v2, vcc_lo
	v_add_co_u32 v31, vcc_lo, v3, v16
	v_mad_co_u64_u32 v[15:16], null, v15, s8, 0
	s_wait_alu 0xfffd
	s_delay_alu instid0(VALU_DEP_3) | instskip(NEXT) | instid1(VALU_DEP_3)
	v_add_co_ci_u32_e64 v2, null, v4, v2, vcc_lo
	v_mul_lo_u32 v34, v31, s11
	v_mad_co_u64_u32 v[31:32], null, v31, s10, 0
	s_delay_alu instid0(VALU_DEP_3) | instskip(SKIP_1) | instid1(VALU_DEP_1)
	v_mul_lo_u32 v2, v2, s10
	v_add3_u32 v16, v16, v33, v24
	v_lshlrev_b64_e32 v[15:16], 1, v[15:16]
	s_delay_alu instid0(VALU_DEP_3) | instskip(NEXT) | instid1(VALU_DEP_2)
	v_add3_u32 v32, v32, v34, v2
	v_add_co_u32 v2, vcc_lo, s2, v15
	s_delay_alu instid0(VALU_DEP_2) | instskip(SKIP_1) | instid1(VALU_DEP_4)
	v_lshlrev_b64_e32 v[31:32], 1, v[31:32]
	s_wait_alu 0xfffd
	v_add_co_ci_u32_e64 v16, null, s3, v16, vcc_lo
	s_delay_alu instid0(VALU_DEP_2) | instskip(SKIP_1) | instid1(VALU_DEP_2)
	v_add_co_u32 v15, vcc_lo, v2, v31
	s_wait_alu 0xfffd
	v_add_co_ci_u32_e64 v16, null, v16, v32, vcc_lo
	v_add_co_u32 v2, vcc_lo, v13, 3
	s_wait_alu 0xfffd
	v_add_co_ci_u32_e64 v13, null, 0, v14, vcc_lo
	global_load_u16 v31, v[15:16], off
	v_mul_lo_u32 v15, s5, v2
	v_mul_lo_u32 v16, s4, v13
	v_mad_co_u64_u32 v[13:14], null, s4, v2, 0
	s_delay_alu instid0(VALU_DEP_1) | instskip(NEXT) | instid1(VALU_DEP_2)
	v_add3_u32 v14, v14, v16, v15
	v_add_co_u32 v35, vcc_lo, v3, v13
                                        ; implicit-def: $vgpr15_vgpr16
	s_wait_alu 0xfffd
	s_delay_alu instid0(VALU_DEP_2) | instskip(NEXT) | instid1(VALU_DEP_1)
	v_add_co_ci_u32_e64 v36, null, v4, v14, vcc_lo
	v_or_b32_e32 v2, s35, v36
	v_ashrrev_i32_e32 v24, 31, v36
	s_delay_alu instid0(VALU_DEP_2)
	v_cmpx_ne_u64_e32 0, v[1:2]
	s_wait_alu 0xfffe
	s_xor_b32 s81, exec_lo, s0
	s_cbranch_execz .LBB11_21
; %bb.20:                               ;   in Loop: Header=BB11_3 Depth=1
	s_ashr_i32 s74, s35, 31
	v_add_co_u32 v2, vcc_lo, v35, v24
	s_wait_alu 0xfffe
	s_mov_b32 s75, s74
	s_wait_alu 0xfffd
	v_add_co_ci_u32_e64 v15, null, v36, v24, vcc_lo
	s_wait_alu 0xfffe
	s_add_nc_u64 s[76:77], s[34:35], s[74:75]
	v_xor_b32_e32 v2, v2, v24
	s_wait_alu 0xfffe
	s_xor_b64 s[76:77], s[76:77], s[74:75]
	v_xor_b32_e32 v34, v15, v24
	s_wait_alu 0xfffe
	s_cvt_f32_u32 s0, s76
	s_cvt_f32_u32 s75, s77
	s_sub_nc_u64 s[84:85], 0, s[76:77]
	s_wait_alu 0xfffe
	s_delay_alu instid0(SALU_CYCLE_1) | instskip(SKIP_1) | instid1(SALU_CYCLE_2)
	s_fmamk_f32 s0, s75, 0x4f800000, s0
	s_wait_alu 0xfffe
	v_s_rcp_f32 s0, s0
	s_delay_alu instid0(TRANS32_DEP_1) | instskip(SKIP_1) | instid1(SALU_CYCLE_2)
	s_mul_f32 s0, s0, 0x5f7ffffc
	s_wait_alu 0xfffe
	s_mul_f32 s75, s0, 0x2f800000
	s_wait_alu 0xfffe
	s_delay_alu instid0(SALU_CYCLE_2) | instskip(SKIP_1) | instid1(SALU_CYCLE_2)
	s_trunc_f32 s75, s75
	s_wait_alu 0xfffe
	s_fmamk_f32 s0, s75, 0xcf800000, s0
	s_cvt_u32_f32 s83, s75
	s_wait_alu 0xfffe
	s_delay_alu instid0(SALU_CYCLE_1) | instskip(NEXT) | instid1(SALU_CYCLE_3)
	s_cvt_u32_f32 s82, s0
	s_mul_u64 s[86:87], s[84:85], s[82:83]
	s_delay_alu instid0(SALU_CYCLE_1)
	s_mul_hi_u32 s89, s82, s87
	s_mul_i32 s88, s82, s87
	s_mul_hi_u32 s0, s82, s86
	s_mul_i32 s90, s83, s86
	s_wait_alu 0xfffe
	s_add_nc_u64 s[88:89], s[0:1], s[88:89]
	s_mul_hi_u32 s75, s83, s86
	s_mul_hi_u32 s91, s83, s87
	s_add_co_u32 s0, s88, s90
	s_wait_alu 0xfffe
	s_add_co_ci_u32 s0, s89, s75
	s_mul_i32 s86, s83, s87
	s_add_co_ci_u32 s87, s91, 0
	s_wait_alu 0xfffe
	s_add_nc_u64 s[86:87], s[0:1], s[86:87]
	s_delay_alu instid0(SALU_CYCLE_1) | instskip(SKIP_4) | instid1(SALU_CYCLE_1)
	s_add_co_u32 s82, s82, s86
	s_cselect_b32 s0, -1, 0
	s_wait_alu 0xfffe
	s_cmp_lg_u32 s0, 0
	s_add_co_ci_u32 s83, s83, s87
	s_mul_u64 s[84:85], s[84:85], s[82:83]
	s_delay_alu instid0(SALU_CYCLE_1)
	s_mul_hi_u32 s87, s82, s85
	s_mul_i32 s86, s82, s85
	s_mul_hi_u32 s0, s82, s84
	s_mul_i32 s88, s83, s84
	s_wait_alu 0xfffe
	s_add_nc_u64 s[86:87], s[0:1], s[86:87]
	s_mul_hi_u32 s75, s83, s84
	s_mul_hi_u32 s89, s83, s85
	s_add_co_u32 s0, s86, s88
	s_wait_alu 0xfffe
	s_add_co_ci_u32 s0, s87, s75
	s_mul_i32 s84, s83, s85
	s_add_co_ci_u32 s85, s89, 0
	s_wait_alu 0xfffe
	s_add_nc_u64 s[84:85], s[0:1], s[84:85]
	s_delay_alu instid0(SALU_CYCLE_1)
	s_add_co_u32 s0, s82, s84
	s_cselect_b32 s75, -1, 0
	s_wait_alu 0xfffe
	v_mul_hi_u32 v39, v2, s0
	s_cmp_lg_u32 s75, 0
	v_mad_co_u64_u32 v[32:33], null, v34, s0, 0
	s_add_co_ci_u32 s75, s83, s85
	s_wait_alu 0xfffe
	v_mad_co_u64_u32 v[15:16], null, v2, s75, 0
	v_mad_co_u64_u32 v[37:38], null, v34, s75, 0
	s_delay_alu instid0(VALU_DEP_2) | instskip(SKIP_1) | instid1(VALU_DEP_3)
	v_add_co_u32 v15, vcc_lo, v39, v15
	s_wait_alu 0xfffd
	v_add_co_ci_u32_e64 v16, null, 0, v16, vcc_lo
	s_delay_alu instid0(VALU_DEP_2) | instskip(SKIP_1) | instid1(VALU_DEP_2)
	v_add_co_u32 v15, vcc_lo, v15, v32
	s_wait_alu 0xfffd
	v_add_co_ci_u32_e32 v15, vcc_lo, v16, v33, vcc_lo
	s_wait_alu 0xfffd
	v_add_co_ci_u32_e32 v16, vcc_lo, 0, v38, vcc_lo
	s_delay_alu instid0(VALU_DEP_2) | instskip(SKIP_1) | instid1(VALU_DEP_2)
	v_add_co_u32 v32, vcc_lo, v15, v37
	s_wait_alu 0xfffd
	v_add_co_ci_u32_e64 v33, null, 0, v16, vcc_lo
	s_delay_alu instid0(VALU_DEP_2) | instskip(SKIP_1) | instid1(VALU_DEP_3)
	v_mul_lo_u32 v37, s77, v32
	v_mad_co_u64_u32 v[15:16], null, s76, v32, 0
	v_mul_lo_u32 v38, s76, v33
	s_delay_alu instid0(VALU_DEP_2) | instskip(NEXT) | instid1(VALU_DEP_2)
	v_sub_co_u32 v2, vcc_lo, v2, v15
	v_add3_u32 v16, v16, v38, v37
	s_delay_alu instid0(VALU_DEP_1) | instskip(SKIP_2) | instid1(VALU_DEP_2)
	v_sub_nc_u32_e32 v37, v34, v16
	s_wait_alu 0xfffd
	v_sub_co_ci_u32_e64 v16, null, v34, v16, vcc_lo
	v_subrev_co_ci_u32_e64 v15, null, s77, v37, vcc_lo
	v_add_co_u32 v37, s0, v32, 2
	s_wait_alu 0xf1ff
	v_add_co_ci_u32_e64 v38, null, 0, v33, s0
	v_sub_co_u32 v39, s0, v2, s76
	s_wait_alu 0xf1ff
	v_subrev_co_ci_u32_e64 v15, null, 0, v15, s0
	s_delay_alu instid0(VALU_DEP_2) | instskip(SKIP_2) | instid1(VALU_DEP_3)
	v_cmp_le_u32_e32 vcc_lo, s76, v39
	s_wait_alu 0xfffd
	v_cndmask_b32_e64 v34, 0, -1, vcc_lo
	v_cmp_le_u32_e32 vcc_lo, s77, v15
	s_wait_alu 0xfffd
	v_cndmask_b32_e64 v39, 0, -1, vcc_lo
	;; [unrolled: 3-line block ×4, first 2 shown]
	v_cmp_eq_u32_e32 vcc_lo, s77, v15
	s_wait_alu 0xfffd
	v_cndmask_b32_e32 v15, v39, v34, vcc_lo
	v_add_co_u32 v34, vcc_lo, v32, 1
	s_wait_alu 0xfffd
	v_add_co_ci_u32_e64 v39, null, 0, v33, vcc_lo
	v_cmp_eq_u32_e32 vcc_lo, s77, v16
	v_xor_b32_e32 v16, s74, v24
	s_wait_alu 0xfffd
	v_cndmask_b32_e32 v2, v40, v2, vcc_lo
	v_cmp_ne_u32_e32 vcc_lo, 0, v15
	s_delay_alu instid0(VALU_DEP_2) | instskip(SKIP_3) | instid1(VALU_DEP_1)
	v_cmp_ne_u32_e64 s0, 0, v2
	s_wait_alu 0xfffd
	v_dual_cndmask_b32 v2, v34, v37 :: v_dual_cndmask_b32 v15, v39, v38
	s_wait_alu 0xf1ff
	v_cndmask_b32_e64 v2, v32, v2, s0
	s_delay_alu instid0(VALU_DEP_2) | instskip(NEXT) | instid1(VALU_DEP_2)
	v_cndmask_b32_e64 v15, v33, v15, s0
	v_xor_b32_e32 v2, v2, v16
	s_delay_alu instid0(VALU_DEP_2) | instskip(NEXT) | instid1(VALU_DEP_2)
	v_xor_b32_e32 v32, v15, v16
	v_sub_co_u32 v15, vcc_lo, v2, v16
	s_wait_alu 0xfffd
	s_delay_alu instid0(VALU_DEP_2)
	v_sub_co_ci_u32_e64 v16, null, v32, v16, vcc_lo
.LBB11_21:                              ;   in Loop: Header=BB11_3 Depth=1
	s_and_not1_saveexec_b32 s0, s81
	s_cbranch_execz .LBB11_23
; %bb.22:                               ;   in Loop: Header=BB11_3 Depth=1
	s_sub_co_i32 s74, 0, s34
	s_wait_alu 0xfffe
	v_mul_lo_u32 v2, s74, v27
	s_delay_alu instid0(VALU_DEP_1) | instskip(NEXT) | instid1(VALU_DEP_1)
	v_mul_hi_u32 v2, v27, v2
	v_add_nc_u32_e32 v2, v27, v2
	s_delay_alu instid0(VALU_DEP_1) | instskip(NEXT) | instid1(VALU_DEP_1)
	v_mul_hi_u32 v2, v35, v2
	v_mul_lo_u32 v15, v2, s34
	s_delay_alu instid0(VALU_DEP_1) | instskip(NEXT) | instid1(VALU_DEP_1)
	v_sub_nc_u32_e32 v15, v35, v15
	v_subrev_nc_u32_e32 v32, s34, v15
	v_cmp_le_u32_e32 vcc_lo, s34, v15
	s_wait_alu 0xfffd
	s_delay_alu instid0(VALU_DEP_2) | instskip(NEXT) | instid1(VALU_DEP_1)
	v_dual_cndmask_b32 v15, v15, v32 :: v_dual_add_nc_u32 v16, 1, v2
	v_cndmask_b32_e32 v2, v2, v16, vcc_lo
	s_delay_alu instid0(VALU_DEP_2) | instskip(NEXT) | instid1(VALU_DEP_2)
	v_cmp_le_u32_e32 vcc_lo, s34, v15
	v_add_nc_u32_e32 v16, 1, v2
	s_wait_alu 0xfffd
	s_delay_alu instid0(VALU_DEP_1)
	v_dual_cndmask_b32 v15, v2, v16 :: v_dual_mov_b32 v16, v1
.LBB11_23:                              ;   in Loop: Header=BB11_3 Depth=1
	s_wait_alu 0xfffe
	s_or_b32 exec_lo, exec_lo, s0
	s_delay_alu instid0(VALU_DEP_1) | instskip(NEXT) | instid1(VALU_DEP_2)
	v_mul_lo_u32 v2, v16, s34
	v_mul_lo_u32 v34, v15, s35
	v_mad_co_u64_u32 v[32:33], null, v15, s34, 0
	v_mul_lo_u32 v37, v15, s9
	s_mov_b32 s0, exec_lo
	s_delay_alu instid0(VALU_DEP_2) | instskip(SKIP_1) | instid1(VALU_DEP_4)
	v_add3_u32 v2, v33, v34, v2
	v_mul_lo_u32 v34, v16, s8
	v_sub_co_u32 v16, vcc_lo, v13, v32
	s_wait_alu 0xfffd
	s_delay_alu instid0(VALU_DEP_3) | instskip(NEXT) | instid1(VALU_DEP_2)
	v_sub_co_ci_u32_e64 v2, null, v14, v2, vcc_lo
	v_add_co_u32 v32, vcc_lo, v3, v16
	v_mad_co_u64_u32 v[15:16], null, v15, s8, 0
	s_wait_alu 0xfffd
	s_delay_alu instid0(VALU_DEP_3) | instskip(NEXT) | instid1(VALU_DEP_3)
	v_add_co_ci_u32_e64 v2, null, v4, v2, vcc_lo
	v_mul_lo_u32 v38, v32, s11
	v_mad_co_u64_u32 v[32:33], null, v32, s10, 0
	s_delay_alu instid0(VALU_DEP_3) | instskip(SKIP_1) | instid1(VALU_DEP_1)
	v_mul_lo_u32 v2, v2, s10
	v_add3_u32 v16, v16, v37, v34
	v_lshlrev_b64_e32 v[15:16], 1, v[15:16]
	s_delay_alu instid0(VALU_DEP_3) | instskip(NEXT) | instid1(VALU_DEP_2)
	v_add3_u32 v33, v33, v38, v2
	v_add_co_u32 v2, vcc_lo, s2, v15
	s_delay_alu instid0(VALU_DEP_2) | instskip(SKIP_1) | instid1(VALU_DEP_4)
	v_lshlrev_b64_e32 v[32:33], 1, v[32:33]
	s_wait_alu 0xfffd
	v_add_co_ci_u32_e64 v16, null, s3, v16, vcc_lo
	s_delay_alu instid0(VALU_DEP_2) | instskip(SKIP_1) | instid1(VALU_DEP_2)
	v_add_co_u32 v15, vcc_lo, v2, v32
	s_wait_alu 0xfffd
	v_add_co_ci_u32_e64 v16, null, v16, v33, vcc_lo
	v_or_b32_e32 v2, s39, v20
	global_load_u16 v32, v[15:16], off
                                        ; implicit-def: $vgpr15_vgpr16
	v_cmpx_ne_u64_e32 0, v[1:2]
	s_wait_alu 0xfffe
	s_xor_b32 s81, exec_lo, s0
	s_cbranch_execz .LBB11_25
; %bb.24:                               ;   in Loop: Header=BB11_3 Depth=1
	s_ashr_i32 s74, s39, 31
	v_add_co_u32 v2, vcc_lo, v18, v17
	s_wait_alu 0xfffe
	s_mov_b32 s75, s74
	s_wait_alu 0xfffd
	v_add_co_ci_u32_e64 v15, null, v20, v17, vcc_lo
	s_wait_alu 0xfffe
	s_add_nc_u64 s[76:77], s[38:39], s[74:75]
	v_xor_b32_e32 v2, v2, v17
	s_wait_alu 0xfffe
	s_xor_b64 s[76:77], s[76:77], s[74:75]
	v_xor_b32_e32 v39, v15, v17
	s_wait_alu 0xfffe
	s_cvt_f32_u32 s0, s76
	s_cvt_f32_u32 s75, s77
	s_sub_nc_u64 s[84:85], 0, s[76:77]
	s_wait_alu 0xfffe
	s_delay_alu instid0(SALU_CYCLE_1) | instskip(SKIP_1) | instid1(SALU_CYCLE_2)
	s_fmamk_f32 s0, s75, 0x4f800000, s0
	s_wait_alu 0xfffe
	v_s_rcp_f32 s0, s0
	s_delay_alu instid0(TRANS32_DEP_1) | instskip(SKIP_1) | instid1(SALU_CYCLE_2)
	s_mul_f32 s0, s0, 0x5f7ffffc
	s_wait_alu 0xfffe
	s_mul_f32 s75, s0, 0x2f800000
	s_wait_alu 0xfffe
	s_delay_alu instid0(SALU_CYCLE_2) | instskip(SKIP_1) | instid1(SALU_CYCLE_2)
	s_trunc_f32 s75, s75
	s_wait_alu 0xfffe
	s_fmamk_f32 s0, s75, 0xcf800000, s0
	s_cvt_u32_f32 s83, s75
	s_wait_alu 0xfffe
	s_delay_alu instid0(SALU_CYCLE_1) | instskip(NEXT) | instid1(SALU_CYCLE_3)
	s_cvt_u32_f32 s82, s0
	s_mul_u64 s[86:87], s[84:85], s[82:83]
	s_delay_alu instid0(SALU_CYCLE_1)
	s_mul_hi_u32 s89, s82, s87
	s_mul_i32 s88, s82, s87
	s_mul_hi_u32 s0, s82, s86
	s_mul_i32 s90, s83, s86
	s_wait_alu 0xfffe
	s_add_nc_u64 s[88:89], s[0:1], s[88:89]
	s_mul_hi_u32 s75, s83, s86
	s_mul_hi_u32 s91, s83, s87
	s_add_co_u32 s0, s88, s90
	s_wait_alu 0xfffe
	s_add_co_ci_u32 s0, s89, s75
	s_mul_i32 s86, s83, s87
	s_add_co_ci_u32 s87, s91, 0
	s_wait_alu 0xfffe
	s_add_nc_u64 s[86:87], s[0:1], s[86:87]
	s_delay_alu instid0(SALU_CYCLE_1) | instskip(SKIP_4) | instid1(SALU_CYCLE_1)
	s_add_co_u32 s82, s82, s86
	s_cselect_b32 s0, -1, 0
	s_wait_alu 0xfffe
	s_cmp_lg_u32 s0, 0
	s_add_co_ci_u32 s83, s83, s87
	s_mul_u64 s[84:85], s[84:85], s[82:83]
	s_delay_alu instid0(SALU_CYCLE_1)
	s_mul_hi_u32 s87, s82, s85
	s_mul_i32 s86, s82, s85
	s_mul_hi_u32 s0, s82, s84
	s_mul_i32 s88, s83, s84
	s_wait_alu 0xfffe
	s_add_nc_u64 s[86:87], s[0:1], s[86:87]
	s_mul_hi_u32 s75, s83, s84
	s_mul_hi_u32 s89, s83, s85
	s_add_co_u32 s0, s86, s88
	s_wait_alu 0xfffe
	s_add_co_ci_u32 s0, s87, s75
	s_mul_i32 s84, s83, s85
	s_add_co_ci_u32 s85, s89, 0
	s_wait_alu 0xfffe
	s_add_nc_u64 s[84:85], s[0:1], s[84:85]
	s_delay_alu instid0(SALU_CYCLE_1)
	s_add_co_u32 s0, s82, s84
	s_cselect_b32 s75, -1, 0
	s_wait_alu 0xfffe
	v_mul_hi_u32 v40, v2, s0
	s_cmp_lg_u32 s75, 0
	v_mad_co_u64_u32 v[33:34], null, v39, s0, 0
	s_add_co_ci_u32 s75, s83, s85
	s_wait_alu 0xfffe
	v_mad_co_u64_u32 v[15:16], null, v2, s75, 0
	v_mad_co_u64_u32 v[37:38], null, v39, s75, 0
	s_delay_alu instid0(VALU_DEP_2) | instskip(SKIP_1) | instid1(VALU_DEP_3)
	v_add_co_u32 v15, vcc_lo, v40, v15
	s_wait_alu 0xfffd
	v_add_co_ci_u32_e64 v16, null, 0, v16, vcc_lo
	s_delay_alu instid0(VALU_DEP_2) | instskip(SKIP_1) | instid1(VALU_DEP_2)
	v_add_co_u32 v15, vcc_lo, v15, v33
	s_wait_alu 0xfffd
	v_add_co_ci_u32_e32 v15, vcc_lo, v16, v34, vcc_lo
	s_wait_alu 0xfffd
	v_add_co_ci_u32_e32 v16, vcc_lo, 0, v38, vcc_lo
	s_delay_alu instid0(VALU_DEP_2) | instskip(SKIP_1) | instid1(VALU_DEP_2)
	v_add_co_u32 v33, vcc_lo, v15, v37
	s_wait_alu 0xfffd
	v_add_co_ci_u32_e64 v34, null, 0, v16, vcc_lo
	s_delay_alu instid0(VALU_DEP_2) | instskip(SKIP_1) | instid1(VALU_DEP_3)
	v_mul_lo_u32 v37, s77, v33
	v_mad_co_u64_u32 v[15:16], null, s76, v33, 0
	v_mul_lo_u32 v38, s76, v34
	s_delay_alu instid0(VALU_DEP_2) | instskip(NEXT) | instid1(VALU_DEP_2)
	v_sub_co_u32 v2, vcc_lo, v2, v15
	v_add3_u32 v16, v16, v38, v37
	s_delay_alu instid0(VALU_DEP_1) | instskip(SKIP_2) | instid1(VALU_DEP_2)
	v_sub_nc_u32_e32 v37, v39, v16
	s_wait_alu 0xfffd
	v_sub_co_ci_u32_e64 v16, null, v39, v16, vcc_lo
	v_subrev_co_ci_u32_e64 v15, null, s77, v37, vcc_lo
	v_add_co_u32 v37, s0, v33, 2
	s_wait_alu 0xf1ff
	v_add_co_ci_u32_e64 v38, null, 0, v34, s0
	v_sub_co_u32 v40, s0, v2, s76
	s_wait_alu 0xf1ff
	v_subrev_co_ci_u32_e64 v15, null, 0, v15, s0
	s_delay_alu instid0(VALU_DEP_2) | instskip(SKIP_2) | instid1(VALU_DEP_3)
	v_cmp_le_u32_e32 vcc_lo, s76, v40
	s_wait_alu 0xfffd
	v_cndmask_b32_e64 v39, 0, -1, vcc_lo
	v_cmp_le_u32_e32 vcc_lo, s77, v15
	s_wait_alu 0xfffd
	v_cndmask_b32_e64 v40, 0, -1, vcc_lo
	;; [unrolled: 3-line block ×4, first 2 shown]
	v_cmp_eq_u32_e32 vcc_lo, s77, v15
	s_wait_alu 0xfffd
	v_cndmask_b32_e32 v15, v40, v39, vcc_lo
	v_add_co_u32 v39, vcc_lo, v33, 1
	s_wait_alu 0xfffd
	v_add_co_ci_u32_e64 v40, null, 0, v34, vcc_lo
	v_cmp_eq_u32_e32 vcc_lo, s77, v16
	v_xor_b32_e32 v16, s74, v17
	s_wait_alu 0xfffd
	v_cndmask_b32_e32 v2, v41, v2, vcc_lo
	v_cmp_ne_u32_e32 vcc_lo, 0, v15
	s_delay_alu instid0(VALU_DEP_2) | instskip(SKIP_3) | instid1(VALU_DEP_1)
	v_cmp_ne_u32_e64 s0, 0, v2
	s_wait_alu 0xfffd
	v_dual_cndmask_b32 v15, v40, v38 :: v_dual_cndmask_b32 v2, v39, v37
	s_wait_alu 0xf1ff
	v_cndmask_b32_e64 v15, v34, v15, s0
	s_delay_alu instid0(VALU_DEP_2) | instskip(NEXT) | instid1(VALU_DEP_2)
	v_cndmask_b32_e64 v2, v33, v2, s0
	v_xor_b32_e32 v33, v15, v16
	s_delay_alu instid0(VALU_DEP_2) | instskip(NEXT) | instid1(VALU_DEP_1)
	v_xor_b32_e32 v2, v2, v16
	v_sub_co_u32 v15, vcc_lo, v2, v16
	s_wait_alu 0xfffd
	s_delay_alu instid0(VALU_DEP_3)
	v_sub_co_ci_u32_e64 v16, null, v33, v16, vcc_lo
.LBB11_25:                              ;   in Loop: Header=BB11_3 Depth=1
	s_or_saveexec_b32 s0, s81
	v_cvt_f32_u32_e32 v38, s38
	s_wait_alu 0xfffe
	s_xor_b32 exec_lo, exec_lo, s0
	s_cbranch_execz .LBB11_27
; %bb.26:                               ;   in Loop: Header=BB11_3 Depth=1
	s_delay_alu instid0(VALU_DEP_1) | instskip(SKIP_1) | instid1(TRANS32_DEP_1)
	v_rcp_iflag_f32_e32 v2, v38
	s_sub_co_i32 s74, 0, s38
	v_mul_f32_e32 v2, 0x4f7ffffe, v2
	s_delay_alu instid0(VALU_DEP_1) | instskip(SKIP_1) | instid1(VALU_DEP_1)
	v_cvt_u32_f32_e32 v2, v2
	s_wait_alu 0xfffe
	v_mul_lo_u32 v15, s74, v2
	s_delay_alu instid0(VALU_DEP_1) | instskip(NEXT) | instid1(VALU_DEP_1)
	v_mul_hi_u32 v15, v2, v15
	v_add_nc_u32_e32 v2, v2, v15
	s_delay_alu instid0(VALU_DEP_1) | instskip(NEXT) | instid1(VALU_DEP_1)
	v_mul_hi_u32 v2, v18, v2
	v_mul_lo_u32 v15, v2, s38
	v_add_nc_u32_e32 v16, 1, v2
	s_delay_alu instid0(VALU_DEP_2) | instskip(NEXT) | instid1(VALU_DEP_1)
	v_sub_nc_u32_e32 v15, v18, v15
	v_subrev_nc_u32_e32 v33, s38, v15
	v_cmp_le_u32_e32 vcc_lo, s38, v15
	s_wait_alu 0xfffd
	s_delay_alu instid0(VALU_DEP_2) | instskip(NEXT) | instid1(VALU_DEP_1)
	v_dual_cndmask_b32 v15, v15, v33 :: v_dual_cndmask_b32 v2, v2, v16
	v_cmp_le_u32_e32 vcc_lo, s38, v15
	s_delay_alu instid0(VALU_DEP_2) | instskip(SKIP_1) | instid1(VALU_DEP_1)
	v_add_nc_u32_e32 v16, 1, v2
	s_wait_alu 0xfffd
	v_dual_cndmask_b32 v15, v2, v16 :: v_dual_mov_b32 v16, v1
.LBB11_27:                              ;   in Loop: Header=BB11_3 Depth=1
	s_or_b32 exec_lo, exec_lo, s0
	s_delay_alu instid0(VALU_DEP_1) | instskip(NEXT) | instid1(VALU_DEP_2)
	v_mul_lo_u32 v2, v16, s38
	v_mul_lo_u32 v37, v15, s39
	v_mad_co_u64_u32 v[33:34], null, v15, s38, 0
	v_mul_lo_u32 v39, v15, s13
	s_mov_b32 s0, exec_lo
	s_delay_alu instid0(VALU_DEP_2) | instskip(SKIP_1) | instid1(VALU_DEP_4)
	v_add3_u32 v2, v34, v37, v2
	v_mul_lo_u32 v37, v16, s12
	v_sub_co_u32 v16, vcc_lo, v5, v33
	s_wait_alu 0xfffd
	s_delay_alu instid0(VALU_DEP_3) | instskip(NEXT) | instid1(VALU_DEP_2)
	v_sub_co_ci_u32_e64 v2, null, v6, v2, vcc_lo
	v_add_co_u32 v33, vcc_lo, v3, v16
	v_mad_co_u64_u32 v[15:16], null, v15, s12, 0
	s_wait_alu 0xfffd
	s_delay_alu instid0(VALU_DEP_3) | instskip(NEXT) | instid1(VALU_DEP_3)
	v_add_co_ci_u32_e64 v2, null, v4, v2, vcc_lo
	v_mul_lo_u32 v40, v33, s15
	v_mad_co_u64_u32 v[33:34], null, v33, s14, 0
	s_delay_alu instid0(VALU_DEP_3) | instskip(SKIP_1) | instid1(VALU_DEP_1)
	v_mul_lo_u32 v2, v2, s14
	v_add3_u32 v16, v16, v39, v37
	v_lshlrev_b64_e32 v[15:16], 1, v[15:16]
	s_delay_alu instid0(VALU_DEP_3) | instskip(NEXT) | instid1(VALU_DEP_2)
	v_add3_u32 v34, v34, v40, v2
	v_add_co_u32 v2, vcc_lo, s36, v15
	s_delay_alu instid0(VALU_DEP_2) | instskip(SKIP_1) | instid1(VALU_DEP_4)
	v_lshlrev_b64_e32 v[33:34], 1, v[33:34]
	s_wait_alu 0xfffd
	v_add_co_ci_u32_e64 v16, null, s37, v16, vcc_lo
	s_delay_alu instid0(VALU_DEP_2) | instskip(SKIP_1) | instid1(VALU_DEP_2)
	v_add_co_u32 v15, vcc_lo, v2, v33
	s_wait_alu 0xfffd
	v_add_co_ci_u32_e64 v16, null, v16, v34, vcc_lo
	v_or_b32_e32 v2, s39, v23
	global_load_u16 v33, v[15:16], off
                                        ; implicit-def: $vgpr15_vgpr16
	v_cmpx_ne_u64_e32 0, v[1:2]
	s_wait_alu 0xfffe
	s_xor_b32 s81, exec_lo, s0
	s_cbranch_execz .LBB11_29
; %bb.28:                               ;   in Loop: Header=BB11_3 Depth=1
	s_ashr_i32 s74, s39, 31
	v_add_co_u32 v2, vcc_lo, v22, v19
	s_wait_alu 0xfffe
	s_mov_b32 s75, s74
	s_wait_alu 0xfffd
	v_add_co_ci_u32_e64 v15, null, v23, v19, vcc_lo
	s_wait_alu 0xfffe
	s_add_nc_u64 s[76:77], s[38:39], s[74:75]
	v_xor_b32_e32 v2, v2, v19
	s_wait_alu 0xfffe
	s_xor_b64 s[76:77], s[76:77], s[74:75]
	v_xor_b32_e32 v34, v15, v19
	s_wait_alu 0xfffe
	s_cvt_f32_u32 s0, s76
	s_cvt_f32_u32 s75, s77
	s_sub_nc_u64 s[84:85], 0, s[76:77]
	s_wait_alu 0xfffe
	s_delay_alu instid0(SALU_CYCLE_1) | instskip(SKIP_1) | instid1(SALU_CYCLE_2)
	s_fmamk_f32 s0, s75, 0x4f800000, s0
	s_wait_alu 0xfffe
	v_s_rcp_f32 s0, s0
	s_delay_alu instid0(TRANS32_DEP_1) | instskip(SKIP_1) | instid1(SALU_CYCLE_2)
	s_mul_f32 s0, s0, 0x5f7ffffc
	s_wait_alu 0xfffe
	s_mul_f32 s75, s0, 0x2f800000
	s_wait_alu 0xfffe
	s_delay_alu instid0(SALU_CYCLE_2) | instskip(SKIP_1) | instid1(SALU_CYCLE_2)
	s_trunc_f32 s75, s75
	s_wait_alu 0xfffe
	s_fmamk_f32 s0, s75, 0xcf800000, s0
	s_cvt_u32_f32 s83, s75
	s_wait_alu 0xfffe
	s_delay_alu instid0(SALU_CYCLE_1) | instskip(NEXT) | instid1(SALU_CYCLE_3)
	s_cvt_u32_f32 s82, s0
	s_mul_u64 s[86:87], s[84:85], s[82:83]
	s_delay_alu instid0(SALU_CYCLE_1)
	s_mul_hi_u32 s89, s82, s87
	s_mul_i32 s88, s82, s87
	s_mul_hi_u32 s0, s82, s86
	s_mul_i32 s90, s83, s86
	s_wait_alu 0xfffe
	s_add_nc_u64 s[88:89], s[0:1], s[88:89]
	s_mul_hi_u32 s75, s83, s86
	s_mul_hi_u32 s91, s83, s87
	s_add_co_u32 s0, s88, s90
	s_wait_alu 0xfffe
	s_add_co_ci_u32 s0, s89, s75
	s_mul_i32 s86, s83, s87
	s_add_co_ci_u32 s87, s91, 0
	s_wait_alu 0xfffe
	s_add_nc_u64 s[86:87], s[0:1], s[86:87]
	s_delay_alu instid0(SALU_CYCLE_1) | instskip(SKIP_4) | instid1(SALU_CYCLE_1)
	s_add_co_u32 s82, s82, s86
	s_cselect_b32 s0, -1, 0
	s_wait_alu 0xfffe
	s_cmp_lg_u32 s0, 0
	s_add_co_ci_u32 s83, s83, s87
	s_mul_u64 s[84:85], s[84:85], s[82:83]
	s_delay_alu instid0(SALU_CYCLE_1)
	s_mul_hi_u32 s87, s82, s85
	s_mul_i32 s86, s82, s85
	s_mul_hi_u32 s0, s82, s84
	s_mul_i32 s88, s83, s84
	s_wait_alu 0xfffe
	s_add_nc_u64 s[86:87], s[0:1], s[86:87]
	s_mul_hi_u32 s75, s83, s84
	s_mul_hi_u32 s89, s83, s85
	s_add_co_u32 s0, s86, s88
	s_wait_alu 0xfffe
	s_add_co_ci_u32 s0, s87, s75
	s_mul_i32 s84, s83, s85
	s_add_co_ci_u32 s85, s89, 0
	s_wait_alu 0xfffe
	s_add_nc_u64 s[84:85], s[0:1], s[84:85]
	s_delay_alu instid0(SALU_CYCLE_1)
	s_add_co_u32 s0, s82, s84
	s_cselect_b32 s75, -1, 0
	s_wait_alu 0xfffe
	v_mul_hi_u32 v37, v2, s0
	s_cmp_lg_u32 s75, 0
	v_mad_co_u64_u32 v[39:40], null, v34, s0, 0
	s_add_co_ci_u32 s75, s83, s85
	s_wait_alu 0xfffe
	v_mad_co_u64_u32 v[15:16], null, v2, s75, 0
	v_mad_co_u64_u32 v[41:42], null, v34, s75, 0
	s_delay_alu instid0(VALU_DEP_2) | instskip(SKIP_1) | instid1(VALU_DEP_3)
	v_add_co_u32 v15, vcc_lo, v37, v15
	s_wait_alu 0xfffd
	v_add_co_ci_u32_e64 v16, null, 0, v16, vcc_lo
	s_delay_alu instid0(VALU_DEP_2) | instskip(SKIP_1) | instid1(VALU_DEP_2)
	v_add_co_u32 v15, vcc_lo, v15, v39
	s_wait_alu 0xfffd
	v_add_co_ci_u32_e32 v15, vcc_lo, v16, v40, vcc_lo
	s_wait_alu 0xfffd
	v_add_co_ci_u32_e32 v16, vcc_lo, 0, v42, vcc_lo
	s_delay_alu instid0(VALU_DEP_2) | instskip(SKIP_1) | instid1(VALU_DEP_2)
	v_add_co_u32 v37, vcc_lo, v15, v41
	s_wait_alu 0xfffd
	v_add_co_ci_u32_e64 v39, null, 0, v16, vcc_lo
	s_delay_alu instid0(VALU_DEP_2) | instskip(SKIP_1) | instid1(VALU_DEP_3)
	v_mul_lo_u32 v40, s77, v37
	v_mad_co_u64_u32 v[15:16], null, s76, v37, 0
	v_mul_lo_u32 v41, s76, v39
	s_delay_alu instid0(VALU_DEP_2) | instskip(NEXT) | instid1(VALU_DEP_2)
	v_sub_co_u32 v2, vcc_lo, v2, v15
	v_add3_u32 v16, v16, v41, v40
	s_delay_alu instid0(VALU_DEP_1) | instskip(SKIP_2) | instid1(VALU_DEP_2)
	v_sub_nc_u32_e32 v40, v34, v16
	s_wait_alu 0xfffd
	v_sub_co_ci_u32_e64 v16, null, v34, v16, vcc_lo
	v_subrev_co_ci_u32_e64 v15, null, s77, v40, vcc_lo
	v_add_co_u32 v40, s0, v37, 2
	s_wait_alu 0xf1ff
	v_add_co_ci_u32_e64 v41, null, 0, v39, s0
	v_sub_co_u32 v42, s0, v2, s76
	s_wait_alu 0xf1ff
	v_subrev_co_ci_u32_e64 v15, null, 0, v15, s0
	s_delay_alu instid0(VALU_DEP_2) | instskip(SKIP_2) | instid1(VALU_DEP_3)
	v_cmp_le_u32_e32 vcc_lo, s76, v42
	s_wait_alu 0xfffd
	v_cndmask_b32_e64 v34, 0, -1, vcc_lo
	v_cmp_le_u32_e32 vcc_lo, s77, v15
	s_wait_alu 0xfffd
	v_cndmask_b32_e64 v42, 0, -1, vcc_lo
	;; [unrolled: 3-line block ×4, first 2 shown]
	v_cmp_eq_u32_e32 vcc_lo, s77, v15
	s_wait_alu 0xfffd
	v_cndmask_b32_e32 v15, v42, v34, vcc_lo
	v_add_co_u32 v34, vcc_lo, v37, 1
	s_wait_alu 0xfffd
	v_add_co_ci_u32_e64 v42, null, 0, v39, vcc_lo
	v_cmp_eq_u32_e32 vcc_lo, s77, v16
	v_xor_b32_e32 v16, s74, v19
	s_wait_alu 0xfffd
	v_cndmask_b32_e32 v2, v43, v2, vcc_lo
	v_cmp_ne_u32_e32 vcc_lo, 0, v15
	s_wait_alu 0xfffd
	v_cndmask_b32_e32 v15, v42, v41, vcc_lo
	s_delay_alu instid0(VALU_DEP_3) | instskip(SKIP_2) | instid1(VALU_DEP_2)
	v_cmp_ne_u32_e64 s0, 0, v2
	v_cndmask_b32_e32 v2, v34, v40, vcc_lo
	s_wait_alu 0xf1ff
	v_cndmask_b32_e64 v15, v39, v15, s0
	s_delay_alu instid0(VALU_DEP_2) | instskip(NEXT) | instid1(VALU_DEP_2)
	v_cndmask_b32_e64 v2, v37, v2, s0
	v_xor_b32_e32 v34, v15, v16
	s_delay_alu instid0(VALU_DEP_2) | instskip(NEXT) | instid1(VALU_DEP_1)
	v_xor_b32_e32 v2, v2, v16
	v_sub_co_u32 v15, vcc_lo, v2, v16
	s_wait_alu 0xfffd
	s_delay_alu instid0(VALU_DEP_3)
	v_sub_co_ci_u32_e64 v16, null, v34, v16, vcc_lo
.LBB11_29:                              ;   in Loop: Header=BB11_3 Depth=1
	s_and_not1_saveexec_b32 s0, s81
	s_cbranch_execz .LBB11_31
; %bb.30:                               ;   in Loop: Header=BB11_3 Depth=1
	v_rcp_iflag_f32_e32 v2, v38
	s_sub_co_i32 s74, 0, s38
	s_delay_alu instid0(TRANS32_DEP_1) | instskip(NEXT) | instid1(VALU_DEP_1)
	v_mul_f32_e32 v2, 0x4f7ffffe, v2
	v_cvt_u32_f32_e32 v2, v2
	s_wait_alu 0xfffe
	s_delay_alu instid0(VALU_DEP_1) | instskip(NEXT) | instid1(VALU_DEP_1)
	v_mul_lo_u32 v15, s74, v2
	v_mul_hi_u32 v15, v2, v15
	s_delay_alu instid0(VALU_DEP_1) | instskip(NEXT) | instid1(VALU_DEP_1)
	v_add_nc_u32_e32 v2, v2, v15
	v_mul_hi_u32 v2, v22, v2
	s_delay_alu instid0(VALU_DEP_1) | instskip(SKIP_1) | instid1(VALU_DEP_2)
	v_mul_lo_u32 v15, v2, s38
	v_add_nc_u32_e32 v16, 1, v2
	v_sub_nc_u32_e32 v15, v22, v15
	s_delay_alu instid0(VALU_DEP_1) | instskip(SKIP_2) | instid1(VALU_DEP_2)
	v_subrev_nc_u32_e32 v34, s38, v15
	v_cmp_le_u32_e32 vcc_lo, s38, v15
	s_wait_alu 0xfffd
	v_dual_cndmask_b32 v15, v15, v34 :: v_dual_cndmask_b32 v2, v2, v16
	s_delay_alu instid0(VALU_DEP_1) | instskip(NEXT) | instid1(VALU_DEP_2)
	v_cmp_le_u32_e32 vcc_lo, s38, v15
	v_add_nc_u32_e32 v16, 1, v2
	s_wait_alu 0xfffd
	s_delay_alu instid0(VALU_DEP_1)
	v_dual_cndmask_b32 v15, v2, v16 :: v_dual_mov_b32 v16, v1
.LBB11_31:                              ;   in Loop: Header=BB11_3 Depth=1
	s_wait_alu 0xfffe
	s_or_b32 exec_lo, exec_lo, s0
	s_delay_alu instid0(VALU_DEP_1) | instskip(NEXT) | instid1(VALU_DEP_2)
	v_mul_lo_u32 v2, v16, s38
	v_mul_lo_u32 v34, v15, s39
	v_mad_co_u64_u32 v[39:40], null, v15, s38, 0
	v_mul_lo_u32 v37, v15, s13
	s_mov_b32 s0, exec_lo
	s_delay_alu instid0(VALU_DEP_2) | instskip(SKIP_1) | instid1(VALU_DEP_4)
	v_add3_u32 v2, v40, v34, v2
	v_mul_lo_u32 v34, v16, s12
	v_sub_co_u32 v16, vcc_lo, v7, v39
	s_wait_alu 0xfffd
	s_delay_alu instid0(VALU_DEP_3) | instskip(NEXT) | instid1(VALU_DEP_2)
	v_sub_co_ci_u32_e64 v2, null, v8, v2, vcc_lo
	v_add_co_u32 v39, vcc_lo, v3, v16
	v_mad_co_u64_u32 v[15:16], null, v15, s12, 0
	s_wait_alu 0xfffd
	s_delay_alu instid0(VALU_DEP_3) | instskip(NEXT) | instid1(VALU_DEP_3)
	v_add_co_ci_u32_e64 v2, null, v4, v2, vcc_lo
	v_mul_lo_u32 v41, v39, s15
	v_mad_co_u64_u32 v[39:40], null, v39, s14, 0
	s_delay_alu instid0(VALU_DEP_3) | instskip(SKIP_1) | instid1(VALU_DEP_1)
	v_mul_lo_u32 v2, v2, s14
	v_add3_u32 v16, v16, v37, v34
	v_lshlrev_b64_e32 v[15:16], 1, v[15:16]
	s_delay_alu instid0(VALU_DEP_3) | instskip(NEXT) | instid1(VALU_DEP_2)
	v_add3_u32 v40, v40, v41, v2
	v_add_co_u32 v2, vcc_lo, s36, v15
	s_delay_alu instid0(VALU_DEP_2) | instskip(SKIP_1) | instid1(VALU_DEP_4)
	v_lshlrev_b64_e32 v[39:40], 1, v[39:40]
	s_wait_alu 0xfffd
	v_add_co_ci_u32_e64 v16, null, s37, v16, vcc_lo
	s_delay_alu instid0(VALU_DEP_2) | instskip(SKIP_1) | instid1(VALU_DEP_2)
	v_add_co_u32 v15, vcc_lo, v2, v39
	s_wait_alu 0xfffd
	v_add_co_ci_u32_e64 v16, null, v16, v40, vcc_lo
	v_or_b32_e32 v2, s39, v26
	global_load_u16 v34, v[15:16], off
                                        ; implicit-def: $vgpr15_vgpr16
	v_cmpx_ne_u64_e32 0, v[1:2]
	s_wait_alu 0xfffe
	s_xor_b32 s81, exec_lo, s0
	s_cbranch_execz .LBB11_33
; %bb.32:                               ;   in Loop: Header=BB11_3 Depth=1
	s_ashr_i32 s74, s39, 31
	v_add_co_u32 v2, vcc_lo, v25, v21
	s_wait_alu 0xfffe
	s_mov_b32 s75, s74
	s_wait_alu 0xfffd
	v_add_co_ci_u32_e64 v15, null, v26, v21, vcc_lo
	s_wait_alu 0xfffe
	s_add_nc_u64 s[76:77], s[38:39], s[74:75]
	v_xor_b32_e32 v2, v2, v21
	s_wait_alu 0xfffe
	s_xor_b64 s[76:77], s[76:77], s[74:75]
	v_xor_b32_e32 v37, v15, v21
	s_wait_alu 0xfffe
	s_cvt_f32_u32 s0, s76
	s_cvt_f32_u32 s75, s77
	s_sub_nc_u64 s[84:85], 0, s[76:77]
	s_wait_alu 0xfffe
	s_delay_alu instid0(SALU_CYCLE_1) | instskip(SKIP_1) | instid1(SALU_CYCLE_2)
	s_fmamk_f32 s0, s75, 0x4f800000, s0
	s_wait_alu 0xfffe
	v_s_rcp_f32 s0, s0
	s_delay_alu instid0(TRANS32_DEP_1) | instskip(SKIP_1) | instid1(SALU_CYCLE_2)
	s_mul_f32 s0, s0, 0x5f7ffffc
	s_wait_alu 0xfffe
	s_mul_f32 s75, s0, 0x2f800000
	s_wait_alu 0xfffe
	s_delay_alu instid0(SALU_CYCLE_2) | instskip(SKIP_1) | instid1(SALU_CYCLE_2)
	s_trunc_f32 s75, s75
	s_wait_alu 0xfffe
	s_fmamk_f32 s0, s75, 0xcf800000, s0
	s_cvt_u32_f32 s83, s75
	s_wait_alu 0xfffe
	s_delay_alu instid0(SALU_CYCLE_1) | instskip(NEXT) | instid1(SALU_CYCLE_3)
	s_cvt_u32_f32 s82, s0
	s_mul_u64 s[86:87], s[84:85], s[82:83]
	s_delay_alu instid0(SALU_CYCLE_1)
	s_mul_hi_u32 s89, s82, s87
	s_mul_i32 s88, s82, s87
	s_mul_hi_u32 s0, s82, s86
	s_mul_i32 s90, s83, s86
	s_wait_alu 0xfffe
	s_add_nc_u64 s[88:89], s[0:1], s[88:89]
	s_mul_hi_u32 s75, s83, s86
	s_mul_hi_u32 s91, s83, s87
	s_add_co_u32 s0, s88, s90
	s_wait_alu 0xfffe
	s_add_co_ci_u32 s0, s89, s75
	s_mul_i32 s86, s83, s87
	s_add_co_ci_u32 s87, s91, 0
	s_wait_alu 0xfffe
	s_add_nc_u64 s[86:87], s[0:1], s[86:87]
	s_delay_alu instid0(SALU_CYCLE_1) | instskip(SKIP_4) | instid1(SALU_CYCLE_1)
	s_add_co_u32 s82, s82, s86
	s_cselect_b32 s0, -1, 0
	s_wait_alu 0xfffe
	s_cmp_lg_u32 s0, 0
	s_add_co_ci_u32 s83, s83, s87
	s_mul_u64 s[84:85], s[84:85], s[82:83]
	s_delay_alu instid0(SALU_CYCLE_1)
	s_mul_hi_u32 s87, s82, s85
	s_mul_i32 s86, s82, s85
	s_mul_hi_u32 s0, s82, s84
	s_mul_i32 s88, s83, s84
	s_wait_alu 0xfffe
	s_add_nc_u64 s[86:87], s[0:1], s[86:87]
	s_mul_hi_u32 s75, s83, s84
	s_mul_hi_u32 s89, s83, s85
	s_add_co_u32 s0, s86, s88
	s_wait_alu 0xfffe
	s_add_co_ci_u32 s0, s87, s75
	s_mul_i32 s84, s83, s85
	s_add_co_ci_u32 s85, s89, 0
	s_wait_alu 0xfffe
	s_add_nc_u64 s[84:85], s[0:1], s[84:85]
	s_delay_alu instid0(SALU_CYCLE_1)
	s_add_co_u32 s0, s82, s84
	s_cselect_b32 s75, -1, 0
	s_wait_alu 0xfffe
	v_mul_hi_u32 v43, v2, s0
	s_cmp_lg_u32 s75, 0
	v_mad_co_u64_u32 v[39:40], null, v37, s0, 0
	s_add_co_ci_u32 s75, s83, s85
	s_wait_alu 0xfffe
	v_mad_co_u64_u32 v[15:16], null, v2, s75, 0
	v_mad_co_u64_u32 v[41:42], null, v37, s75, 0
	s_delay_alu instid0(VALU_DEP_2) | instskip(SKIP_1) | instid1(VALU_DEP_3)
	v_add_co_u32 v15, vcc_lo, v43, v15
	s_wait_alu 0xfffd
	v_add_co_ci_u32_e64 v16, null, 0, v16, vcc_lo
	s_delay_alu instid0(VALU_DEP_2) | instskip(SKIP_1) | instid1(VALU_DEP_2)
	v_add_co_u32 v15, vcc_lo, v15, v39
	s_wait_alu 0xfffd
	v_add_co_ci_u32_e32 v15, vcc_lo, v16, v40, vcc_lo
	s_wait_alu 0xfffd
	v_add_co_ci_u32_e32 v16, vcc_lo, 0, v42, vcc_lo
	s_delay_alu instid0(VALU_DEP_2) | instskip(SKIP_1) | instid1(VALU_DEP_2)
	v_add_co_u32 v39, vcc_lo, v15, v41
	s_wait_alu 0xfffd
	v_add_co_ci_u32_e64 v40, null, 0, v16, vcc_lo
	s_delay_alu instid0(VALU_DEP_2) | instskip(SKIP_1) | instid1(VALU_DEP_3)
	v_mul_lo_u32 v41, s77, v39
	v_mad_co_u64_u32 v[15:16], null, s76, v39, 0
	v_mul_lo_u32 v42, s76, v40
	s_delay_alu instid0(VALU_DEP_2) | instskip(NEXT) | instid1(VALU_DEP_2)
	v_sub_co_u32 v2, vcc_lo, v2, v15
	v_add3_u32 v16, v16, v42, v41
	s_delay_alu instid0(VALU_DEP_1) | instskip(SKIP_2) | instid1(VALU_DEP_2)
	v_sub_nc_u32_e32 v41, v37, v16
	s_wait_alu 0xfffd
	v_sub_co_ci_u32_e64 v16, null, v37, v16, vcc_lo
	v_subrev_co_ci_u32_e64 v15, null, s77, v41, vcc_lo
	v_add_co_u32 v41, s0, v39, 2
	s_wait_alu 0xf1ff
	v_add_co_ci_u32_e64 v42, null, 0, v40, s0
	v_sub_co_u32 v43, s0, v2, s76
	s_wait_alu 0xf1ff
	v_subrev_co_ci_u32_e64 v15, null, 0, v15, s0
	s_delay_alu instid0(VALU_DEP_2) | instskip(SKIP_2) | instid1(VALU_DEP_3)
	v_cmp_le_u32_e32 vcc_lo, s76, v43
	s_wait_alu 0xfffd
	v_cndmask_b32_e64 v37, 0, -1, vcc_lo
	v_cmp_le_u32_e32 vcc_lo, s77, v15
	s_wait_alu 0xfffd
	v_cndmask_b32_e64 v43, 0, -1, vcc_lo
	;; [unrolled: 3-line block ×4, first 2 shown]
	v_cmp_eq_u32_e32 vcc_lo, s77, v15
	s_wait_alu 0xfffd
	v_cndmask_b32_e32 v15, v43, v37, vcc_lo
	v_add_co_u32 v37, vcc_lo, v39, 1
	s_wait_alu 0xfffd
	v_add_co_ci_u32_e64 v43, null, 0, v40, vcc_lo
	v_cmp_eq_u32_e32 vcc_lo, s77, v16
	v_xor_b32_e32 v16, s74, v21
	s_wait_alu 0xfffd
	v_cndmask_b32_e32 v2, v44, v2, vcc_lo
	v_cmp_ne_u32_e32 vcc_lo, 0, v15
	s_delay_alu instid0(VALU_DEP_2) | instskip(SKIP_3) | instid1(VALU_DEP_1)
	v_cmp_ne_u32_e64 s0, 0, v2
	s_wait_alu 0xfffd
	v_dual_cndmask_b32 v15, v43, v42 :: v_dual_cndmask_b32 v2, v37, v41
	s_wait_alu 0xf1ff
	v_cndmask_b32_e64 v15, v40, v15, s0
	s_delay_alu instid0(VALU_DEP_2) | instskip(NEXT) | instid1(VALU_DEP_2)
	v_cndmask_b32_e64 v2, v39, v2, s0
	v_xor_b32_e32 v37, v15, v16
	s_delay_alu instid0(VALU_DEP_2) | instskip(NEXT) | instid1(VALU_DEP_1)
	v_xor_b32_e32 v2, v2, v16
	v_sub_co_u32 v15, vcc_lo, v2, v16
	s_wait_alu 0xfffd
	s_delay_alu instid0(VALU_DEP_3)
	v_sub_co_ci_u32_e64 v16, null, v37, v16, vcc_lo
.LBB11_33:                              ;   in Loop: Header=BB11_3 Depth=1
	s_and_not1_saveexec_b32 s0, s81
	s_cbranch_execz .LBB11_35
; %bb.34:                               ;   in Loop: Header=BB11_3 Depth=1
	v_rcp_iflag_f32_e32 v2, v38
	s_sub_co_i32 s74, 0, s38
	s_delay_alu instid0(TRANS32_DEP_1) | instskip(NEXT) | instid1(VALU_DEP_1)
	v_mul_f32_e32 v2, 0x4f7ffffe, v2
	v_cvt_u32_f32_e32 v2, v2
	s_wait_alu 0xfffe
	s_delay_alu instid0(VALU_DEP_1) | instskip(NEXT) | instid1(VALU_DEP_1)
	v_mul_lo_u32 v15, s74, v2
	v_mul_hi_u32 v15, v2, v15
	s_delay_alu instid0(VALU_DEP_1) | instskip(NEXT) | instid1(VALU_DEP_1)
	v_add_nc_u32_e32 v2, v2, v15
	v_mul_hi_u32 v2, v25, v2
	s_delay_alu instid0(VALU_DEP_1) | instskip(SKIP_1) | instid1(VALU_DEP_2)
	v_mul_lo_u32 v15, v2, s38
	v_add_nc_u32_e32 v16, 1, v2
	v_sub_nc_u32_e32 v15, v25, v15
	s_delay_alu instid0(VALU_DEP_1) | instskip(SKIP_2) | instid1(VALU_DEP_2)
	v_subrev_nc_u32_e32 v37, s38, v15
	v_cmp_le_u32_e32 vcc_lo, s38, v15
	s_wait_alu 0xfffd
	v_dual_cndmask_b32 v15, v15, v37 :: v_dual_cndmask_b32 v2, v2, v16
	s_delay_alu instid0(VALU_DEP_1) | instskip(NEXT) | instid1(VALU_DEP_2)
	v_cmp_le_u32_e32 vcc_lo, s38, v15
	v_add_nc_u32_e32 v16, 1, v2
	s_wait_alu 0xfffd
	s_delay_alu instid0(VALU_DEP_1)
	v_dual_cndmask_b32 v15, v2, v16 :: v_dual_mov_b32 v16, v1
.LBB11_35:                              ;   in Loop: Header=BB11_3 Depth=1
	s_wait_alu 0xfffe
	s_or_b32 exec_lo, exec_lo, s0
	s_delay_alu instid0(VALU_DEP_1) | instskip(NEXT) | instid1(VALU_DEP_2)
	v_mul_lo_u32 v2, v16, s38
	v_mul_lo_u32 v37, v15, s39
	v_mad_co_u64_u32 v[39:40], null, v15, s38, 0
	v_mul_lo_u32 v41, v15, s13
	s_mov_b32 s0, exec_lo
	s_delay_alu instid0(VALU_DEP_2) | instskip(SKIP_1) | instid1(VALU_DEP_4)
	v_add3_u32 v2, v40, v37, v2
	v_mul_lo_u32 v37, v16, s12
	v_sub_co_u32 v16, vcc_lo, v11, v39
	s_wait_alu 0xfffd
	s_delay_alu instid0(VALU_DEP_3) | instskip(NEXT) | instid1(VALU_DEP_2)
	v_sub_co_ci_u32_e64 v2, null, v12, v2, vcc_lo
	v_add_co_u32 v39, vcc_lo, v3, v16
	v_mad_co_u64_u32 v[15:16], null, v15, s12, 0
	s_wait_alu 0xfffd
	s_delay_alu instid0(VALU_DEP_3) | instskip(NEXT) | instid1(VALU_DEP_3)
	v_add_co_ci_u32_e64 v2, null, v4, v2, vcc_lo
	v_mul_lo_u32 v42, v39, s15
	v_mad_co_u64_u32 v[39:40], null, v39, s14, 0
	s_delay_alu instid0(VALU_DEP_3) | instskip(SKIP_1) | instid1(VALU_DEP_1)
	v_mul_lo_u32 v2, v2, s14
	v_add3_u32 v16, v16, v41, v37
	v_lshlrev_b64_e32 v[15:16], 1, v[15:16]
	s_delay_alu instid0(VALU_DEP_3) | instskip(NEXT) | instid1(VALU_DEP_2)
	v_add3_u32 v40, v40, v42, v2
	v_add_co_u32 v2, vcc_lo, s36, v15
	s_delay_alu instid0(VALU_DEP_2) | instskip(SKIP_1) | instid1(VALU_DEP_4)
	v_lshlrev_b64_e32 v[39:40], 1, v[39:40]
	s_wait_alu 0xfffd
	v_add_co_ci_u32_e64 v16, null, s37, v16, vcc_lo
	s_delay_alu instid0(VALU_DEP_2) | instskip(SKIP_1) | instid1(VALU_DEP_2)
	v_add_co_u32 v15, vcc_lo, v2, v39
	s_wait_alu 0xfffd
	v_add_co_ci_u32_e64 v16, null, v16, v40, vcc_lo
	v_or_b32_e32 v2, s39, v36
	global_load_u16 v37, v[15:16], off
                                        ; implicit-def: $vgpr15_vgpr16
	v_cmpx_ne_u64_e32 0, v[1:2]
	s_wait_alu 0xfffe
	s_xor_b32 s81, exec_lo, s0
	s_cbranch_execz .LBB11_37
; %bb.36:                               ;   in Loop: Header=BB11_3 Depth=1
	s_ashr_i32 s74, s39, 31
	v_add_co_u32 v2, vcc_lo, v35, v24
	s_wait_alu 0xfffe
	s_mov_b32 s75, s74
	s_wait_alu 0xfffd
	v_add_co_ci_u32_e64 v15, null, v36, v24, vcc_lo
	s_wait_alu 0xfffe
	s_add_nc_u64 s[76:77], s[38:39], s[74:75]
	v_xor_b32_e32 v2, v2, v24
	s_wait_alu 0xfffe
	s_xor_b64 s[76:77], s[76:77], s[74:75]
	v_xor_b32_e32 v42, v15, v24
	s_wait_alu 0xfffe
	s_cvt_f32_u32 s0, s76
	s_cvt_f32_u32 s75, s77
	s_sub_nc_u64 s[84:85], 0, s[76:77]
	s_wait_alu 0xfffe
	s_delay_alu instid0(SALU_CYCLE_1) | instskip(SKIP_1) | instid1(SALU_CYCLE_2)
	s_fmamk_f32 s0, s75, 0x4f800000, s0
	s_wait_alu 0xfffe
	v_s_rcp_f32 s0, s0
	s_delay_alu instid0(TRANS32_DEP_1) | instskip(SKIP_1) | instid1(SALU_CYCLE_2)
	s_mul_f32 s0, s0, 0x5f7ffffc
	s_wait_alu 0xfffe
	s_mul_f32 s75, s0, 0x2f800000
	s_wait_alu 0xfffe
	s_delay_alu instid0(SALU_CYCLE_2) | instskip(SKIP_1) | instid1(SALU_CYCLE_2)
	s_trunc_f32 s75, s75
	s_wait_alu 0xfffe
	s_fmamk_f32 s0, s75, 0xcf800000, s0
	s_cvt_u32_f32 s83, s75
	s_wait_alu 0xfffe
	s_delay_alu instid0(SALU_CYCLE_1) | instskip(NEXT) | instid1(SALU_CYCLE_3)
	s_cvt_u32_f32 s82, s0
	s_mul_u64 s[86:87], s[84:85], s[82:83]
	s_delay_alu instid0(SALU_CYCLE_1)
	s_mul_hi_u32 s89, s82, s87
	s_mul_i32 s88, s82, s87
	s_mul_hi_u32 s0, s82, s86
	s_mul_i32 s90, s83, s86
	s_wait_alu 0xfffe
	s_add_nc_u64 s[88:89], s[0:1], s[88:89]
	s_mul_hi_u32 s75, s83, s86
	s_mul_hi_u32 s91, s83, s87
	s_add_co_u32 s0, s88, s90
	s_wait_alu 0xfffe
	s_add_co_ci_u32 s0, s89, s75
	s_mul_i32 s86, s83, s87
	s_add_co_ci_u32 s87, s91, 0
	s_wait_alu 0xfffe
	s_add_nc_u64 s[86:87], s[0:1], s[86:87]
	s_delay_alu instid0(SALU_CYCLE_1) | instskip(SKIP_4) | instid1(SALU_CYCLE_1)
	s_add_co_u32 s82, s82, s86
	s_cselect_b32 s0, -1, 0
	s_wait_alu 0xfffe
	s_cmp_lg_u32 s0, 0
	s_add_co_ci_u32 s83, s83, s87
	s_mul_u64 s[84:85], s[84:85], s[82:83]
	s_delay_alu instid0(SALU_CYCLE_1)
	s_mul_hi_u32 s87, s82, s85
	s_mul_i32 s86, s82, s85
	s_mul_hi_u32 s0, s82, s84
	s_mul_i32 s88, s83, s84
	s_wait_alu 0xfffe
	s_add_nc_u64 s[86:87], s[0:1], s[86:87]
	s_mul_hi_u32 s75, s83, s84
	s_mul_hi_u32 s89, s83, s85
	s_add_co_u32 s0, s86, s88
	s_wait_alu 0xfffe
	s_add_co_ci_u32 s0, s87, s75
	s_mul_i32 s84, s83, s85
	s_add_co_ci_u32 s85, s89, 0
	s_wait_alu 0xfffe
	s_add_nc_u64 s[84:85], s[0:1], s[84:85]
	s_delay_alu instid0(SALU_CYCLE_1)
	s_add_co_u32 s0, s82, s84
	s_cselect_b32 s75, -1, 0
	s_wait_alu 0xfffe
	v_mul_hi_u32 v43, v2, s0
	s_cmp_lg_u32 s75, 0
	v_mad_co_u64_u32 v[38:39], null, v42, s0, 0
	s_add_co_ci_u32 s75, s83, s85
	s_wait_alu 0xfffe
	v_mad_co_u64_u32 v[15:16], null, v2, s75, 0
	v_mad_co_u64_u32 v[40:41], null, v42, s75, 0
	s_delay_alu instid0(VALU_DEP_2) | instskip(SKIP_1) | instid1(VALU_DEP_3)
	v_add_co_u32 v15, vcc_lo, v43, v15
	s_wait_alu 0xfffd
	v_add_co_ci_u32_e64 v16, null, 0, v16, vcc_lo
	s_delay_alu instid0(VALU_DEP_2) | instskip(SKIP_1) | instid1(VALU_DEP_2)
	v_add_co_u32 v15, vcc_lo, v15, v38
	s_wait_alu 0xfffd
	v_add_co_ci_u32_e32 v15, vcc_lo, v16, v39, vcc_lo
	s_wait_alu 0xfffd
	v_add_co_ci_u32_e32 v16, vcc_lo, 0, v41, vcc_lo
	s_delay_alu instid0(VALU_DEP_2) | instskip(SKIP_1) | instid1(VALU_DEP_2)
	v_add_co_u32 v38, vcc_lo, v15, v40
	s_wait_alu 0xfffd
	v_add_co_ci_u32_e64 v39, null, 0, v16, vcc_lo
	s_delay_alu instid0(VALU_DEP_2) | instskip(SKIP_1) | instid1(VALU_DEP_3)
	v_mul_lo_u32 v40, s77, v38
	v_mad_co_u64_u32 v[15:16], null, s76, v38, 0
	v_mul_lo_u32 v41, s76, v39
	s_delay_alu instid0(VALU_DEP_2) | instskip(NEXT) | instid1(VALU_DEP_2)
	v_sub_co_u32 v2, vcc_lo, v2, v15
	v_add3_u32 v16, v16, v41, v40
	s_delay_alu instid0(VALU_DEP_1) | instskip(SKIP_2) | instid1(VALU_DEP_2)
	v_sub_nc_u32_e32 v40, v42, v16
	s_wait_alu 0xfffd
	v_sub_co_ci_u32_e64 v16, null, v42, v16, vcc_lo
	v_subrev_co_ci_u32_e64 v15, null, s77, v40, vcc_lo
	v_add_co_u32 v40, s0, v38, 2
	s_wait_alu 0xf1ff
	v_add_co_ci_u32_e64 v41, null, 0, v39, s0
	v_sub_co_u32 v43, s0, v2, s76
	s_wait_alu 0xf1ff
	v_subrev_co_ci_u32_e64 v15, null, 0, v15, s0
	s_delay_alu instid0(VALU_DEP_2) | instskip(SKIP_2) | instid1(VALU_DEP_3)
	v_cmp_le_u32_e32 vcc_lo, s76, v43
	s_wait_alu 0xfffd
	v_cndmask_b32_e64 v42, 0, -1, vcc_lo
	v_cmp_le_u32_e32 vcc_lo, s77, v15
	s_wait_alu 0xfffd
	v_cndmask_b32_e64 v43, 0, -1, vcc_lo
	;; [unrolled: 3-line block ×4, first 2 shown]
	v_cmp_eq_u32_e32 vcc_lo, s77, v15
	s_wait_alu 0xfffd
	v_cndmask_b32_e32 v15, v43, v42, vcc_lo
	v_add_co_u32 v42, vcc_lo, v38, 1
	s_wait_alu 0xfffd
	v_add_co_ci_u32_e64 v43, null, 0, v39, vcc_lo
	v_cmp_eq_u32_e32 vcc_lo, s77, v16
	v_xor_b32_e32 v16, s74, v24
	s_wait_alu 0xfffd
	v_cndmask_b32_e32 v2, v44, v2, vcc_lo
	v_cmp_ne_u32_e32 vcc_lo, 0, v15
	s_wait_alu 0xfffd
	v_cndmask_b32_e32 v15, v43, v41, vcc_lo
	s_delay_alu instid0(VALU_DEP_3) | instskip(SKIP_2) | instid1(VALU_DEP_2)
	v_cmp_ne_u32_e64 s0, 0, v2
	v_cndmask_b32_e32 v2, v42, v40, vcc_lo
	s_wait_alu 0xf1ff
	v_cndmask_b32_e64 v15, v39, v15, s0
	s_delay_alu instid0(VALU_DEP_2) | instskip(NEXT) | instid1(VALU_DEP_2)
	v_cndmask_b32_e64 v2, v38, v2, s0
	v_xor_b32_e32 v38, v15, v16
	s_delay_alu instid0(VALU_DEP_2) | instskip(NEXT) | instid1(VALU_DEP_1)
	v_xor_b32_e32 v2, v2, v16
	v_sub_co_u32 v15, vcc_lo, v2, v16
	s_wait_alu 0xfffd
	s_delay_alu instid0(VALU_DEP_3)
	v_sub_co_ci_u32_e64 v16, null, v38, v16, vcc_lo
                                        ; implicit-def: $vgpr38
.LBB11_37:                              ;   in Loop: Header=BB11_3 Depth=1
	s_and_not1_saveexec_b32 s0, s81
	s_cbranch_execz .LBB11_39
; %bb.38:                               ;   in Loop: Header=BB11_3 Depth=1
	v_rcp_iflag_f32_e32 v2, v38
	s_sub_co_i32 s74, 0, s38
	s_delay_alu instid0(TRANS32_DEP_1) | instskip(NEXT) | instid1(VALU_DEP_1)
	v_mul_f32_e32 v2, 0x4f7ffffe, v2
	v_cvt_u32_f32_e32 v2, v2
	s_wait_alu 0xfffe
	s_delay_alu instid0(VALU_DEP_1) | instskip(NEXT) | instid1(VALU_DEP_1)
	v_mul_lo_u32 v15, s74, v2
	v_mul_hi_u32 v15, v2, v15
	s_delay_alu instid0(VALU_DEP_1) | instskip(NEXT) | instid1(VALU_DEP_1)
	v_add_nc_u32_e32 v2, v2, v15
	v_mul_hi_u32 v2, v35, v2
	s_delay_alu instid0(VALU_DEP_1) | instskip(SKIP_1) | instid1(VALU_DEP_2)
	v_mul_lo_u32 v15, v2, s38
	v_add_nc_u32_e32 v16, 1, v2
	v_sub_nc_u32_e32 v15, v35, v15
	s_delay_alu instid0(VALU_DEP_1) | instskip(SKIP_2) | instid1(VALU_DEP_2)
	v_subrev_nc_u32_e32 v38, s38, v15
	v_cmp_le_u32_e32 vcc_lo, s38, v15
	s_wait_alu 0xfffd
	v_dual_cndmask_b32 v15, v15, v38 :: v_dual_cndmask_b32 v2, v2, v16
	s_delay_alu instid0(VALU_DEP_1) | instskip(NEXT) | instid1(VALU_DEP_2)
	v_cmp_le_u32_e32 vcc_lo, s38, v15
	v_add_nc_u32_e32 v16, 1, v2
	s_wait_alu 0xfffd
	s_delay_alu instid0(VALU_DEP_1)
	v_dual_cndmask_b32 v15, v2, v16 :: v_dual_mov_b32 v16, v1
.LBB11_39:                              ;   in Loop: Header=BB11_3 Depth=1
	s_wait_alu 0xfffe
	s_or_b32 exec_lo, exec_lo, s0
	s_delay_alu instid0(VALU_DEP_1) | instskip(NEXT) | instid1(VALU_DEP_2)
	v_mul_lo_u32 v2, v16, s38
	v_mul_lo_u32 v40, v15, s39
	v_mad_co_u64_u32 v[38:39], null, v15, s38, 0
	v_mul_lo_u32 v41, v15, s13
	s_mov_b32 s0, exec_lo
	s_delay_alu instid0(VALU_DEP_2) | instskip(SKIP_1) | instid1(VALU_DEP_4)
	v_add3_u32 v2, v39, v40, v2
	v_mul_lo_u32 v40, v16, s12
	v_sub_co_u32 v16, vcc_lo, v13, v38
	s_wait_alu 0xfffd
	s_delay_alu instid0(VALU_DEP_3) | instskip(NEXT) | instid1(VALU_DEP_2)
	v_sub_co_ci_u32_e64 v2, null, v14, v2, vcc_lo
	v_add_co_u32 v38, vcc_lo, v3, v16
	v_mad_co_u64_u32 v[15:16], null, v15, s12, 0
	s_wait_alu 0xfffd
	s_delay_alu instid0(VALU_DEP_3) | instskip(NEXT) | instid1(VALU_DEP_3)
	v_add_co_ci_u32_e64 v2, null, v4, v2, vcc_lo
	v_mul_lo_u32 v42, v38, s15
	v_mad_co_u64_u32 v[38:39], null, v38, s14, 0
	s_delay_alu instid0(VALU_DEP_3) | instskip(SKIP_1) | instid1(VALU_DEP_1)
	v_mul_lo_u32 v2, v2, s14
	v_add3_u32 v16, v16, v41, v40
	v_lshlrev_b64_e32 v[15:16], 1, v[15:16]
	s_delay_alu instid0(VALU_DEP_3) | instskip(NEXT) | instid1(VALU_DEP_2)
	v_add3_u32 v39, v39, v42, v2
	v_add_co_u32 v2, vcc_lo, s36, v15
	s_delay_alu instid0(VALU_DEP_2) | instskip(SKIP_1) | instid1(VALU_DEP_4)
	v_lshlrev_b64_e32 v[38:39], 1, v[38:39]
	s_wait_alu 0xfffd
	v_add_co_ci_u32_e64 v16, null, s37, v16, vcc_lo
	s_delay_alu instid0(VALU_DEP_2) | instskip(SKIP_1) | instid1(VALU_DEP_2)
	v_add_co_u32 v15, vcc_lo, v2, v38
	s_wait_alu 0xfffd
	v_add_co_ci_u32_e64 v16, null, v16, v39, vcc_lo
	v_or_b32_e32 v2, s63, v20
	global_load_u16 v38, v[15:16], off
                                        ; implicit-def: $vgpr15_vgpr16
	v_cmpx_ne_u64_e32 0, v[1:2]
	s_wait_alu 0xfffe
	s_xor_b32 s81, exec_lo, s0
	s_cbranch_execz .LBB11_41
; %bb.40:                               ;   in Loop: Header=BB11_3 Depth=1
	s_ashr_i32 s74, s63, 31
	v_add_co_u32 v2, vcc_lo, v18, v17
	s_wait_alu 0xfffe
	s_mov_b32 s75, s74
	s_wait_alu 0xfffd
	v_add_co_ci_u32_e64 v15, null, v20, v17, vcc_lo
	s_wait_alu 0xfffe
	s_add_nc_u64 s[76:77], s[62:63], s[74:75]
	v_xor_b32_e32 v2, v2, v17
	s_wait_alu 0xfffe
	s_xor_b64 s[76:77], s[76:77], s[74:75]
	v_xor_b32_e32 v18, v15, v17
	s_wait_alu 0xfffe
	s_cvt_f32_u32 s0, s76
	s_cvt_f32_u32 s75, s77
	s_sub_nc_u64 s[84:85], 0, s[76:77]
	s_wait_alu 0xfffe
	s_delay_alu instid0(SALU_CYCLE_1) | instskip(SKIP_1) | instid1(SALU_CYCLE_2)
	s_fmamk_f32 s0, s75, 0x4f800000, s0
	s_wait_alu 0xfffe
	v_s_rcp_f32 s0, s0
	s_delay_alu instid0(TRANS32_DEP_1) | instskip(SKIP_1) | instid1(SALU_CYCLE_2)
	s_mul_f32 s0, s0, 0x5f7ffffc
	s_wait_alu 0xfffe
	s_mul_f32 s75, s0, 0x2f800000
	s_wait_alu 0xfffe
	s_delay_alu instid0(SALU_CYCLE_2) | instskip(SKIP_1) | instid1(SALU_CYCLE_2)
	s_trunc_f32 s75, s75
	s_wait_alu 0xfffe
	s_fmamk_f32 s0, s75, 0xcf800000, s0
	s_cvt_u32_f32 s83, s75
	s_wait_alu 0xfffe
	s_delay_alu instid0(SALU_CYCLE_1) | instskip(NEXT) | instid1(SALU_CYCLE_3)
	s_cvt_u32_f32 s82, s0
	s_mul_u64 s[86:87], s[84:85], s[82:83]
	s_delay_alu instid0(SALU_CYCLE_1)
	s_mul_hi_u32 s89, s82, s87
	s_mul_i32 s88, s82, s87
	s_mul_hi_u32 s0, s82, s86
	s_mul_i32 s90, s83, s86
	s_wait_alu 0xfffe
	s_add_nc_u64 s[88:89], s[0:1], s[88:89]
	s_mul_hi_u32 s75, s83, s86
	s_mul_hi_u32 s91, s83, s87
	s_add_co_u32 s0, s88, s90
	s_wait_alu 0xfffe
	s_add_co_ci_u32 s0, s89, s75
	s_mul_i32 s86, s83, s87
	s_add_co_ci_u32 s87, s91, 0
	s_wait_alu 0xfffe
	s_add_nc_u64 s[86:87], s[0:1], s[86:87]
	s_delay_alu instid0(SALU_CYCLE_1) | instskip(SKIP_4) | instid1(SALU_CYCLE_1)
	s_add_co_u32 s82, s82, s86
	s_cselect_b32 s0, -1, 0
	s_wait_alu 0xfffe
	s_cmp_lg_u32 s0, 0
	s_add_co_ci_u32 s83, s83, s87
	s_mul_u64 s[84:85], s[84:85], s[82:83]
	s_delay_alu instid0(SALU_CYCLE_1)
	s_mul_hi_u32 s87, s82, s85
	s_mul_i32 s86, s82, s85
	s_mul_hi_u32 s0, s82, s84
	s_mul_i32 s88, s83, s84
	s_wait_alu 0xfffe
	s_add_nc_u64 s[86:87], s[0:1], s[86:87]
	s_mul_hi_u32 s75, s83, s84
	s_mul_hi_u32 s89, s83, s85
	s_add_co_u32 s0, s86, s88
	s_wait_alu 0xfffe
	s_add_co_ci_u32 s0, s87, s75
	s_mul_i32 s84, s83, s85
	s_add_co_ci_u32 s85, s89, 0
	s_wait_alu 0xfffe
	s_add_nc_u64 s[84:85], s[0:1], s[84:85]
	s_delay_alu instid0(SALU_CYCLE_1)
	s_add_co_u32 s0, s82, s84
	s_cselect_b32 s75, -1, 0
	s_wait_alu 0xfffe
	v_mul_hi_u32 v20, v2, s0
	s_cmp_lg_u32 s75, 0
	v_mad_co_u64_u32 v[39:40], null, v18, s0, 0
	s_add_co_ci_u32 s75, s83, s85
	s_wait_alu 0xfffe
	v_mad_co_u64_u32 v[15:16], null, v2, s75, 0
	v_mad_co_u64_u32 v[41:42], null, v18, s75, 0
	s_delay_alu instid0(VALU_DEP_2) | instskip(SKIP_1) | instid1(VALU_DEP_3)
	v_add_co_u32 v15, vcc_lo, v20, v15
	s_wait_alu 0xfffd
	v_add_co_ci_u32_e64 v16, null, 0, v16, vcc_lo
	s_delay_alu instid0(VALU_DEP_2) | instskip(SKIP_1) | instid1(VALU_DEP_2)
	v_add_co_u32 v15, vcc_lo, v15, v39
	s_wait_alu 0xfffd
	v_add_co_ci_u32_e32 v15, vcc_lo, v16, v40, vcc_lo
	s_wait_alu 0xfffd
	v_add_co_ci_u32_e32 v16, vcc_lo, 0, v42, vcc_lo
	s_delay_alu instid0(VALU_DEP_2) | instskip(SKIP_1) | instid1(VALU_DEP_2)
	v_add_co_u32 v20, vcc_lo, v15, v41
	s_wait_alu 0xfffd
	v_add_co_ci_u32_e64 v39, null, 0, v16, vcc_lo
	s_delay_alu instid0(VALU_DEP_2) | instskip(SKIP_1) | instid1(VALU_DEP_3)
	v_mul_lo_u32 v40, s77, v20
	v_mad_co_u64_u32 v[15:16], null, s76, v20, 0
	v_mul_lo_u32 v41, s76, v39
	s_delay_alu instid0(VALU_DEP_2) | instskip(NEXT) | instid1(VALU_DEP_2)
	v_sub_co_u32 v2, vcc_lo, v2, v15
	v_add3_u32 v16, v16, v41, v40
	s_delay_alu instid0(VALU_DEP_1) | instskip(SKIP_2) | instid1(VALU_DEP_2)
	v_sub_nc_u32_e32 v40, v18, v16
	s_wait_alu 0xfffd
	v_sub_co_ci_u32_e64 v16, null, v18, v16, vcc_lo
	v_subrev_co_ci_u32_e64 v15, null, s77, v40, vcc_lo
	v_add_co_u32 v40, s0, v20, 2
	s_wait_alu 0xf1ff
	v_add_co_ci_u32_e64 v41, null, 0, v39, s0
	v_sub_co_u32 v42, s0, v2, s76
	s_wait_alu 0xf1ff
	v_subrev_co_ci_u32_e64 v15, null, 0, v15, s0
	s_delay_alu instid0(VALU_DEP_2) | instskip(SKIP_2) | instid1(VALU_DEP_3)
	v_cmp_le_u32_e32 vcc_lo, s76, v42
	s_wait_alu 0xfffd
	v_cndmask_b32_e64 v18, 0, -1, vcc_lo
	v_cmp_le_u32_e32 vcc_lo, s77, v15
	s_wait_alu 0xfffd
	v_cndmask_b32_e64 v42, 0, -1, vcc_lo
	;; [unrolled: 3-line block ×4, first 2 shown]
	v_cmp_eq_u32_e32 vcc_lo, s77, v15
	s_wait_alu 0xfffd
	v_cndmask_b32_e32 v15, v42, v18, vcc_lo
	v_add_co_u32 v18, vcc_lo, v20, 1
	s_wait_alu 0xfffd
	v_add_co_ci_u32_e64 v42, null, 0, v39, vcc_lo
	v_cmp_eq_u32_e32 vcc_lo, s77, v16
	v_xor_b32_e32 v16, s74, v17
	s_wait_alu 0xfffd
	v_cndmask_b32_e32 v2, v43, v2, vcc_lo
	v_cmp_ne_u32_e32 vcc_lo, 0, v15
	s_wait_alu 0xfffd
	v_cndmask_b32_e32 v15, v42, v41, vcc_lo
	s_delay_alu instid0(VALU_DEP_3) | instskip(SKIP_2) | instid1(VALU_DEP_2)
	v_cmp_ne_u32_e64 s0, 0, v2
	v_cndmask_b32_e32 v2, v18, v40, vcc_lo
                                        ; implicit-def: $vgpr18
	s_wait_alu 0xf1ff
	v_cndmask_b32_e64 v15, v39, v15, s0
	s_delay_alu instid0(VALU_DEP_2) | instskip(NEXT) | instid1(VALU_DEP_2)
	v_cndmask_b32_e64 v2, v20, v2, s0
	v_xor_b32_e32 v17, v15, v16
	s_delay_alu instid0(VALU_DEP_2) | instskip(NEXT) | instid1(VALU_DEP_1)
	v_xor_b32_e32 v2, v2, v16
	v_sub_co_u32 v15, vcc_lo, v2, v16
	s_wait_alu 0xfffd
	s_delay_alu instid0(VALU_DEP_3)
	v_sub_co_ci_u32_e64 v16, null, v17, v16, vcc_lo
.LBB11_41:                              ;   in Loop: Header=BB11_3 Depth=1
	s_or_saveexec_b32 s0, s81
	v_cvt_f32_u32_e32 v39, s62
	s_wait_alu 0xfffe
	s_xor_b32 exec_lo, exec_lo, s0
	s_cbranch_execz .LBB11_43
; %bb.42:                               ;   in Loop: Header=BB11_3 Depth=1
	s_delay_alu instid0(VALU_DEP_1) | instskip(SKIP_1) | instid1(TRANS32_DEP_1)
	v_rcp_iflag_f32_e32 v2, v39
	s_sub_co_i32 s74, 0, s62
	v_mul_f32_e32 v2, 0x4f7ffffe, v2
	s_delay_alu instid0(VALU_DEP_1) | instskip(SKIP_1) | instid1(VALU_DEP_1)
	v_cvt_u32_f32_e32 v2, v2
	s_wait_alu 0xfffe
	v_mul_lo_u32 v15, s74, v2
	s_delay_alu instid0(VALU_DEP_1) | instskip(NEXT) | instid1(VALU_DEP_1)
	v_mul_hi_u32 v15, v2, v15
	v_add_nc_u32_e32 v2, v2, v15
	s_delay_alu instid0(VALU_DEP_1) | instskip(NEXT) | instid1(VALU_DEP_1)
	v_mul_hi_u32 v2, v18, v2
	v_mul_lo_u32 v15, v2, s62
	v_add_nc_u32_e32 v16, 1, v2
	s_delay_alu instid0(VALU_DEP_2) | instskip(NEXT) | instid1(VALU_DEP_1)
	v_sub_nc_u32_e32 v15, v18, v15
	v_subrev_nc_u32_e32 v17, s62, v15
	v_cmp_le_u32_e32 vcc_lo, s62, v15
	s_wait_alu 0xfffd
	s_delay_alu instid0(VALU_DEP_2) | instskip(NEXT) | instid1(VALU_DEP_1)
	v_dual_cndmask_b32 v15, v15, v17 :: v_dual_cndmask_b32 v2, v2, v16
	v_cmp_le_u32_e32 vcc_lo, s62, v15
	s_delay_alu instid0(VALU_DEP_2) | instskip(SKIP_1) | instid1(VALU_DEP_1)
	v_add_nc_u32_e32 v16, 1, v2
	s_wait_alu 0xfffd
	v_dual_cndmask_b32 v15, v2, v16 :: v_dual_mov_b32 v16, v1
.LBB11_43:                              ;   in Loop: Header=BB11_3 Depth=1
	s_or_b32 exec_lo, exec_lo, s0
	v_or_b32_e32 v2, s63, v23
                                        ; implicit-def: $vgpr17_vgpr18
	s_mov_b32 s0, exec_lo
	s_delay_alu instid0(VALU_DEP_1)
	v_cmpx_ne_u64_e32 0, v[1:2]
	s_wait_alu 0xfffe
	s_xor_b32 s81, exec_lo, s0
	s_cbranch_execz .LBB11_45
; %bb.44:                               ;   in Loop: Header=BB11_3 Depth=1
	s_ashr_i32 s74, s63, 31
	v_add_co_u32 v2, vcc_lo, v22, v19
	s_wait_alu 0xfffe
	s_mov_b32 s75, s74
	s_wait_alu 0xfffd
	v_add_co_ci_u32_e64 v17, null, v23, v19, vcc_lo
	s_wait_alu 0xfffe
	s_add_nc_u64 s[76:77], s[62:63], s[74:75]
	v_xor_b32_e32 v2, v2, v19
	s_wait_alu 0xfffe
	s_xor_b64 s[76:77], s[76:77], s[74:75]
	v_xor_b32_e32 v20, v17, v19
	s_wait_alu 0xfffe
	s_cvt_f32_u32 s0, s76
	s_cvt_f32_u32 s75, s77
	s_sub_nc_u64 s[84:85], 0, s[76:77]
	s_wait_alu 0xfffe
	s_delay_alu instid0(SALU_CYCLE_1) | instskip(SKIP_1) | instid1(SALU_CYCLE_2)
	s_fmamk_f32 s0, s75, 0x4f800000, s0
	s_wait_alu 0xfffe
	v_s_rcp_f32 s0, s0
	s_delay_alu instid0(TRANS32_DEP_1) | instskip(SKIP_1) | instid1(SALU_CYCLE_2)
	s_mul_f32 s0, s0, 0x5f7ffffc
	s_wait_alu 0xfffe
	s_mul_f32 s75, s0, 0x2f800000
	s_wait_alu 0xfffe
	s_delay_alu instid0(SALU_CYCLE_2) | instskip(SKIP_1) | instid1(SALU_CYCLE_2)
	s_trunc_f32 s75, s75
	s_wait_alu 0xfffe
	s_fmamk_f32 s0, s75, 0xcf800000, s0
	s_cvt_u32_f32 s83, s75
	s_wait_alu 0xfffe
	s_delay_alu instid0(SALU_CYCLE_1) | instskip(NEXT) | instid1(SALU_CYCLE_3)
	s_cvt_u32_f32 s82, s0
	s_mul_u64 s[86:87], s[84:85], s[82:83]
	s_delay_alu instid0(SALU_CYCLE_1)
	s_mul_hi_u32 s89, s82, s87
	s_mul_i32 s88, s82, s87
	s_mul_hi_u32 s0, s82, s86
	s_mul_i32 s90, s83, s86
	s_wait_alu 0xfffe
	s_add_nc_u64 s[88:89], s[0:1], s[88:89]
	s_mul_hi_u32 s75, s83, s86
	s_mul_hi_u32 s91, s83, s87
	s_add_co_u32 s0, s88, s90
	s_wait_alu 0xfffe
	s_add_co_ci_u32 s0, s89, s75
	s_mul_i32 s86, s83, s87
	s_add_co_ci_u32 s87, s91, 0
	s_wait_alu 0xfffe
	s_add_nc_u64 s[86:87], s[0:1], s[86:87]
	s_delay_alu instid0(SALU_CYCLE_1) | instskip(SKIP_4) | instid1(SALU_CYCLE_1)
	s_add_co_u32 s82, s82, s86
	s_cselect_b32 s0, -1, 0
	s_wait_alu 0xfffe
	s_cmp_lg_u32 s0, 0
	s_add_co_ci_u32 s83, s83, s87
	s_mul_u64 s[84:85], s[84:85], s[82:83]
	s_delay_alu instid0(SALU_CYCLE_1)
	s_mul_hi_u32 s87, s82, s85
	s_mul_i32 s86, s82, s85
	s_mul_hi_u32 s0, s82, s84
	s_mul_i32 s88, s83, s84
	s_wait_alu 0xfffe
	s_add_nc_u64 s[86:87], s[0:1], s[86:87]
	s_mul_hi_u32 s75, s83, s84
	s_mul_hi_u32 s89, s83, s85
	s_add_co_u32 s0, s86, s88
	s_wait_alu 0xfffe
	s_add_co_ci_u32 s0, s87, s75
	s_mul_i32 s84, s83, s85
	s_add_co_ci_u32 s85, s89, 0
	s_wait_alu 0xfffe
	s_add_nc_u64 s[84:85], s[0:1], s[84:85]
	s_delay_alu instid0(SALU_CYCLE_1)
	s_add_co_u32 s0, s82, s84
	s_cselect_b32 s75, -1, 0
	s_wait_alu 0xfffe
	v_mul_hi_u32 v42, v2, s0
	s_cmp_lg_u32 s75, 0
	v_mad_co_u64_u32 v[22:23], null, v20, s0, 0
	s_add_co_ci_u32 s75, s83, s85
	s_wait_alu 0xfffe
	v_mad_co_u64_u32 v[17:18], null, v2, s75, 0
	v_mad_co_u64_u32 v[40:41], null, v20, s75, 0
	s_delay_alu instid0(VALU_DEP_2) | instskip(SKIP_1) | instid1(VALU_DEP_3)
	v_add_co_u32 v17, vcc_lo, v42, v17
	s_wait_alu 0xfffd
	v_add_co_ci_u32_e64 v18, null, 0, v18, vcc_lo
	s_delay_alu instid0(VALU_DEP_2) | instskip(SKIP_1) | instid1(VALU_DEP_2)
	v_add_co_u32 v17, vcc_lo, v17, v22
	s_wait_alu 0xfffd
	v_add_co_ci_u32_e32 v17, vcc_lo, v18, v23, vcc_lo
	s_wait_alu 0xfffd
	v_add_co_ci_u32_e32 v18, vcc_lo, 0, v41, vcc_lo
	s_delay_alu instid0(VALU_DEP_2) | instskip(SKIP_1) | instid1(VALU_DEP_2)
	v_add_co_u32 v22, vcc_lo, v17, v40
	s_wait_alu 0xfffd
	v_add_co_ci_u32_e64 v23, null, 0, v18, vcc_lo
	s_delay_alu instid0(VALU_DEP_2) | instskip(SKIP_1) | instid1(VALU_DEP_3)
	v_mul_lo_u32 v40, s77, v22
	v_mad_co_u64_u32 v[17:18], null, s76, v22, 0
	v_mul_lo_u32 v41, s76, v23
	s_delay_alu instid0(VALU_DEP_2) | instskip(NEXT) | instid1(VALU_DEP_2)
	v_sub_co_u32 v2, vcc_lo, v2, v17
	v_add3_u32 v18, v18, v41, v40
	s_delay_alu instid0(VALU_DEP_1) | instskip(SKIP_2) | instid1(VALU_DEP_2)
	v_sub_nc_u32_e32 v40, v20, v18
	s_wait_alu 0xfffd
	v_sub_co_ci_u32_e64 v18, null, v20, v18, vcc_lo
	v_subrev_co_ci_u32_e64 v17, null, s77, v40, vcc_lo
	v_add_co_u32 v40, s0, v22, 2
	s_wait_alu 0xf1ff
	v_add_co_ci_u32_e64 v41, null, 0, v23, s0
	v_sub_co_u32 v42, s0, v2, s76
	s_wait_alu 0xf1ff
	v_subrev_co_ci_u32_e64 v17, null, 0, v17, s0
	s_delay_alu instid0(VALU_DEP_2) | instskip(SKIP_2) | instid1(VALU_DEP_3)
	v_cmp_le_u32_e32 vcc_lo, s76, v42
	s_wait_alu 0xfffd
	v_cndmask_b32_e64 v20, 0, -1, vcc_lo
	v_cmp_le_u32_e32 vcc_lo, s77, v17
	s_wait_alu 0xfffd
	v_cndmask_b32_e64 v42, 0, -1, vcc_lo
	;; [unrolled: 3-line block ×4, first 2 shown]
	v_cmp_eq_u32_e32 vcc_lo, s77, v17
	s_wait_alu 0xfffd
	v_cndmask_b32_e32 v17, v42, v20, vcc_lo
	v_add_co_u32 v20, vcc_lo, v22, 1
	s_wait_alu 0xfffd
	v_add_co_ci_u32_e64 v42, null, 0, v23, vcc_lo
	v_cmp_eq_u32_e32 vcc_lo, s77, v18
	v_xor_b32_e32 v18, s74, v19
	s_wait_alu 0xfffd
	v_cndmask_b32_e32 v2, v43, v2, vcc_lo
	v_cmp_ne_u32_e32 vcc_lo, 0, v17
	s_delay_alu instid0(VALU_DEP_2) | instskip(SKIP_3) | instid1(VALU_DEP_1)
	v_cmp_ne_u32_e64 s0, 0, v2
	s_wait_alu 0xfffd
	v_dual_cndmask_b32 v17, v42, v41 :: v_dual_cndmask_b32 v2, v20, v40
	s_wait_alu 0xf1ff
	v_cndmask_b32_e64 v17, v23, v17, s0
	s_delay_alu instid0(VALU_DEP_2) | instskip(NEXT) | instid1(VALU_DEP_2)
	v_cndmask_b32_e64 v2, v22, v2, s0
                                        ; implicit-def: $vgpr22
	v_xor_b32_e32 v19, v17, v18
	s_delay_alu instid0(VALU_DEP_2) | instskip(NEXT) | instid1(VALU_DEP_1)
	v_xor_b32_e32 v2, v2, v18
	v_sub_co_u32 v17, vcc_lo, v2, v18
	s_wait_alu 0xfffd
	s_delay_alu instid0(VALU_DEP_3)
	v_sub_co_ci_u32_e64 v18, null, v19, v18, vcc_lo
.LBB11_45:                              ;   in Loop: Header=BB11_3 Depth=1
	s_and_not1_saveexec_b32 s0, s81
	s_cbranch_execz .LBB11_47
; %bb.46:                               ;   in Loop: Header=BB11_3 Depth=1
	v_rcp_iflag_f32_e32 v2, v39
	s_sub_co_i32 s74, 0, s62
	s_delay_alu instid0(TRANS32_DEP_1) | instskip(NEXT) | instid1(VALU_DEP_1)
	v_mul_f32_e32 v2, 0x4f7ffffe, v2
	v_cvt_u32_f32_e32 v2, v2
	s_wait_alu 0xfffe
	s_delay_alu instid0(VALU_DEP_1) | instskip(NEXT) | instid1(VALU_DEP_1)
	v_mul_lo_u32 v17, s74, v2
	v_mul_hi_u32 v17, v2, v17
	s_delay_alu instid0(VALU_DEP_1) | instskip(NEXT) | instid1(VALU_DEP_1)
	v_add_nc_u32_e32 v2, v2, v17
	v_mul_hi_u32 v2, v22, v2
	s_delay_alu instid0(VALU_DEP_1) | instskip(SKIP_1) | instid1(VALU_DEP_2)
	v_mul_lo_u32 v17, v2, s62
	v_add_nc_u32_e32 v18, 1, v2
	v_sub_nc_u32_e32 v17, v22, v17
	s_delay_alu instid0(VALU_DEP_1) | instskip(SKIP_2) | instid1(VALU_DEP_2)
	v_subrev_nc_u32_e32 v19, s62, v17
	v_cmp_le_u32_e32 vcc_lo, s62, v17
	s_wait_alu 0xfffd
	v_dual_cndmask_b32 v17, v17, v19 :: v_dual_cndmask_b32 v2, v2, v18
	s_delay_alu instid0(VALU_DEP_1) | instskip(NEXT) | instid1(VALU_DEP_2)
	v_cmp_le_u32_e32 vcc_lo, s62, v17
	v_add_nc_u32_e32 v18, 1, v2
	s_wait_alu 0xfffd
	s_delay_alu instid0(VALU_DEP_1)
	v_dual_cndmask_b32 v17, v2, v18 :: v_dual_mov_b32 v18, v1
.LBB11_47:                              ;   in Loop: Header=BB11_3 Depth=1
	s_wait_alu 0xfffe
	s_or_b32 exec_lo, exec_lo, s0
	v_or_b32_e32 v2, s63, v26
                                        ; implicit-def: $vgpr19_vgpr20
	s_mov_b32 s0, exec_lo
	s_delay_alu instid0(VALU_DEP_1)
	v_cmpx_ne_u64_e32 0, v[1:2]
	s_wait_alu 0xfffe
	s_xor_b32 s81, exec_lo, s0
	s_cbranch_execz .LBB11_49
; %bb.48:                               ;   in Loop: Header=BB11_3 Depth=1
	s_ashr_i32 s74, s63, 31
	v_add_co_u32 v2, vcc_lo, v25, v21
	s_wait_alu 0xfffe
	s_mov_b32 s75, s74
	s_wait_alu 0xfffd
	v_add_co_ci_u32_e64 v19, null, v26, v21, vcc_lo
	s_wait_alu 0xfffe
	s_add_nc_u64 s[76:77], s[62:63], s[74:75]
	v_xor_b32_e32 v2, v2, v21
	s_wait_alu 0xfffe
	s_xor_b64 s[76:77], s[76:77], s[74:75]
	v_xor_b32_e32 v40, v19, v21
	s_wait_alu 0xfffe
	s_cvt_f32_u32 s0, s76
	s_cvt_f32_u32 s75, s77
	s_sub_nc_u64 s[84:85], 0, s[76:77]
	s_wait_alu 0xfffe
	s_delay_alu instid0(SALU_CYCLE_1) | instskip(SKIP_1) | instid1(SALU_CYCLE_2)
	s_fmamk_f32 s0, s75, 0x4f800000, s0
	s_wait_alu 0xfffe
	v_s_rcp_f32 s0, s0
	s_delay_alu instid0(TRANS32_DEP_1) | instskip(SKIP_1) | instid1(SALU_CYCLE_2)
	s_mul_f32 s0, s0, 0x5f7ffffc
	s_wait_alu 0xfffe
	s_mul_f32 s75, s0, 0x2f800000
	s_wait_alu 0xfffe
	s_delay_alu instid0(SALU_CYCLE_2) | instskip(SKIP_1) | instid1(SALU_CYCLE_2)
	s_trunc_f32 s75, s75
	s_wait_alu 0xfffe
	s_fmamk_f32 s0, s75, 0xcf800000, s0
	s_cvt_u32_f32 s83, s75
	s_wait_alu 0xfffe
	s_delay_alu instid0(SALU_CYCLE_1) | instskip(NEXT) | instid1(SALU_CYCLE_3)
	s_cvt_u32_f32 s82, s0
	s_mul_u64 s[86:87], s[84:85], s[82:83]
	s_delay_alu instid0(SALU_CYCLE_1)
	s_mul_hi_u32 s89, s82, s87
	s_mul_i32 s88, s82, s87
	s_mul_hi_u32 s0, s82, s86
	s_mul_i32 s90, s83, s86
	s_wait_alu 0xfffe
	s_add_nc_u64 s[88:89], s[0:1], s[88:89]
	s_mul_hi_u32 s75, s83, s86
	s_mul_hi_u32 s91, s83, s87
	s_add_co_u32 s0, s88, s90
	s_wait_alu 0xfffe
	s_add_co_ci_u32 s0, s89, s75
	s_mul_i32 s86, s83, s87
	s_add_co_ci_u32 s87, s91, 0
	s_wait_alu 0xfffe
	s_add_nc_u64 s[86:87], s[0:1], s[86:87]
	s_delay_alu instid0(SALU_CYCLE_1) | instskip(SKIP_4) | instid1(SALU_CYCLE_1)
	s_add_co_u32 s82, s82, s86
	s_cselect_b32 s0, -1, 0
	s_wait_alu 0xfffe
	s_cmp_lg_u32 s0, 0
	s_add_co_ci_u32 s83, s83, s87
	s_mul_u64 s[84:85], s[84:85], s[82:83]
	s_delay_alu instid0(SALU_CYCLE_1)
	s_mul_hi_u32 s87, s82, s85
	s_mul_i32 s86, s82, s85
	s_mul_hi_u32 s0, s82, s84
	s_mul_i32 s88, s83, s84
	s_wait_alu 0xfffe
	s_add_nc_u64 s[86:87], s[0:1], s[86:87]
	s_mul_hi_u32 s75, s83, s84
	s_mul_hi_u32 s89, s83, s85
	s_add_co_u32 s0, s86, s88
	s_wait_alu 0xfffe
	s_add_co_ci_u32 s0, s87, s75
	s_mul_i32 s84, s83, s85
	s_add_co_ci_u32 s85, s89, 0
	s_wait_alu 0xfffe
	s_add_nc_u64 s[84:85], s[0:1], s[84:85]
	s_delay_alu instid0(SALU_CYCLE_1)
	s_add_co_u32 s0, s82, s84
	s_cselect_b32 s75, -1, 0
	s_wait_alu 0xfffe
	v_mul_hi_u32 v41, v2, s0
	s_cmp_lg_u32 s75, 0
	v_mad_co_u64_u32 v[22:23], null, v40, s0, 0
	s_add_co_ci_u32 s75, s83, s85
	s_wait_alu 0xfffe
	v_mad_co_u64_u32 v[19:20], null, v2, s75, 0
	v_mad_co_u64_u32 v[25:26], null, v40, s75, 0
	s_delay_alu instid0(VALU_DEP_2) | instskip(SKIP_1) | instid1(VALU_DEP_3)
	v_add_co_u32 v19, vcc_lo, v41, v19
	s_wait_alu 0xfffd
	v_add_co_ci_u32_e64 v20, null, 0, v20, vcc_lo
	s_delay_alu instid0(VALU_DEP_2) | instskip(SKIP_1) | instid1(VALU_DEP_2)
	v_add_co_u32 v19, vcc_lo, v19, v22
	s_wait_alu 0xfffd
	v_add_co_ci_u32_e32 v19, vcc_lo, v20, v23, vcc_lo
	s_wait_alu 0xfffd
	v_add_co_ci_u32_e32 v20, vcc_lo, 0, v26, vcc_lo
	s_delay_alu instid0(VALU_DEP_2) | instskip(SKIP_1) | instid1(VALU_DEP_2)
	v_add_co_u32 v22, vcc_lo, v19, v25
	s_wait_alu 0xfffd
	v_add_co_ci_u32_e64 v23, null, 0, v20, vcc_lo
	s_delay_alu instid0(VALU_DEP_2) | instskip(SKIP_1) | instid1(VALU_DEP_3)
	v_mul_lo_u32 v25, s77, v22
	v_mad_co_u64_u32 v[19:20], null, s76, v22, 0
	v_mul_lo_u32 v26, s76, v23
	s_delay_alu instid0(VALU_DEP_2) | instskip(NEXT) | instid1(VALU_DEP_2)
	v_sub_co_u32 v2, vcc_lo, v2, v19
	v_add3_u32 v20, v20, v26, v25
	s_delay_alu instid0(VALU_DEP_1) | instskip(SKIP_2) | instid1(VALU_DEP_2)
	v_sub_nc_u32_e32 v25, v40, v20
	s_wait_alu 0xfffd
	v_sub_co_ci_u32_e64 v20, null, v40, v20, vcc_lo
	v_subrev_co_ci_u32_e64 v19, null, s77, v25, vcc_lo
	v_add_co_u32 v25, s0, v22, 2
	s_wait_alu 0xf1ff
	v_add_co_ci_u32_e64 v26, null, 0, v23, s0
	v_sub_co_u32 v41, s0, v2, s76
	s_wait_alu 0xf1ff
	v_subrev_co_ci_u32_e64 v19, null, 0, v19, s0
	s_delay_alu instid0(VALU_DEP_2) | instskip(SKIP_2) | instid1(VALU_DEP_3)
	v_cmp_le_u32_e32 vcc_lo, s76, v41
	s_wait_alu 0xfffd
	v_cndmask_b32_e64 v40, 0, -1, vcc_lo
	v_cmp_le_u32_e32 vcc_lo, s77, v19
	s_wait_alu 0xfffd
	v_cndmask_b32_e64 v41, 0, -1, vcc_lo
	;; [unrolled: 3-line block ×4, first 2 shown]
	v_cmp_eq_u32_e32 vcc_lo, s77, v19
	s_wait_alu 0xfffd
	v_cndmask_b32_e32 v19, v41, v40, vcc_lo
	v_add_co_u32 v40, vcc_lo, v22, 1
	s_wait_alu 0xfffd
	v_add_co_ci_u32_e64 v41, null, 0, v23, vcc_lo
	v_cmp_eq_u32_e32 vcc_lo, s77, v20
	v_xor_b32_e32 v20, s74, v21
	s_wait_alu 0xfffd
	v_cndmask_b32_e32 v2, v42, v2, vcc_lo
	v_cmp_ne_u32_e32 vcc_lo, 0, v19
	s_delay_alu instid0(VALU_DEP_2) | instskip(SKIP_3) | instid1(VALU_DEP_1)
	v_cmp_ne_u32_e64 s0, 0, v2
	s_wait_alu 0xfffd
	v_dual_cndmask_b32 v19, v41, v26 :: v_dual_cndmask_b32 v2, v40, v25
                                        ; implicit-def: $vgpr25
	s_wait_alu 0xf1ff
	v_cndmask_b32_e64 v19, v23, v19, s0
	s_delay_alu instid0(VALU_DEP_2) | instskip(NEXT) | instid1(VALU_DEP_2)
	v_cndmask_b32_e64 v2, v22, v2, s0
	v_xor_b32_e32 v21, v19, v20
	s_delay_alu instid0(VALU_DEP_2) | instskip(NEXT) | instid1(VALU_DEP_1)
	v_xor_b32_e32 v2, v2, v20
	v_sub_co_u32 v19, vcc_lo, v2, v20
	s_wait_alu 0xfffd
	s_delay_alu instid0(VALU_DEP_3)
	v_sub_co_ci_u32_e64 v20, null, v21, v20, vcc_lo
.LBB11_49:                              ;   in Loop: Header=BB11_3 Depth=1
	s_and_not1_saveexec_b32 s0, s81
	s_cbranch_execz .LBB11_51
; %bb.50:                               ;   in Loop: Header=BB11_3 Depth=1
	v_rcp_iflag_f32_e32 v2, v39
	s_sub_co_i32 s74, 0, s62
	s_delay_alu instid0(TRANS32_DEP_1) | instskip(NEXT) | instid1(VALU_DEP_1)
	v_mul_f32_e32 v2, 0x4f7ffffe, v2
	v_cvt_u32_f32_e32 v2, v2
	s_wait_alu 0xfffe
	s_delay_alu instid0(VALU_DEP_1) | instskip(NEXT) | instid1(VALU_DEP_1)
	v_mul_lo_u32 v19, s74, v2
	v_mul_hi_u32 v19, v2, v19
	s_delay_alu instid0(VALU_DEP_1) | instskip(NEXT) | instid1(VALU_DEP_1)
	v_add_nc_u32_e32 v2, v2, v19
	v_mul_hi_u32 v2, v25, v2
	s_delay_alu instid0(VALU_DEP_1) | instskip(SKIP_1) | instid1(VALU_DEP_2)
	v_mul_lo_u32 v19, v2, s62
	v_add_nc_u32_e32 v20, 1, v2
	v_sub_nc_u32_e32 v19, v25, v19
	s_delay_alu instid0(VALU_DEP_1) | instskip(SKIP_2) | instid1(VALU_DEP_2)
	v_subrev_nc_u32_e32 v21, s62, v19
	v_cmp_le_u32_e32 vcc_lo, s62, v19
	s_wait_alu 0xfffd
	v_dual_cndmask_b32 v19, v19, v21 :: v_dual_cndmask_b32 v2, v2, v20
	s_delay_alu instid0(VALU_DEP_1) | instskip(NEXT) | instid1(VALU_DEP_2)
	v_cmp_le_u32_e32 vcc_lo, s62, v19
	v_add_nc_u32_e32 v20, 1, v2
	s_wait_alu 0xfffd
	s_delay_alu instid0(VALU_DEP_1)
	v_dual_cndmask_b32 v19, v2, v20 :: v_dual_mov_b32 v20, v1
.LBB11_51:                              ;   in Loop: Header=BB11_3 Depth=1
	s_wait_alu 0xfffe
	s_or_b32 exec_lo, exec_lo, s0
	v_or_b32_e32 v2, s63, v36
                                        ; implicit-def: $vgpr21_vgpr22
	s_mov_b32 s0, exec_lo
	s_delay_alu instid0(VALU_DEP_1)
	v_cmpx_ne_u64_e32 0, v[1:2]
	s_wait_alu 0xfffe
	s_xor_b32 s81, exec_lo, s0
	s_cbranch_execz .LBB11_53
; %bb.52:                               ;   in Loop: Header=BB11_3 Depth=1
	s_ashr_i32 s74, s63, 31
	v_add_co_u32 v2, vcc_lo, v35, v24
	s_wait_alu 0xfffe
	s_mov_b32 s75, s74
	s_wait_alu 0xfffd
	v_add_co_ci_u32_e64 v21, null, v36, v24, vcc_lo
	s_wait_alu 0xfffe
	s_add_nc_u64 s[76:77], s[62:63], s[74:75]
	v_xor_b32_e32 v2, v2, v24
	s_wait_alu 0xfffe
	s_xor_b64 s[76:77], s[76:77], s[74:75]
	v_xor_b32_e32 v23, v21, v24
	s_wait_alu 0xfffe
	s_cvt_f32_u32 s0, s76
	s_cvt_f32_u32 s75, s77
	s_sub_nc_u64 s[84:85], 0, s[76:77]
	s_wait_alu 0xfffe
	s_delay_alu instid0(SALU_CYCLE_1) | instskip(SKIP_1) | instid1(SALU_CYCLE_2)
	s_fmamk_f32 s0, s75, 0x4f800000, s0
	s_wait_alu 0xfffe
	v_s_rcp_f32 s0, s0
	s_delay_alu instid0(TRANS32_DEP_1) | instskip(SKIP_1) | instid1(SALU_CYCLE_2)
	s_mul_f32 s0, s0, 0x5f7ffffc
	s_wait_alu 0xfffe
	s_mul_f32 s75, s0, 0x2f800000
	s_wait_alu 0xfffe
	s_delay_alu instid0(SALU_CYCLE_2) | instskip(SKIP_1) | instid1(SALU_CYCLE_2)
	s_trunc_f32 s75, s75
	s_wait_alu 0xfffe
	s_fmamk_f32 s0, s75, 0xcf800000, s0
	s_cvt_u32_f32 s83, s75
	s_wait_alu 0xfffe
	s_delay_alu instid0(SALU_CYCLE_1) | instskip(NEXT) | instid1(SALU_CYCLE_3)
	s_cvt_u32_f32 s82, s0
	s_mul_u64 s[86:87], s[84:85], s[82:83]
	s_delay_alu instid0(SALU_CYCLE_1)
	s_mul_hi_u32 s89, s82, s87
	s_mul_i32 s88, s82, s87
	s_mul_hi_u32 s0, s82, s86
	s_mul_i32 s90, s83, s86
	s_wait_alu 0xfffe
	s_add_nc_u64 s[88:89], s[0:1], s[88:89]
	s_mul_hi_u32 s75, s83, s86
	s_mul_hi_u32 s91, s83, s87
	s_add_co_u32 s0, s88, s90
	s_wait_alu 0xfffe
	s_add_co_ci_u32 s0, s89, s75
	s_mul_i32 s86, s83, s87
	s_add_co_ci_u32 s87, s91, 0
	s_wait_alu 0xfffe
	s_add_nc_u64 s[86:87], s[0:1], s[86:87]
	s_delay_alu instid0(SALU_CYCLE_1) | instskip(SKIP_4) | instid1(SALU_CYCLE_1)
	s_add_co_u32 s82, s82, s86
	s_cselect_b32 s0, -1, 0
	s_wait_alu 0xfffe
	s_cmp_lg_u32 s0, 0
	s_add_co_ci_u32 s83, s83, s87
	s_mul_u64 s[84:85], s[84:85], s[82:83]
	s_delay_alu instid0(SALU_CYCLE_1)
	s_mul_hi_u32 s87, s82, s85
	s_mul_i32 s86, s82, s85
	s_mul_hi_u32 s0, s82, s84
	s_mul_i32 s88, s83, s84
	s_wait_alu 0xfffe
	s_add_nc_u64 s[86:87], s[0:1], s[86:87]
	s_mul_hi_u32 s75, s83, s84
	s_mul_hi_u32 s89, s83, s85
	s_add_co_u32 s0, s86, s88
	s_wait_alu 0xfffe
	s_add_co_ci_u32 s0, s87, s75
	s_mul_i32 s84, s83, s85
	s_add_co_ci_u32 s85, s89, 0
	s_wait_alu 0xfffe
	s_add_nc_u64 s[84:85], s[0:1], s[84:85]
	s_delay_alu instid0(SALU_CYCLE_1)
	s_add_co_u32 s0, s82, s84
	s_cselect_b32 s75, -1, 0
	s_wait_alu 0xfffe
	v_mul_hi_u32 v39, v2, s0
	s_cmp_lg_u32 s75, 0
	v_mad_co_u64_u32 v[25:26], null, v23, s0, 0
	s_add_co_ci_u32 s75, s83, s85
	s_wait_alu 0xfffe
	v_mad_co_u64_u32 v[21:22], null, v2, s75, 0
	v_mad_co_u64_u32 v[35:36], null, v23, s75, 0
	s_delay_alu instid0(VALU_DEP_2) | instskip(SKIP_1) | instid1(VALU_DEP_3)
	v_add_co_u32 v21, vcc_lo, v39, v21
	s_wait_alu 0xfffd
	v_add_co_ci_u32_e64 v22, null, 0, v22, vcc_lo
	s_delay_alu instid0(VALU_DEP_2) | instskip(SKIP_1) | instid1(VALU_DEP_2)
	v_add_co_u32 v21, vcc_lo, v21, v25
	s_wait_alu 0xfffd
	v_add_co_ci_u32_e32 v21, vcc_lo, v22, v26, vcc_lo
	s_wait_alu 0xfffd
	v_add_co_ci_u32_e32 v22, vcc_lo, 0, v36, vcc_lo
	s_delay_alu instid0(VALU_DEP_2) | instskip(SKIP_1) | instid1(VALU_DEP_2)
	v_add_co_u32 v25, vcc_lo, v21, v35
	s_wait_alu 0xfffd
	v_add_co_ci_u32_e64 v26, null, 0, v22, vcc_lo
	s_delay_alu instid0(VALU_DEP_2) | instskip(SKIP_1) | instid1(VALU_DEP_3)
	v_mul_lo_u32 v35, s77, v25
	v_mad_co_u64_u32 v[21:22], null, s76, v25, 0
	v_mul_lo_u32 v36, s76, v26
	s_delay_alu instid0(VALU_DEP_2) | instskip(NEXT) | instid1(VALU_DEP_2)
	v_sub_co_u32 v2, vcc_lo, v2, v21
	v_add3_u32 v22, v22, v36, v35
	s_delay_alu instid0(VALU_DEP_1) | instskip(SKIP_2) | instid1(VALU_DEP_2)
	v_sub_nc_u32_e32 v35, v23, v22
	s_wait_alu 0xfffd
	v_sub_co_ci_u32_e64 v22, null, v23, v22, vcc_lo
	v_subrev_co_ci_u32_e64 v21, null, s77, v35, vcc_lo
	v_add_co_u32 v35, s0, v25, 2
	s_wait_alu 0xf1ff
	v_add_co_ci_u32_e64 v36, null, 0, v26, s0
	v_sub_co_u32 v39, s0, v2, s76
	s_wait_alu 0xf1ff
	v_subrev_co_ci_u32_e64 v21, null, 0, v21, s0
	s_delay_alu instid0(VALU_DEP_2) | instskip(SKIP_2) | instid1(VALU_DEP_3)
	v_cmp_le_u32_e32 vcc_lo, s76, v39
	s_wait_alu 0xfffd
	v_cndmask_b32_e64 v23, 0, -1, vcc_lo
	v_cmp_le_u32_e32 vcc_lo, s77, v21
	s_wait_alu 0xfffd
	v_cndmask_b32_e64 v39, 0, -1, vcc_lo
	v_cmp_le_u32_e32 vcc_lo, s76, v2
	s_wait_alu 0xfffd
	v_cndmask_b32_e64 v2, 0, -1, vcc_lo
	v_cmp_le_u32_e32 vcc_lo, s77, v22
	s_wait_alu 0xfffd
	v_cndmask_b32_e64 v40, 0, -1, vcc_lo
	v_cmp_eq_u32_e32 vcc_lo, s77, v21
	s_wait_alu 0xfffd
	v_cndmask_b32_e32 v21, v39, v23, vcc_lo
	v_add_co_u32 v23, vcc_lo, v25, 1
	s_wait_alu 0xfffd
	v_add_co_ci_u32_e64 v39, null, 0, v26, vcc_lo
	v_cmp_eq_u32_e32 vcc_lo, s77, v22
	v_xor_b32_e32 v22, s74, v24
	s_wait_alu 0xfffd
	v_cndmask_b32_e32 v2, v40, v2, vcc_lo
	v_cmp_ne_u32_e32 vcc_lo, 0, v21
	s_delay_alu instid0(VALU_DEP_2) | instskip(SKIP_4) | instid1(VALU_DEP_2)
	v_cmp_ne_u32_e64 s0, 0, v2
	s_wait_alu 0xfffd
	v_cndmask_b32_e32 v2, v23, v35, vcc_lo
	v_cndmask_b32_e32 v21, v39, v36, vcc_lo
                                        ; implicit-def: $vgpr39
                                        ; implicit-def: $vgpr35
	s_wait_alu 0xf1ff
	v_cndmask_b32_e64 v2, v25, v2, s0
	s_delay_alu instid0(VALU_DEP_2) | instskip(NEXT) | instid1(VALU_DEP_2)
	v_cndmask_b32_e64 v21, v26, v21, s0
	v_xor_b32_e32 v2, v2, v22
	s_delay_alu instid0(VALU_DEP_2) | instskip(NEXT) | instid1(VALU_DEP_2)
	v_xor_b32_e32 v23, v21, v22
	v_sub_co_u32 v21, vcc_lo, v2, v22
	s_wait_alu 0xfffd
	s_delay_alu instid0(VALU_DEP_2)
	v_sub_co_ci_u32_e64 v22, null, v23, v22, vcc_lo
.LBB11_53:                              ;   in Loop: Header=BB11_3 Depth=1
	s_and_not1_saveexec_b32 s0, s81
	s_cbranch_execz .LBB11_55
; %bb.54:                               ;   in Loop: Header=BB11_3 Depth=1
	v_rcp_iflag_f32_e32 v2, v39
	s_sub_co_i32 s74, 0, s62
	s_delay_alu instid0(TRANS32_DEP_1) | instskip(NEXT) | instid1(VALU_DEP_1)
	v_mul_f32_e32 v2, 0x4f7ffffe, v2
	v_cvt_u32_f32_e32 v2, v2
	s_wait_alu 0xfffe
	s_delay_alu instid0(VALU_DEP_1) | instskip(NEXT) | instid1(VALU_DEP_1)
	v_mul_lo_u32 v21, s74, v2
	v_mul_hi_u32 v21, v2, v21
	s_delay_alu instid0(VALU_DEP_1) | instskip(NEXT) | instid1(VALU_DEP_1)
	v_add_nc_u32_e32 v2, v2, v21
	v_mul_hi_u32 v2, v35, v2
	s_delay_alu instid0(VALU_DEP_1) | instskip(SKIP_1) | instid1(VALU_DEP_2)
	v_mul_lo_u32 v21, v2, s62
	v_add_nc_u32_e32 v22, 1, v2
	v_sub_nc_u32_e32 v21, v35, v21
	s_delay_alu instid0(VALU_DEP_1) | instskip(SKIP_2) | instid1(VALU_DEP_2)
	v_subrev_nc_u32_e32 v23, s62, v21
	v_cmp_le_u32_e32 vcc_lo, s62, v21
	s_wait_alu 0xfffd
	v_dual_cndmask_b32 v21, v21, v23 :: v_dual_cndmask_b32 v2, v2, v22
	s_delay_alu instid0(VALU_DEP_1) | instskip(NEXT) | instid1(VALU_DEP_2)
	v_cmp_le_u32_e32 vcc_lo, s62, v21
	v_add_nc_u32_e32 v22, 1, v2
	s_wait_alu 0xfffd
	s_delay_alu instid0(VALU_DEP_1)
	v_dual_cndmask_b32 v21, v2, v22 :: v_dual_mov_b32 v22, v1
.LBB11_55:                              ;   in Loop: Header=BB11_3 Depth=1
	s_wait_alu 0xfffe
	s_or_b32 exec_lo, exec_lo, s0
	v_or_b32_e32 v2, s51, v4
                                        ; implicit-def: $vgpr23_vgpr24
	s_mov_b32 s0, exec_lo
	s_delay_alu instid0(VALU_DEP_1)
	v_cmpx_ne_u64_e32 0, v[1:2]
	s_wait_alu 0xfffe
	s_xor_b32 s81, exec_lo, s0
	s_cbranch_execz .LBB11_57
; %bb.56:                               ;   in Loop: Header=BB11_3 Depth=1
	s_ashr_i32 s74, s51, 31
	v_add_co_u32 v2, vcc_lo, v3, v28
	s_wait_alu 0xfffe
	s_mov_b32 s75, s74
	s_wait_alu 0xfffd
	v_add_co_ci_u32_e64 v23, null, v4, v28, vcc_lo
	s_wait_alu 0xfffe
	s_add_nc_u64 s[76:77], s[50:51], s[74:75]
	v_xor_b32_e32 v2, v2, v28
	s_wait_alu 0xfffe
	s_xor_b64 s[76:77], s[76:77], s[74:75]
	v_xor_b32_e32 v39, v23, v28
	s_wait_alu 0xfffe
	s_cvt_f32_u32 s0, s76
	s_cvt_f32_u32 s75, s77
	s_sub_nc_u64 s[84:85], 0, s[76:77]
	s_wait_alu 0xfffe
	s_delay_alu instid0(SALU_CYCLE_1) | instskip(SKIP_1) | instid1(SALU_CYCLE_2)
	s_fmamk_f32 s0, s75, 0x4f800000, s0
	s_wait_alu 0xfffe
	v_s_rcp_f32 s0, s0
	s_delay_alu instid0(TRANS32_DEP_1) | instskip(SKIP_1) | instid1(SALU_CYCLE_2)
	s_mul_f32 s0, s0, 0x5f7ffffc
	s_wait_alu 0xfffe
	s_mul_f32 s75, s0, 0x2f800000
	s_wait_alu 0xfffe
	s_delay_alu instid0(SALU_CYCLE_2) | instskip(SKIP_1) | instid1(SALU_CYCLE_2)
	s_trunc_f32 s75, s75
	s_wait_alu 0xfffe
	s_fmamk_f32 s0, s75, 0xcf800000, s0
	s_cvt_u32_f32 s83, s75
	s_wait_alu 0xfffe
	s_delay_alu instid0(SALU_CYCLE_1) | instskip(NEXT) | instid1(SALU_CYCLE_3)
	s_cvt_u32_f32 s82, s0
	s_mul_u64 s[86:87], s[84:85], s[82:83]
	s_delay_alu instid0(SALU_CYCLE_1)
	s_mul_hi_u32 s89, s82, s87
	s_mul_i32 s88, s82, s87
	s_mul_hi_u32 s0, s82, s86
	s_mul_i32 s90, s83, s86
	s_wait_alu 0xfffe
	s_add_nc_u64 s[88:89], s[0:1], s[88:89]
	s_mul_hi_u32 s75, s83, s86
	s_mul_hi_u32 s91, s83, s87
	s_add_co_u32 s0, s88, s90
	s_wait_alu 0xfffe
	s_add_co_ci_u32 s0, s89, s75
	s_mul_i32 s86, s83, s87
	s_add_co_ci_u32 s87, s91, 0
	s_wait_alu 0xfffe
	s_add_nc_u64 s[86:87], s[0:1], s[86:87]
	s_delay_alu instid0(SALU_CYCLE_1) | instskip(SKIP_4) | instid1(SALU_CYCLE_1)
	s_add_co_u32 s82, s82, s86
	s_cselect_b32 s0, -1, 0
	s_wait_alu 0xfffe
	s_cmp_lg_u32 s0, 0
	s_add_co_ci_u32 s83, s83, s87
	s_mul_u64 s[84:85], s[84:85], s[82:83]
	s_delay_alu instid0(SALU_CYCLE_1)
	s_mul_hi_u32 s87, s82, s85
	s_mul_i32 s86, s82, s85
	s_mul_hi_u32 s0, s82, s84
	s_mul_i32 s88, s83, s84
	s_wait_alu 0xfffe
	s_add_nc_u64 s[86:87], s[0:1], s[86:87]
	s_mul_hi_u32 s75, s83, s84
	s_mul_hi_u32 s89, s83, s85
	s_add_co_u32 s0, s86, s88
	s_wait_alu 0xfffe
	s_add_co_ci_u32 s0, s87, s75
	s_mul_i32 s84, s83, s85
	s_add_co_ci_u32 s85, s89, 0
	s_wait_alu 0xfffe
	s_add_nc_u64 s[84:85], s[0:1], s[84:85]
	s_delay_alu instid0(SALU_CYCLE_1)
	s_add_co_u32 s0, s82, s84
	s_cselect_b32 s75, -1, 0
	s_wait_alu 0xfffe
	v_mul_hi_u32 v40, v2, s0
	s_cmp_lg_u32 s75, 0
	v_mad_co_u64_u32 v[25:26], null, v39, s0, 0
	s_add_co_ci_u32 s75, s83, s85
	s_wait_alu 0xfffe
	v_mad_co_u64_u32 v[23:24], null, v2, s75, 0
	v_mad_co_u64_u32 v[35:36], null, v39, s75, 0
	s_delay_alu instid0(VALU_DEP_2) | instskip(SKIP_1) | instid1(VALU_DEP_3)
	v_add_co_u32 v23, vcc_lo, v40, v23
	s_wait_alu 0xfffd
	v_add_co_ci_u32_e64 v24, null, 0, v24, vcc_lo
	s_delay_alu instid0(VALU_DEP_2) | instskip(SKIP_1) | instid1(VALU_DEP_2)
	v_add_co_u32 v23, vcc_lo, v23, v25
	s_wait_alu 0xfffd
	v_add_co_ci_u32_e32 v23, vcc_lo, v24, v26, vcc_lo
	s_wait_alu 0xfffd
	v_add_co_ci_u32_e32 v24, vcc_lo, 0, v36, vcc_lo
	s_delay_alu instid0(VALU_DEP_2) | instskip(SKIP_1) | instid1(VALU_DEP_2)
	v_add_co_u32 v25, vcc_lo, v23, v35
	s_wait_alu 0xfffd
	v_add_co_ci_u32_e64 v26, null, 0, v24, vcc_lo
	s_delay_alu instid0(VALU_DEP_2) | instskip(SKIP_1) | instid1(VALU_DEP_3)
	v_mul_lo_u32 v35, s77, v25
	v_mad_co_u64_u32 v[23:24], null, s76, v25, 0
	v_mul_lo_u32 v36, s76, v26
	s_delay_alu instid0(VALU_DEP_2) | instskip(NEXT) | instid1(VALU_DEP_2)
	v_sub_co_u32 v2, vcc_lo, v2, v23
	v_add3_u32 v24, v24, v36, v35
	s_delay_alu instid0(VALU_DEP_1) | instskip(SKIP_2) | instid1(VALU_DEP_2)
	v_sub_nc_u32_e32 v35, v39, v24
	s_wait_alu 0xfffd
	v_sub_co_ci_u32_e64 v24, null, v39, v24, vcc_lo
	v_subrev_co_ci_u32_e64 v23, null, s77, v35, vcc_lo
	v_add_co_u32 v35, s0, v25, 2
	s_wait_alu 0xf1ff
	v_add_co_ci_u32_e64 v36, null, 0, v26, s0
	v_sub_co_u32 v40, s0, v2, s76
	s_wait_alu 0xf1ff
	v_subrev_co_ci_u32_e64 v23, null, 0, v23, s0
	s_delay_alu instid0(VALU_DEP_2) | instskip(SKIP_2) | instid1(VALU_DEP_3)
	v_cmp_le_u32_e32 vcc_lo, s76, v40
	s_wait_alu 0xfffd
	v_cndmask_b32_e64 v39, 0, -1, vcc_lo
	v_cmp_le_u32_e32 vcc_lo, s77, v23
	s_wait_alu 0xfffd
	v_cndmask_b32_e64 v40, 0, -1, vcc_lo
	;; [unrolled: 3-line block ×4, first 2 shown]
	v_cmp_eq_u32_e32 vcc_lo, s77, v23
	s_wait_alu 0xfffd
	v_cndmask_b32_e32 v23, v40, v39, vcc_lo
	v_add_co_u32 v39, vcc_lo, v25, 1
	s_wait_alu 0xfffd
	v_add_co_ci_u32_e64 v40, null, 0, v26, vcc_lo
	v_cmp_eq_u32_e32 vcc_lo, s77, v24
	v_xor_b32_e32 v24, s74, v28
	s_wait_alu 0xfffd
	v_cndmask_b32_e32 v2, v41, v2, vcc_lo
	v_cmp_ne_u32_e32 vcc_lo, 0, v23
	s_delay_alu instid0(VALU_DEP_2) | instskip(SKIP_3) | instid1(VALU_DEP_1)
	v_cmp_ne_u32_e64 s0, 0, v2
	s_wait_alu 0xfffd
	v_dual_cndmask_b32 v23, v40, v36 :: v_dual_cndmask_b32 v2, v39, v35
	s_wait_alu 0xf1ff
	v_cndmask_b32_e64 v23, v26, v23, s0
	s_delay_alu instid0(VALU_DEP_2) | instskip(NEXT) | instid1(VALU_DEP_2)
	v_cndmask_b32_e64 v2, v25, v2, s0
	v_xor_b32_e32 v25, v23, v24
	s_delay_alu instid0(VALU_DEP_2) | instskip(NEXT) | instid1(VALU_DEP_1)
	v_xor_b32_e32 v2, v2, v24
	v_sub_co_u32 v23, vcc_lo, v2, v24
	s_wait_alu 0xfffd
	s_delay_alu instid0(VALU_DEP_3)
	v_sub_co_ci_u32_e64 v24, null, v25, v24, vcc_lo
.LBB11_57:                              ;   in Loop: Header=BB11_3 Depth=1
	s_and_not1_saveexec_b32 s0, s81
	s_cbranch_execz .LBB11_59
; %bb.58:                               ;   in Loop: Header=BB11_3 Depth=1
	v_cvt_f32_u32_e32 v2, s50
	s_sub_co_i32 s74, 0, s50
	s_delay_alu instid0(VALU_DEP_1) | instskip(NEXT) | instid1(TRANS32_DEP_1)
	v_rcp_iflag_f32_e32 v2, v2
	v_mul_f32_e32 v2, 0x4f7ffffe, v2
	s_delay_alu instid0(VALU_DEP_1) | instskip(SKIP_1) | instid1(VALU_DEP_1)
	v_cvt_u32_f32_e32 v2, v2
	s_wait_alu 0xfffe
	v_mul_lo_u32 v23, s74, v2
	s_delay_alu instid0(VALU_DEP_1) | instskip(NEXT) | instid1(VALU_DEP_1)
	v_mul_hi_u32 v23, v2, v23
	v_add_nc_u32_e32 v2, v2, v23
	s_delay_alu instid0(VALU_DEP_1) | instskip(NEXT) | instid1(VALU_DEP_1)
	v_mul_hi_u32 v2, v3, v2
	v_mul_lo_u32 v23, v2, s50
	v_add_nc_u32_e32 v24, 1, v2
	s_delay_alu instid0(VALU_DEP_2) | instskip(NEXT) | instid1(VALU_DEP_1)
	v_sub_nc_u32_e32 v23, v3, v23
	v_subrev_nc_u32_e32 v25, s50, v23
	v_cmp_le_u32_e32 vcc_lo, s50, v23
	s_wait_alu 0xfffd
	s_delay_alu instid0(VALU_DEP_2) | instskip(NEXT) | instid1(VALU_DEP_1)
	v_dual_cndmask_b32 v23, v23, v25 :: v_dual_cndmask_b32 v2, v2, v24
	v_cmp_le_u32_e32 vcc_lo, s50, v23
	s_delay_alu instid0(VALU_DEP_2) | instskip(SKIP_1) | instid1(VALU_DEP_1)
	v_add_nc_u32_e32 v24, 1, v2
	s_wait_alu 0xfffd
	v_dual_cndmask_b32 v23, v2, v24 :: v_dual_mov_b32 v24, v1
.LBB11_59:                              ;   in Loop: Header=BB11_3 Depth=1
	s_wait_alu 0xfffe
	s_or_b32 exec_lo, exec_lo, s0
	s_delay_alu instid0(VALU_DEP_1) | instskip(NEXT) | instid1(VALU_DEP_2)
	v_mad_co_u64_u32 v[25:26], null, s68, v23, v[3:4]
	v_mul_lo_u32 v2, s68, v24
	v_mul_lo_u32 v35, s69, v23
	;; [unrolled: 1-line block ×4, first 2 shown]
	v_mad_co_u64_u32 v[23:24], null, v23, s16, 0
	s_mov_b32 s0, exec_lo
	v_add3_u32 v2, v35, v26, v2
	v_mul_lo_u32 v35, v25, s19
	v_mad_co_u64_u32 v[25:26], null, v25, s18, 0
	v_add3_u32 v24, v24, v39, v36
	s_delay_alu instid0(VALU_DEP_4) | instskip(NEXT) | instid1(VALU_DEP_2)
	v_mul_lo_u32 v2, v2, s18
	v_lshlrev_b64_e32 v[23:24], 1, v[23:24]
	s_delay_alu instid0(VALU_DEP_2) | instskip(NEXT) | instid1(VALU_DEP_2)
	v_add3_u32 v26, v26, v35, v2
	v_add_co_u32 v2, vcc_lo, s48, v23
	s_wait_alu 0xfffd
	s_delay_alu instid0(VALU_DEP_3) | instskip(NEXT) | instid1(VALU_DEP_3)
	v_add_co_ci_u32_e64 v24, null, s49, v24, vcc_lo
	v_lshlrev_b64_e32 v[25:26], 1, v[25:26]
	s_delay_alu instid0(VALU_DEP_1) | instskip(SKIP_1) | instid1(VALU_DEP_2)
	v_add_co_u32 v23, vcc_lo, v2, v25
	s_wait_alu 0xfffd
	v_add_co_ci_u32_e64 v24, null, v24, v26, vcc_lo
	v_or_b32_e32 v2, s55, v4
	global_load_u16 v35, v[23:24], off
                                        ; implicit-def: $vgpr23_vgpr24
	v_cmpx_ne_u64_e32 0, v[1:2]
	s_wait_alu 0xfffe
	s_xor_b32 s81, exec_lo, s0
	s_cbranch_execz .LBB11_61
; %bb.60:                               ;   in Loop: Header=BB11_3 Depth=1
	s_ashr_i32 s74, s55, 31
	v_add_co_u32 v2, vcc_lo, v3, v28
	s_wait_alu 0xfffe
	s_mov_b32 s75, s74
	s_wait_alu 0xfffd
	v_add_co_ci_u32_e64 v23, null, v4, v28, vcc_lo
	s_wait_alu 0xfffe
	s_add_nc_u64 s[76:77], s[54:55], s[74:75]
	v_xor_b32_e32 v2, v2, v28
	s_wait_alu 0xfffe
	s_xor_b64 s[76:77], s[76:77], s[74:75]
	v_xor_b32_e32 v36, v23, v28
	s_wait_alu 0xfffe
	s_cvt_f32_u32 s0, s76
	s_cvt_f32_u32 s75, s77
	s_sub_nc_u64 s[84:85], 0, s[76:77]
	s_wait_alu 0xfffe
	s_delay_alu instid0(SALU_CYCLE_1) | instskip(SKIP_1) | instid1(SALU_CYCLE_2)
	s_fmamk_f32 s0, s75, 0x4f800000, s0
	s_wait_alu 0xfffe
	v_s_rcp_f32 s0, s0
	s_delay_alu instid0(TRANS32_DEP_1) | instskip(SKIP_1) | instid1(SALU_CYCLE_2)
	s_mul_f32 s0, s0, 0x5f7ffffc
	s_wait_alu 0xfffe
	s_mul_f32 s75, s0, 0x2f800000
	s_wait_alu 0xfffe
	s_delay_alu instid0(SALU_CYCLE_2) | instskip(SKIP_1) | instid1(SALU_CYCLE_2)
	s_trunc_f32 s75, s75
	s_wait_alu 0xfffe
	s_fmamk_f32 s0, s75, 0xcf800000, s0
	s_cvt_u32_f32 s83, s75
	s_wait_alu 0xfffe
	s_delay_alu instid0(SALU_CYCLE_1) | instskip(NEXT) | instid1(SALU_CYCLE_3)
	s_cvt_u32_f32 s82, s0
	s_mul_u64 s[86:87], s[84:85], s[82:83]
	s_delay_alu instid0(SALU_CYCLE_1)
	s_mul_hi_u32 s89, s82, s87
	s_mul_i32 s88, s82, s87
	s_mul_hi_u32 s0, s82, s86
	s_mul_i32 s90, s83, s86
	s_wait_alu 0xfffe
	s_add_nc_u64 s[88:89], s[0:1], s[88:89]
	s_mul_hi_u32 s75, s83, s86
	s_mul_hi_u32 s91, s83, s87
	s_add_co_u32 s0, s88, s90
	s_wait_alu 0xfffe
	s_add_co_ci_u32 s0, s89, s75
	s_mul_i32 s86, s83, s87
	s_add_co_ci_u32 s87, s91, 0
	s_wait_alu 0xfffe
	s_add_nc_u64 s[86:87], s[0:1], s[86:87]
	s_delay_alu instid0(SALU_CYCLE_1) | instskip(SKIP_4) | instid1(SALU_CYCLE_1)
	s_add_co_u32 s82, s82, s86
	s_cselect_b32 s0, -1, 0
	s_wait_alu 0xfffe
	s_cmp_lg_u32 s0, 0
	s_add_co_ci_u32 s83, s83, s87
	s_mul_u64 s[84:85], s[84:85], s[82:83]
	s_delay_alu instid0(SALU_CYCLE_1)
	s_mul_hi_u32 s87, s82, s85
	s_mul_i32 s86, s82, s85
	s_mul_hi_u32 s0, s82, s84
	s_mul_i32 s88, s83, s84
	s_wait_alu 0xfffe
	s_add_nc_u64 s[86:87], s[0:1], s[86:87]
	s_mul_hi_u32 s75, s83, s84
	s_mul_hi_u32 s89, s83, s85
	s_add_co_u32 s0, s86, s88
	s_wait_alu 0xfffe
	s_add_co_ci_u32 s0, s87, s75
	s_mul_i32 s84, s83, s85
	s_add_co_ci_u32 s85, s89, 0
	s_wait_alu 0xfffe
	s_add_nc_u64 s[84:85], s[0:1], s[84:85]
	s_delay_alu instid0(SALU_CYCLE_1)
	s_add_co_u32 s0, s82, s84
	s_cselect_b32 s75, -1, 0
	s_wait_alu 0xfffe
	v_mul_hi_u32 v41, v2, s0
	s_cmp_lg_u32 s75, 0
	v_mad_co_u64_u32 v[25:26], null, v36, s0, 0
	s_add_co_ci_u32 s75, s83, s85
	s_wait_alu 0xfffe
	v_mad_co_u64_u32 v[23:24], null, v2, s75, 0
	v_mad_co_u64_u32 v[39:40], null, v36, s75, 0
	s_delay_alu instid0(VALU_DEP_2) | instskip(SKIP_1) | instid1(VALU_DEP_3)
	v_add_co_u32 v23, vcc_lo, v41, v23
	s_wait_alu 0xfffd
	v_add_co_ci_u32_e64 v24, null, 0, v24, vcc_lo
	s_delay_alu instid0(VALU_DEP_2) | instskip(SKIP_1) | instid1(VALU_DEP_2)
	v_add_co_u32 v23, vcc_lo, v23, v25
	s_wait_alu 0xfffd
	v_add_co_ci_u32_e32 v23, vcc_lo, v24, v26, vcc_lo
	s_wait_alu 0xfffd
	v_add_co_ci_u32_e32 v24, vcc_lo, 0, v40, vcc_lo
	s_delay_alu instid0(VALU_DEP_2) | instskip(SKIP_1) | instid1(VALU_DEP_2)
	v_add_co_u32 v25, vcc_lo, v23, v39
	s_wait_alu 0xfffd
	v_add_co_ci_u32_e64 v26, null, 0, v24, vcc_lo
	s_delay_alu instid0(VALU_DEP_2) | instskip(SKIP_1) | instid1(VALU_DEP_3)
	v_mul_lo_u32 v39, s77, v25
	v_mad_co_u64_u32 v[23:24], null, s76, v25, 0
	v_mul_lo_u32 v40, s76, v26
	s_delay_alu instid0(VALU_DEP_2) | instskip(NEXT) | instid1(VALU_DEP_2)
	v_sub_co_u32 v2, vcc_lo, v2, v23
	v_add3_u32 v24, v24, v40, v39
	s_delay_alu instid0(VALU_DEP_1) | instskip(SKIP_2) | instid1(VALU_DEP_2)
	v_sub_nc_u32_e32 v39, v36, v24
	s_wait_alu 0xfffd
	v_sub_co_ci_u32_e64 v24, null, v36, v24, vcc_lo
	v_subrev_co_ci_u32_e64 v23, null, s77, v39, vcc_lo
	v_add_co_u32 v39, s0, v25, 2
	s_wait_alu 0xf1ff
	v_add_co_ci_u32_e64 v40, null, 0, v26, s0
	v_sub_co_u32 v41, s0, v2, s76
	s_wait_alu 0xf1ff
	v_subrev_co_ci_u32_e64 v23, null, 0, v23, s0
	s_delay_alu instid0(VALU_DEP_2) | instskip(SKIP_2) | instid1(VALU_DEP_3)
	v_cmp_le_u32_e32 vcc_lo, s76, v41
	s_wait_alu 0xfffd
	v_cndmask_b32_e64 v36, 0, -1, vcc_lo
	v_cmp_le_u32_e32 vcc_lo, s77, v23
	s_wait_alu 0xfffd
	v_cndmask_b32_e64 v41, 0, -1, vcc_lo
	;; [unrolled: 3-line block ×4, first 2 shown]
	v_cmp_eq_u32_e32 vcc_lo, s77, v23
	s_wait_alu 0xfffd
	v_cndmask_b32_e32 v23, v41, v36, vcc_lo
	v_add_co_u32 v36, vcc_lo, v25, 1
	s_wait_alu 0xfffd
	v_add_co_ci_u32_e64 v41, null, 0, v26, vcc_lo
	v_cmp_eq_u32_e32 vcc_lo, s77, v24
	v_xor_b32_e32 v24, s74, v28
	s_wait_alu 0xfffd
	v_cndmask_b32_e32 v2, v42, v2, vcc_lo
	v_cmp_ne_u32_e32 vcc_lo, 0, v23
	s_delay_alu instid0(VALU_DEP_2) | instskip(SKIP_3) | instid1(VALU_DEP_1)
	v_cmp_ne_u32_e64 s0, 0, v2
	s_wait_alu 0xfffd
	v_dual_cndmask_b32 v23, v41, v40 :: v_dual_cndmask_b32 v2, v36, v39
	s_wait_alu 0xf1ff
	v_cndmask_b32_e64 v23, v26, v23, s0
	s_delay_alu instid0(VALU_DEP_2) | instskip(NEXT) | instid1(VALU_DEP_2)
	v_cndmask_b32_e64 v2, v25, v2, s0
	v_xor_b32_e32 v25, v23, v24
	s_delay_alu instid0(VALU_DEP_2) | instskip(NEXT) | instid1(VALU_DEP_1)
	v_xor_b32_e32 v2, v2, v24
	v_sub_co_u32 v23, vcc_lo, v2, v24
	s_wait_alu 0xfffd
	s_delay_alu instid0(VALU_DEP_3)
	v_sub_co_ci_u32_e64 v24, null, v25, v24, vcc_lo
.LBB11_61:                              ;   in Loop: Header=BB11_3 Depth=1
	s_and_not1_saveexec_b32 s0, s81
	s_cbranch_execz .LBB11_63
; %bb.62:                               ;   in Loop: Header=BB11_3 Depth=1
	v_cvt_f32_u32_e32 v2, s54
	s_sub_co_i32 s74, 0, s54
	s_delay_alu instid0(VALU_DEP_1) | instskip(NEXT) | instid1(TRANS32_DEP_1)
	v_rcp_iflag_f32_e32 v2, v2
	v_mul_f32_e32 v2, 0x4f7ffffe, v2
	s_delay_alu instid0(VALU_DEP_1) | instskip(SKIP_1) | instid1(VALU_DEP_1)
	v_cvt_u32_f32_e32 v2, v2
	s_wait_alu 0xfffe
	v_mul_lo_u32 v23, s74, v2
	s_delay_alu instid0(VALU_DEP_1) | instskip(NEXT) | instid1(VALU_DEP_1)
	v_mul_hi_u32 v23, v2, v23
	v_add_nc_u32_e32 v2, v2, v23
	s_delay_alu instid0(VALU_DEP_1) | instskip(NEXT) | instid1(VALU_DEP_1)
	v_mul_hi_u32 v2, v3, v2
	v_mul_lo_u32 v23, v2, s54
	v_add_nc_u32_e32 v24, 1, v2
	s_delay_alu instid0(VALU_DEP_2) | instskip(NEXT) | instid1(VALU_DEP_1)
	v_sub_nc_u32_e32 v23, v3, v23
	v_subrev_nc_u32_e32 v25, s54, v23
	v_cmp_le_u32_e32 vcc_lo, s54, v23
	s_wait_alu 0xfffd
	s_delay_alu instid0(VALU_DEP_2) | instskip(NEXT) | instid1(VALU_DEP_1)
	v_dual_cndmask_b32 v23, v23, v25 :: v_dual_cndmask_b32 v2, v2, v24
	v_cmp_le_u32_e32 vcc_lo, s54, v23
	s_delay_alu instid0(VALU_DEP_2) | instskip(SKIP_1) | instid1(VALU_DEP_1)
	v_add_nc_u32_e32 v24, 1, v2
	s_wait_alu 0xfffd
	v_dual_cndmask_b32 v23, v2, v24 :: v_dual_mov_b32 v24, v1
.LBB11_63:                              ;   in Loop: Header=BB11_3 Depth=1
	s_wait_alu 0xfffe
	s_or_b32 exec_lo, exec_lo, s0
	v_or_b32_e32 v2, s59, v4
                                        ; implicit-def: $vgpr25_vgpr26
	s_mov_b32 s0, exec_lo
	s_delay_alu instid0(VALU_DEP_1)
	v_cmpx_ne_u64_e32 0, v[1:2]
	s_wait_alu 0xfffe
	s_xor_b32 s81, exec_lo, s0
	s_cbranch_execnz .LBB11_67
; %bb.64:                               ;   in Loop: Header=BB11_3 Depth=1
	s_and_not1_saveexec_b32 s0, s81
	s_cbranch_execnz .LBB11_68
.LBB11_65:                              ;   in Loop: Header=BB11_3 Depth=1
	s_wait_alu 0xfffe
	s_or_b32 exec_lo, exec_lo, s0
	s_delay_alu instid0(SALU_CYCLE_1)
	s_and_not1_b32 vcc_lo, exec_lo, s33
	s_wait_alu 0xfffe
	s_cbranch_vccnz .LBB11_69
.LBB11_66:                              ;   in Loop: Header=BB11_3 Depth=1
	v_mad_co_u64_u32 v[39:40], null, s66, v9, v[3:4]
	v_mul_lo_u32 v2, s66, v10
	v_mul_lo_u32 v28, s67, v9
	v_sub_co_u32 v36, vcc_lo, 1, v9
	s_wait_alu 0xfffd
	v_sub_co_ci_u32_e64 v41, null, 0, v10, vcc_lo
	v_mad_co_u64_u32 v[42:43], null, v39, s42, 0
	s_delay_alu instid0(VALU_DEP_3) | instskip(SKIP_1) | instid1(VALU_DEP_4)
	v_mul_lo_u32 v44, s5, v36
	v_add3_u32 v2, v28, v40, v2
	v_mul_lo_u32 v28, s4, v41
	v_mad_co_u64_u32 v[40:41], null, s4, v36, v[3:4]
	v_mul_lo_u32 v36, v39, s43
	s_delay_alu instid0(VALU_DEP_4)
	v_mul_lo_u32 v48, v2, s42
	v_mul_lo_u32 v54, v39, s47
	;; [unrolled: 1-line block ×3, first 2 shown]
	v_add3_u32 v28, v44, v41, v28
	v_sub_co_u32 v41, vcc_lo, 2, v9
	s_wait_alu 0xfffd
	v_sub_co_ci_u32_e64 v46, null, 0, v10, vcc_lo
	s_delay_alu instid0(VALU_DEP_3) | instskip(NEXT) | instid1(VALU_DEP_3)
	v_mul_lo_u32 v49, v28, s42
	v_mul_lo_u32 v52, s5, v41
	;; [unrolled: 1-line block ×3, first 2 shown]
	s_delay_alu instid0(VALU_DEP_4) | instskip(SKIP_4) | instid1(VALU_DEP_4)
	v_mul_lo_u32 v51, s4, v46
	v_mad_co_u64_u32 v[46:47], null, s4, v41, v[3:4]
	v_mad_co_u64_u32 v[44:45], null, v40, s42, 0
	v_add3_u32 v43, v43, v36, v48
	v_mul_lo_u32 v28, v28, s46
	v_add3_u32 v36, v52, v47, v51
	v_sub_co_u32 v47, vcc_lo, 3, v9
	v_add3_u32 v45, v45, v50, v49
	s_wait_alu 0xfffd
	v_sub_co_ci_u32_e64 v48, null, 0, v10, vcc_lo
	v_lshlrev_b64_e32 v[9:10], 1, v[42:43]
	v_mul_lo_u32 v50, s5, v47
	v_lshlrev_b64_e32 v[41:42], 1, v[44:45]
	s_delay_alu instid0(VALU_DEP_4)
	v_mul_lo_u32 v49, s4, v48
	v_mad_co_u64_u32 v[43:44], null, s4, v47, v[3:4]
	v_mul_lo_u32 v45, v36, s42
	v_mul_lo_u32 v51, v46, s43
	v_mad_co_u64_u32 v[47:48], null, v46, s42, 0
	v_add_co_u32 v9, vcc_lo, s40, v9
	v_add3_u32 v52, v50, v44, v49
	s_wait_alu 0xfffd
	v_add_co_ci_u32_e64 v10, null, s41, v10, vcc_lo
	v_add_co_u32 v41, vcc_lo, s40, v41
	v_add3_u32 v48, v48, v51, v45
	v_mul_lo_u32 v51, v52, s42
	v_mul_lo_u32 v53, v43, s43
	v_mad_co_u64_u32 v[44:45], null, v43, s42, 0
	v_mad_co_u64_u32 v[49:50], null, v39, s46, 0
	s_wait_alu 0xfffd
	v_add_co_ci_u32_e64 v42, null, s41, v42, vcc_lo
	s_clause 0x1
	global_load_u16 v55, v[9:10], off
	global_load_u16 v56, v[41:42], off
	v_lshlrev_b64_e32 v[9:10], 1, v[47:48]
	v_mul_lo_u32 v47, v40, s47
	v_mad_co_u64_u32 v[39:40], null, v40, s46, 0
	v_add3_u32 v45, v45, v53, v51
	v_add3_u32 v50, v50, v54, v2
	v_mul_lo_u32 v2, v36, s46
	v_mul_lo_u32 v36, v52, s46
	v_add_co_u32 v9, vcc_lo, s40, v9
	v_lshlrev_b64_e32 v[41:42], 1, v[44:45]
	v_lshlrev_b64_e32 v[44:45], 1, v[49:50]
	v_add3_u32 v40, v40, v47, v28
	v_mul_lo_u32 v28, v46, s47
	v_mad_co_u64_u32 v[46:47], null, v46, s46, 0
	v_mul_lo_u32 v50, v43, s47
	v_mad_co_u64_u32 v[48:49], null, v43, s46, 0
	s_wait_alu 0xfffd
	v_add_co_ci_u32_e64 v10, null, s41, v10, vcc_lo
	v_add_co_u32 v44, vcc_lo, s44, v44
	s_wait_alu 0xfffd
	v_add_co_ci_u32_e64 v45, null, s45, v45, vcc_lo
	v_add3_u32 v47, v47, v28, v2
	v_add3_u32 v49, v49, v50, v36
	v_lshlrev_b64_e32 v[39:40], 1, v[39:40]
	global_load_u16 v2, v[44:45], off
	v_add_co_u32 v41, vcc_lo, s40, v41
	v_lshlrev_b64_e32 v[43:44], 1, v[46:47]
	v_lshlrev_b64_e32 v[45:46], 1, v[48:49]
	s_wait_alu 0xfffd
	v_add_co_ci_u32_e64 v42, null, s41, v42, vcc_lo
	v_add_co_u32 v39, vcc_lo, s44, v39
	s_wait_alu 0xfffd
	v_add_co_ci_u32_e64 v40, null, s45, v40, vcc_lo
	v_add_co_u32 v43, vcc_lo, s44, v43
	;; [unrolled: 3-line block ×3, first 2 shown]
	s_wait_alu 0xfffd
	v_add_co_ci_u32_e64 v46, null, s45, v46, vcc_lo
	global_load_u16 v28, v[39:40], off
	global_load_u16 v36, v[9:10], off
	;; [unrolled: 1-line block ×5, first 2 shown]
	s_wait_loadcnt 0x7
	v_cvt_f32_f16_e32 v41, v55
	s_wait_loadcnt 0x6
	v_cvt_f32_f16_e32 v40, v56
	;; [unrolled: 2-line block ×8, first 2 shown]
	s_branch .LBB11_70
.LBB11_67:                              ;   in Loop: Header=BB11_3 Depth=1
	s_ashr_i32 s74, s59, 31
	v_add_co_u32 v2, vcc_lo, v3, v28
	s_wait_alu 0xfffe
	s_mov_b32 s75, s74
	s_wait_alu 0xfffd
	v_add_co_ci_u32_e64 v25, null, v4, v28, vcc_lo
	s_wait_alu 0xfffe
	s_add_nc_u64 s[76:77], s[58:59], s[74:75]
	v_xor_b32_e32 v2, v2, v28
	s_wait_alu 0xfffe
	s_xor_b64 s[76:77], s[76:77], s[74:75]
	v_xor_b32_e32 v36, v25, v28
	s_wait_alu 0xfffe
	s_cvt_f32_u32 s0, s76
	s_cvt_f32_u32 s75, s77
	s_sub_nc_u64 s[84:85], 0, s[76:77]
	s_wait_alu 0xfffe
	s_delay_alu instid0(SALU_CYCLE_1) | instskip(SKIP_1) | instid1(SALU_CYCLE_2)
	s_fmamk_f32 s0, s75, 0x4f800000, s0
	s_wait_alu 0xfffe
	v_s_rcp_f32 s0, s0
	s_delay_alu instid0(TRANS32_DEP_1) | instskip(SKIP_1) | instid1(SALU_CYCLE_2)
	s_mul_f32 s0, s0, 0x5f7ffffc
	s_wait_alu 0xfffe
	s_mul_f32 s75, s0, 0x2f800000
	s_wait_alu 0xfffe
	s_delay_alu instid0(SALU_CYCLE_2) | instskip(SKIP_1) | instid1(SALU_CYCLE_2)
	s_trunc_f32 s75, s75
	s_wait_alu 0xfffe
	s_fmamk_f32 s0, s75, 0xcf800000, s0
	s_cvt_u32_f32 s83, s75
	s_wait_alu 0xfffe
	s_delay_alu instid0(SALU_CYCLE_1) | instskip(NEXT) | instid1(SALU_CYCLE_3)
	s_cvt_u32_f32 s82, s0
	s_mul_u64 s[86:87], s[84:85], s[82:83]
	s_delay_alu instid0(SALU_CYCLE_1)
	s_mul_hi_u32 s89, s82, s87
	s_mul_i32 s88, s82, s87
	s_mul_hi_u32 s0, s82, s86
	s_mul_i32 s90, s83, s86
	s_wait_alu 0xfffe
	s_add_nc_u64 s[88:89], s[0:1], s[88:89]
	s_mul_hi_u32 s75, s83, s86
	s_mul_hi_u32 s91, s83, s87
	s_add_co_u32 s0, s88, s90
	s_wait_alu 0xfffe
	s_add_co_ci_u32 s0, s89, s75
	s_mul_i32 s86, s83, s87
	s_add_co_ci_u32 s87, s91, 0
	s_wait_alu 0xfffe
	s_add_nc_u64 s[86:87], s[0:1], s[86:87]
	s_delay_alu instid0(SALU_CYCLE_1) | instskip(SKIP_4) | instid1(SALU_CYCLE_1)
	s_add_co_u32 s82, s82, s86
	s_cselect_b32 s0, -1, 0
	s_wait_alu 0xfffe
	s_cmp_lg_u32 s0, 0
	s_add_co_ci_u32 s83, s83, s87
	s_mul_u64 s[84:85], s[84:85], s[82:83]
	s_delay_alu instid0(SALU_CYCLE_1)
	s_mul_hi_u32 s87, s82, s85
	s_mul_i32 s86, s82, s85
	s_mul_hi_u32 s0, s82, s84
	s_mul_i32 s88, s83, s84
	s_wait_alu 0xfffe
	s_add_nc_u64 s[86:87], s[0:1], s[86:87]
	s_mul_hi_u32 s75, s83, s84
	s_mul_hi_u32 s89, s83, s85
	s_add_co_u32 s0, s86, s88
	s_wait_alu 0xfffe
	s_add_co_ci_u32 s0, s87, s75
	s_mul_i32 s84, s83, s85
	s_add_co_ci_u32 s85, s89, 0
	s_wait_alu 0xfffe
	s_add_nc_u64 s[84:85], s[0:1], s[84:85]
	s_delay_alu instid0(SALU_CYCLE_1)
	s_add_co_u32 s0, s82, s84
	s_cselect_b32 s75, -1, 0
	s_wait_alu 0xfffe
	v_mul_hi_u32 v43, v2, s0
	s_cmp_lg_u32 s75, 0
	v_mad_co_u64_u32 v[39:40], null, v36, s0, 0
	s_add_co_ci_u32 s75, s83, s85
	s_wait_alu 0xfffe
	v_mad_co_u64_u32 v[25:26], null, v2, s75, 0
	v_mad_co_u64_u32 v[41:42], null, v36, s75, 0
	s_delay_alu instid0(VALU_DEP_2) | instskip(SKIP_1) | instid1(VALU_DEP_3)
	v_add_co_u32 v25, vcc_lo, v43, v25
	s_wait_alu 0xfffd
	v_add_co_ci_u32_e64 v26, null, 0, v26, vcc_lo
	s_delay_alu instid0(VALU_DEP_2) | instskip(SKIP_1) | instid1(VALU_DEP_2)
	v_add_co_u32 v25, vcc_lo, v25, v39
	s_wait_alu 0xfffd
	v_add_co_ci_u32_e32 v25, vcc_lo, v26, v40, vcc_lo
	s_wait_alu 0xfffd
	v_add_co_ci_u32_e32 v26, vcc_lo, 0, v42, vcc_lo
	s_delay_alu instid0(VALU_DEP_2) | instskip(SKIP_1) | instid1(VALU_DEP_2)
	v_add_co_u32 v39, vcc_lo, v25, v41
	s_wait_alu 0xfffd
	v_add_co_ci_u32_e64 v40, null, 0, v26, vcc_lo
	s_delay_alu instid0(VALU_DEP_2) | instskip(SKIP_1) | instid1(VALU_DEP_3)
	v_mul_lo_u32 v41, s77, v39
	v_mad_co_u64_u32 v[25:26], null, s76, v39, 0
	v_mul_lo_u32 v42, s76, v40
	s_delay_alu instid0(VALU_DEP_2) | instskip(NEXT) | instid1(VALU_DEP_2)
	v_sub_co_u32 v2, vcc_lo, v2, v25
	v_add3_u32 v26, v26, v42, v41
	s_delay_alu instid0(VALU_DEP_1) | instskip(SKIP_2) | instid1(VALU_DEP_2)
	v_sub_nc_u32_e32 v41, v36, v26
	s_wait_alu 0xfffd
	v_sub_co_ci_u32_e64 v26, null, v36, v26, vcc_lo
	v_subrev_co_ci_u32_e64 v25, null, s77, v41, vcc_lo
	v_add_co_u32 v41, s0, v39, 2
	s_wait_alu 0xf1ff
	v_add_co_ci_u32_e64 v42, null, 0, v40, s0
	v_sub_co_u32 v43, s0, v2, s76
	s_wait_alu 0xf1ff
	v_subrev_co_ci_u32_e64 v25, null, 0, v25, s0
	s_delay_alu instid0(VALU_DEP_2) | instskip(SKIP_2) | instid1(VALU_DEP_3)
	v_cmp_le_u32_e32 vcc_lo, s76, v43
	s_wait_alu 0xfffd
	v_cndmask_b32_e64 v36, 0, -1, vcc_lo
	v_cmp_le_u32_e32 vcc_lo, s77, v25
	s_wait_alu 0xfffd
	v_cndmask_b32_e64 v43, 0, -1, vcc_lo
	;; [unrolled: 3-line block ×4, first 2 shown]
	v_cmp_eq_u32_e32 vcc_lo, s77, v25
	s_wait_alu 0xfffd
	v_cndmask_b32_e32 v25, v43, v36, vcc_lo
	v_add_co_u32 v36, vcc_lo, v39, 1
	s_wait_alu 0xfffd
	v_add_co_ci_u32_e64 v43, null, 0, v40, vcc_lo
	v_cmp_eq_u32_e32 vcc_lo, s77, v26
	v_xor_b32_e32 v26, s74, v28
	s_wait_alu 0xfffd
	v_cndmask_b32_e32 v2, v44, v2, vcc_lo
	v_cmp_ne_u32_e32 vcc_lo, 0, v25
	s_delay_alu instid0(VALU_DEP_2) | instskip(SKIP_3) | instid1(VALU_DEP_1)
	v_cmp_ne_u32_e64 s0, 0, v2
	s_wait_alu 0xfffd
	v_dual_cndmask_b32 v25, v43, v42 :: v_dual_cndmask_b32 v2, v36, v41
	s_wait_alu 0xf1ff
	v_cndmask_b32_e64 v25, v40, v25, s0
	s_delay_alu instid0(VALU_DEP_2) | instskip(NEXT) | instid1(VALU_DEP_2)
	v_cndmask_b32_e64 v2, v39, v2, s0
	v_xor_b32_e32 v28, v25, v26
	s_delay_alu instid0(VALU_DEP_2) | instskip(NEXT) | instid1(VALU_DEP_1)
	v_xor_b32_e32 v2, v2, v26
	v_sub_co_u32 v25, vcc_lo, v2, v26
	s_wait_alu 0xfffd
	s_delay_alu instid0(VALU_DEP_3)
	v_sub_co_ci_u32_e64 v26, null, v28, v26, vcc_lo
	s_and_not1_saveexec_b32 s0, s81
	s_cbranch_execz .LBB11_65
.LBB11_68:                              ;   in Loop: Header=BB11_3 Depth=1
	v_cvt_f32_u32_e32 v2, s58
	s_sub_co_i32 s74, 0, s58
	s_delay_alu instid0(VALU_DEP_1) | instskip(NEXT) | instid1(TRANS32_DEP_1)
	v_rcp_iflag_f32_e32 v2, v2
	v_mul_f32_e32 v2, 0x4f7ffffe, v2
	s_delay_alu instid0(VALU_DEP_1) | instskip(SKIP_1) | instid1(VALU_DEP_1)
	v_cvt_u32_f32_e32 v2, v2
	s_wait_alu 0xfffe
	v_mul_lo_u32 v25, s74, v2
	s_delay_alu instid0(VALU_DEP_1) | instskip(NEXT) | instid1(VALU_DEP_1)
	v_mul_hi_u32 v25, v2, v25
	v_add_nc_u32_e32 v2, v2, v25
	s_delay_alu instid0(VALU_DEP_1) | instskip(NEXT) | instid1(VALU_DEP_1)
	v_mul_hi_u32 v2, v3, v2
	v_mul_lo_u32 v25, v2, s58
	v_add_nc_u32_e32 v26, 1, v2
	s_delay_alu instid0(VALU_DEP_2) | instskip(NEXT) | instid1(VALU_DEP_1)
	v_sub_nc_u32_e32 v25, v3, v25
	v_subrev_nc_u32_e32 v28, s58, v25
	v_cmp_le_u32_e32 vcc_lo, s58, v25
	s_wait_alu 0xfffd
	s_delay_alu instid0(VALU_DEP_2) | instskip(NEXT) | instid1(VALU_DEP_1)
	v_dual_cndmask_b32 v25, v25, v28 :: v_dual_cndmask_b32 v2, v2, v26
	v_cmp_le_u32_e32 vcc_lo, s58, v25
	s_delay_alu instid0(VALU_DEP_2) | instskip(SKIP_1) | instid1(VALU_DEP_1)
	v_add_nc_u32_e32 v26, 1, v2
	s_wait_alu 0xfffd
	v_dual_cndmask_b32 v25, v2, v26 :: v_dual_mov_b32 v26, v1
	s_or_b32 exec_lo, exec_lo, s0
	s_delay_alu instid0(SALU_CYCLE_1)
	s_and_not1_b32 vcc_lo, exec_lo, s33
	s_wait_alu 0xfffe
	s_cbranch_vccz .LBB11_66
.LBB11_69:                              ;   in Loop: Header=BB11_3 Depth=1
	v_dual_mov_b32 v36, 0 :: v_dual_mov_b32 v9, 0
	v_dual_mov_b32 v2, 0 :: v_dual_mov_b32 v39, 0
	;; [unrolled: 1-line block ×3, first 2 shown]
	v_mov_b32_e32 v28, 0
	v_mov_b32_e32 v40, 0
.LBB11_70:                              ;   in Loop: Header=BB11_3 Depth=1
	s_wait_loadcnt 0x6
	v_cvt_f32_f16_e32 v31, v31
	s_wait_loadcnt 0x2
	v_cvt_f32_f16_e32 v37, v37
	s_delay_alu instid0(VALU_DEP_1) | instskip(NEXT) | instid1(VALU_DEP_1)
	v_add_f32_e32 v31, v31, v37
	v_add_f32_e32 v28, v31, v28
	s_delay_alu instid0(VALU_DEP_1) | instskip(NEXT) | instid1(VALU_DEP_1)
	v_add_f32_e32 v2, v2, v28
                                        ; implicit-def: $vgpr28
	v_cmp_ngt_f32_e64 s0, 0x3f200000, |v2|
	s_and_saveexec_b32 s74, s0
	s_wait_alu 0xfffe
	s_xor_b32 s0, exec_lo, s74
	s_cbranch_execz .LBB11_72
; %bb.71:                               ;   in Loop: Header=BB11_3 Depth=1
	v_add_f32_e64 v28, |v2|, |v2|
	s_delay_alu instid0(VALU_DEP_1) | instskip(SKIP_1) | instid1(VALU_DEP_2)
	v_mul_f32_e32 v31, 0x3fb8aa3b, v28
	v_cmp_ngt_f32_e32 vcc_lo, 0xc2ce8ed0, v28
	v_rndne_f32_e32 v37, v31
	v_fma_f32 v42, 0x3fb8aa3b, v28, -v31
	s_delay_alu instid0(VALU_DEP_1) | instskip(SKIP_1) | instid1(VALU_DEP_2)
	v_dual_sub_f32 v31, v31, v37 :: v_dual_fmac_f32 v42, 0x32a5705f, v28
	v_cvt_i32_f32_e32 v37, v37
	v_add_f32_e32 v31, v31, v42
	s_delay_alu instid0(VALU_DEP_1) | instskip(NEXT) | instid1(TRANS32_DEP_1)
	v_exp_f32_e32 v31, v31
	v_ldexp_f32 v31, v31, v37
	s_wait_alu 0xfffd
	s_delay_alu instid0(VALU_DEP_1) | instskip(SKIP_2) | instid1(VALU_DEP_2)
	v_cndmask_b32_e32 v31, 0, v31, vcc_lo
	v_cmp_nlt_f32_e32 vcc_lo, 0x42b17218, v28
	s_wait_alu 0xfffd
	v_cndmask_b32_e32 v28, 0x7f800000, v31, vcc_lo
	s_delay_alu instid0(VALU_DEP_1) | instskip(NEXT) | instid1(VALU_DEP_1)
	v_add_f32_e32 v28, 1.0, v28
	v_rcp_f32_e32 v28, v28
	s_delay_alu instid0(TRANS32_DEP_1)
	v_fma_f32 v28, v28, -2.0, 1.0
.LBB11_72:                              ;   in Loop: Header=BB11_3 Depth=1
	s_wait_alu 0xfffe
	s_and_not1_saveexec_b32 s0, s0
	s_cbranch_execz .LBB11_74
; %bb.73:                               ;   in Loop: Header=BB11_3 Depth=1
	v_mul_f32_e32 v28, v2, v2
	s_delay_alu instid0(VALU_DEP_1) | instskip(NEXT) | instid1(VALU_DEP_1)
	v_fmaak_f32 v31, s79, v28, 0x3ca908c9
	v_fmaak_f32 v31, v28, v31, 0xbd5c1c4e
	s_delay_alu instid0(VALU_DEP_1) | instskip(NEXT) | instid1(VALU_DEP_1)
	v_fmaak_f32 v31, v28, v31, 0x3e088382
	v_fmaak_f32 v31, v28, v31, 0xbeaaaa99
	s_delay_alu instid0(VALU_DEP_1) | instskip(NEXT) | instid1(VALU_DEP_1)
	v_mul_f32_e64 v31, |v2|, v31
	v_fma_f32 v28, v28, v31, |v2|
.LBB11_74:                              ;   in Loop: Header=BB11_3 Depth=1
	s_wait_alu 0xfffe
	s_or_b32 exec_lo, exec_lo, s0
	v_cvt_f32_f16_e32 v29, v29
	v_cvt_f32_f16_e32 v31, v33
	;; [unrolled: 1-line block ×4, first 2 shown]
	v_bfi_b32 v2, 0x7fffffff, v28, v2
	s_delay_alu instid0(VALU_DEP_2) | instskip(NEXT) | instid1(VALU_DEP_1)
	v_dual_add_f32 v29, v29, v31 :: v_dual_add_f32 v30, v30, v33
	v_dual_add_f32 v29, v29, v41 :: v_dual_add_f32 v30, v30, v40
	s_delay_alu instid0(VALU_DEP_1) | instskip(NEXT) | instid1(VALU_DEP_1)
	v_dual_add_f32 v10, v10, v29 :: v_dual_add_f32 v9, v9, v30
	v_mul_f32_e32 v29, 0xbfb8aa3b, v10
	v_cmp_nlt_f32_e32 vcc_lo, 0x42ce8ed0, v10
	s_delay_alu instid0(VALU_DEP_3) | instskip(NEXT) | instid1(VALU_DEP_3)
	v_mul_f32_e32 v30, 0xbfb8aa3b, v9
	v_fma_f32 v31, 0xbfb8aa3b, v10, -v29
	v_rndne_f32_e32 v33, v29
	s_delay_alu instid0(VALU_DEP_3) | instskip(SKIP_1) | instid1(VALU_DEP_2)
	v_fma_f32 v34, 0xbfb8aa3b, v9, -v30
	v_rndne_f32_e32 v37, v30
	v_dual_fmac_f32 v31, 0xb2a5705f, v10 :: v_dual_fmac_f32 v34, 0xb2a5705f, v9
	s_delay_alu instid0(VALU_DEP_2) | instskip(NEXT) | instid1(VALU_DEP_1)
	v_sub_f32_e32 v30, v30, v37
	v_dual_sub_f32 v29, v29, v33 :: v_dual_add_f32 v30, v30, v34
	s_delay_alu instid0(VALU_DEP_1) | instskip(SKIP_2) | instid1(VALU_DEP_4)
	v_add_f32_e32 v29, v29, v31
	v_cvt_i32_f32_e32 v31, v33
	v_cvt_i32_f32_e32 v33, v37
	v_exp_f32_e32 v30, v30
	s_delay_alu instid0(VALU_DEP_3) | instskip(NEXT) | instid1(TRANS32_DEP_2)
	v_exp_f32_e32 v29, v29
	v_ldexp_f32 v30, v30, v33
	s_delay_alu instid0(TRANS32_DEP_1) | instskip(SKIP_1) | instid1(VALU_DEP_1)
	v_ldexp_f32 v29, v29, v31
	s_wait_alu 0xfffd
	v_cndmask_b32_e32 v29, 0, v29, vcc_lo
	v_cmp_nlt_f32_e32 vcc_lo, 0x42ce8ed0, v9
	s_wait_alu 0xfffd
	v_cndmask_b32_e32 v30, 0, v30, vcc_lo
	v_cmp_ngt_f32_e32 vcc_lo, 0xc2b17218, v10
	s_wait_alu 0xfffd
	v_cndmask_b32_e32 v10, 0x7f800000, v29, vcc_lo
	v_cmp_ngt_f32_e32 vcc_lo, 0xc2b17218, v9
	s_wait_alu 0xfffd
	v_cndmask_b32_e32 v9, 0x7f800000, v30, vcc_lo
	s_delay_alu instid0(VALU_DEP_1) | instskip(NEXT) | instid1(VALU_DEP_1)
	v_dual_add_f32 v10, 1.0, v10 :: v_dual_add_f32 v29, 1.0, v9
	v_div_scale_f32 v9, null, v10, v10, 1.0
	v_div_scale_f32 v40, vcc_lo, 1.0, v10, 1.0
	s_delay_alu instid0(VALU_DEP_3) | instskip(NEXT) | instid1(VALU_DEP_3)
	v_div_scale_f32 v30, null, v29, v29, 1.0
	v_rcp_f32_e32 v31, v9
	s_delay_alu instid0(VALU_DEP_1) | instskip(NEXT) | instid1(TRANS32_DEP_2)
	v_rcp_f32_e32 v33, v30
	v_fma_f32 v34, -v9, v31, 1.0
	s_delay_alu instid0(TRANS32_DEP_1) | instskip(NEXT) | instid1(VALU_DEP_2)
	v_fma_f32 v37, -v30, v33, 1.0
	v_fmac_f32_e32 v31, v34, v31
	v_div_scale_f32 v34, s0, 1.0, v29, 1.0
	s_delay_alu instid0(VALU_DEP_3) | instskip(NEXT) | instid1(VALU_DEP_3)
	v_fmac_f32_e32 v33, v37, v33
	v_mul_f32_e32 v37, v40, v31
	s_delay_alu instid0(VALU_DEP_2) | instskip(NEXT) | instid1(VALU_DEP_2)
	v_mul_f32_e32 v41, v34, v33
	v_fma_f32 v42, -v9, v37, v40
	s_delay_alu instid0(VALU_DEP_2) | instskip(NEXT) | instid1(VALU_DEP_2)
	v_fma_f32 v43, -v30, v41, v34
	v_fmac_f32_e32 v37, v42, v31
	s_delay_alu instid0(VALU_DEP_2) | instskip(NEXT) | instid1(VALU_DEP_2)
	v_fmac_f32_e32 v41, v43, v33
	v_fma_f32 v9, -v9, v37, v40
	s_delay_alu instid0(VALU_DEP_2) | instskip(SKIP_1) | instid1(VALU_DEP_2)
	v_fma_f32 v30, -v30, v41, v34
	s_wait_alu 0xfffd
	v_div_fmas_f32 v9, v9, v31, v37
	s_mov_b32 vcc_lo, s0
	s_wait_alu 0xfffe
	v_div_fmas_f32 v30, v30, v33, v41
	s_delay_alu instid0(VALU_DEP_2) | instskip(NEXT) | instid1(VALU_DEP_2)
	v_div_fixup_f32 v9, v9, v10, 1.0
	v_div_fixup_f32 v10, v30, v29, 1.0
                                        ; implicit-def: $vgpr29
	s_delay_alu instid0(VALU_DEP_2) | instskip(SKIP_1) | instid1(VALU_DEP_1)
	v_mul_f32_e32 v28, v9, v2
	s_wait_loadcnt 0x0
	v_fma_mix_f32 v28, v10, v35, v28 op_sel_hi:[0,1,0]
	s_delay_alu instid0(VALU_DEP_1)
	v_cmp_ngt_f32_e64 s0, 0x3f200000, |v28|
	s_and_saveexec_b32 s74, s0
	s_wait_alu 0xfffe
	s_xor_b32 s0, exec_lo, s74
	s_cbranch_execz .LBB11_76
; %bb.75:                               ;   in Loop: Header=BB11_3 Depth=1
	v_add_f32_e64 v29, |v28|, |v28|
	s_delay_alu instid0(VALU_DEP_1) | instskip(SKIP_1) | instid1(VALU_DEP_2)
	v_mul_f32_e32 v30, 0x3fb8aa3b, v29
	v_cmp_ngt_f32_e32 vcc_lo, 0xc2ce8ed0, v29
	v_rndne_f32_e32 v31, v30
	v_fma_f32 v33, 0x3fb8aa3b, v29, -v30
	s_delay_alu instid0(VALU_DEP_1) | instskip(SKIP_1) | instid1(VALU_DEP_2)
	v_dual_sub_f32 v30, v30, v31 :: v_dual_fmac_f32 v33, 0x32a5705f, v29
	v_cvt_i32_f32_e32 v31, v31
	v_add_f32_e32 v30, v30, v33
	s_delay_alu instid0(VALU_DEP_1) | instskip(NEXT) | instid1(TRANS32_DEP_1)
	v_exp_f32_e32 v30, v30
	v_ldexp_f32 v30, v30, v31
	s_wait_alu 0xfffd
	s_delay_alu instid0(VALU_DEP_1) | instskip(SKIP_2) | instid1(VALU_DEP_2)
	v_cndmask_b32_e32 v30, 0, v30, vcc_lo
	v_cmp_nlt_f32_e32 vcc_lo, 0x42b17218, v29
	s_wait_alu 0xfffd
	v_cndmask_b32_e32 v29, 0x7f800000, v30, vcc_lo
	s_delay_alu instid0(VALU_DEP_1) | instskip(NEXT) | instid1(VALU_DEP_1)
	v_add_f32_e32 v29, 1.0, v29
	v_rcp_f32_e32 v29, v29
	s_delay_alu instid0(TRANS32_DEP_1)
	v_fma_f32 v29, v29, -2.0, 1.0
.LBB11_76:                              ;   in Loop: Header=BB11_3 Depth=1
	s_wait_alu 0xfffe
	s_and_not1_saveexec_b32 s0, s0
	s_cbranch_execz .LBB11_2
; %bb.77:                               ;   in Loop: Header=BB11_3 Depth=1
	v_mul_f32_e32 v29, v28, v28
	s_delay_alu instid0(VALU_DEP_1) | instskip(NEXT) | instid1(VALU_DEP_1)
	v_fmaak_f32 v30, s79, v29, 0x3ca908c9
	v_fmaak_f32 v30, v29, v30, 0xbd5c1c4e
	s_delay_alu instid0(VALU_DEP_1) | instskip(NEXT) | instid1(VALU_DEP_1)
	v_fmaak_f32 v30, v29, v30, 0x3e088382
	v_fmaak_f32 v30, v29, v30, 0xbeaaaa99
	s_delay_alu instid0(VALU_DEP_1) | instskip(NEXT) | instid1(VALU_DEP_1)
	v_mul_f32_e64 v30, |v28|, v30
	v_fma_f32 v29, v29, v30, |v28|
	s_branch .LBB11_2
.LBB11_78:
	s_endpgm
	.section	.rodata,"a",@progbits
	.p2align	6, 0x0
	.amdhsa_kernel _ZN2at6native12_GLOBAL__N_16kernel17lstm_cell_forwardIN3c104HalfEflLi2EEEvNS_4cuda6detail10TensorInfoIT_T1_EESB_SB_SB_SB_SB_SB_SB_SA_SA_
		.amdhsa_group_segment_fixed_size 0
		.amdhsa_private_segment_fixed_size 0
		.amdhsa_kernarg_size 3600
		.amdhsa_user_sgpr_count 2
		.amdhsa_user_sgpr_dispatch_ptr 0
		.amdhsa_user_sgpr_queue_ptr 0
		.amdhsa_user_sgpr_kernarg_segment_ptr 1
		.amdhsa_user_sgpr_dispatch_id 0
		.amdhsa_user_sgpr_private_segment_size 0
		.amdhsa_wavefront_size32 1
		.amdhsa_uses_dynamic_stack 0
		.amdhsa_enable_private_segment 0
		.amdhsa_system_sgpr_workgroup_id_x 1
		.amdhsa_system_sgpr_workgroup_id_y 0
		.amdhsa_system_sgpr_workgroup_id_z 0
		.amdhsa_system_sgpr_workgroup_info 0
		.amdhsa_system_vgpr_workitem_id 0
		.amdhsa_next_free_vgpr 57
		.amdhsa_next_free_sgpr 92
		.amdhsa_reserve_vcc 1
		.amdhsa_float_round_mode_32 0
		.amdhsa_float_round_mode_16_64 0
		.amdhsa_float_denorm_mode_32 3
		.amdhsa_float_denorm_mode_16_64 3
		.amdhsa_fp16_overflow 0
		.amdhsa_workgroup_processor_mode 1
		.amdhsa_memory_ordered 1
		.amdhsa_forward_progress 1
		.amdhsa_inst_pref_size 167
		.amdhsa_round_robin_scheduling 0
		.amdhsa_exception_fp_ieee_invalid_op 0
		.amdhsa_exception_fp_denorm_src 0
		.amdhsa_exception_fp_ieee_div_zero 0
		.amdhsa_exception_fp_ieee_overflow 0
		.amdhsa_exception_fp_ieee_underflow 0
		.amdhsa_exception_fp_ieee_inexact 0
		.amdhsa_exception_int_div_zero 0
	.end_amdhsa_kernel
	.section	.text._ZN2at6native12_GLOBAL__N_16kernel17lstm_cell_forwardIN3c104HalfEflLi2EEEvNS_4cuda6detail10TensorInfoIT_T1_EESB_SB_SB_SB_SB_SB_SB_SA_SA_,"axG",@progbits,_ZN2at6native12_GLOBAL__N_16kernel17lstm_cell_forwardIN3c104HalfEflLi2EEEvNS_4cuda6detail10TensorInfoIT_T1_EESB_SB_SB_SB_SB_SB_SB_SA_SA_,comdat
.Lfunc_end11:
	.size	_ZN2at6native12_GLOBAL__N_16kernel17lstm_cell_forwardIN3c104HalfEflLi2EEEvNS_4cuda6detail10TensorInfoIT_T1_EESB_SB_SB_SB_SB_SB_SB_SA_SA_, .Lfunc_end11-_ZN2at6native12_GLOBAL__N_16kernel17lstm_cell_forwardIN3c104HalfEflLi2EEEvNS_4cuda6detail10TensorInfoIT_T1_EESB_SB_SB_SB_SB_SB_SB_SA_SA_
                                        ; -- End function
	.set _ZN2at6native12_GLOBAL__N_16kernel17lstm_cell_forwardIN3c104HalfEflLi2EEEvNS_4cuda6detail10TensorInfoIT_T1_EESB_SB_SB_SB_SB_SB_SB_SA_SA_.num_vgpr, 57
	.set _ZN2at6native12_GLOBAL__N_16kernel17lstm_cell_forwardIN3c104HalfEflLi2EEEvNS_4cuda6detail10TensorInfoIT_T1_EESB_SB_SB_SB_SB_SB_SB_SA_SA_.num_agpr, 0
	.set _ZN2at6native12_GLOBAL__N_16kernel17lstm_cell_forwardIN3c104HalfEflLi2EEEvNS_4cuda6detail10TensorInfoIT_T1_EESB_SB_SB_SB_SB_SB_SB_SA_SA_.numbered_sgpr, 92
	.set _ZN2at6native12_GLOBAL__N_16kernel17lstm_cell_forwardIN3c104HalfEflLi2EEEvNS_4cuda6detail10TensorInfoIT_T1_EESB_SB_SB_SB_SB_SB_SB_SA_SA_.num_named_barrier, 0
	.set _ZN2at6native12_GLOBAL__N_16kernel17lstm_cell_forwardIN3c104HalfEflLi2EEEvNS_4cuda6detail10TensorInfoIT_T1_EESB_SB_SB_SB_SB_SB_SB_SA_SA_.private_seg_size, 0
	.set _ZN2at6native12_GLOBAL__N_16kernel17lstm_cell_forwardIN3c104HalfEflLi2EEEvNS_4cuda6detail10TensorInfoIT_T1_EESB_SB_SB_SB_SB_SB_SB_SA_SA_.uses_vcc, 1
	.set _ZN2at6native12_GLOBAL__N_16kernel17lstm_cell_forwardIN3c104HalfEflLi2EEEvNS_4cuda6detail10TensorInfoIT_T1_EESB_SB_SB_SB_SB_SB_SB_SA_SA_.uses_flat_scratch, 0
	.set _ZN2at6native12_GLOBAL__N_16kernel17lstm_cell_forwardIN3c104HalfEflLi2EEEvNS_4cuda6detail10TensorInfoIT_T1_EESB_SB_SB_SB_SB_SB_SB_SA_SA_.has_dyn_sized_stack, 0
	.set _ZN2at6native12_GLOBAL__N_16kernel17lstm_cell_forwardIN3c104HalfEflLi2EEEvNS_4cuda6detail10TensorInfoIT_T1_EESB_SB_SB_SB_SB_SB_SB_SA_SA_.has_recursion, 0
	.set _ZN2at6native12_GLOBAL__N_16kernel17lstm_cell_forwardIN3c104HalfEflLi2EEEvNS_4cuda6detail10TensorInfoIT_T1_EESB_SB_SB_SB_SB_SB_SB_SA_SA_.has_indirect_call, 0
	.section	.AMDGPU.csdata,"",@progbits
; Kernel info:
; codeLenInByte = 21340
; TotalNumSgprs: 94
; NumVgprs: 57
; ScratchSize: 0
; MemoryBound: 0
; FloatMode: 240
; IeeeMode: 1
; LDSByteSize: 0 bytes/workgroup (compile time only)
; SGPRBlocks: 0
; VGPRBlocks: 7
; NumSGPRsForWavesPerEU: 94
; NumVGPRsForWavesPerEU: 57
; Occupancy: 16
; WaveLimiterHint : 1
; COMPUTE_PGM_RSRC2:SCRATCH_EN: 0
; COMPUTE_PGM_RSRC2:USER_SGPR: 2
; COMPUTE_PGM_RSRC2:TRAP_HANDLER: 0
; COMPUTE_PGM_RSRC2:TGID_X_EN: 1
; COMPUTE_PGM_RSRC2:TGID_Y_EN: 0
; COMPUTE_PGM_RSRC2:TGID_Z_EN: 0
; COMPUTE_PGM_RSRC2:TIDIG_COMP_CNT: 0
	.section	.text._ZN2at6native12_GLOBAL__N_16kernel17lstm_cell_forwardIN3c108BFloat16EfiLi1EEEvNS_4cuda6detail10TensorInfoIT_T1_EESB_SB_SB_SB_SB_SB_SB_SA_SA_,"axG",@progbits,_ZN2at6native12_GLOBAL__N_16kernel17lstm_cell_forwardIN3c108BFloat16EfiLi1EEEvNS_4cuda6detail10TensorInfoIT_T1_EESB_SB_SB_SB_SB_SB_SB_SA_SA_,comdat
	.globl	_ZN2at6native12_GLOBAL__N_16kernel17lstm_cell_forwardIN3c108BFloat16EfiLi1EEEvNS_4cuda6detail10TensorInfoIT_T1_EESB_SB_SB_SB_SB_SB_SB_SA_SA_ ; -- Begin function _ZN2at6native12_GLOBAL__N_16kernel17lstm_cell_forwardIN3c108BFloat16EfiLi1EEEvNS_4cuda6detail10TensorInfoIT_T1_EESB_SB_SB_SB_SB_SB_SB_SA_SA_
	.p2align	8
	.type	_ZN2at6native12_GLOBAL__N_16kernel17lstm_cell_forwardIN3c108BFloat16EfiLi1EEEvNS_4cuda6detail10TensorInfoIT_T1_EESB_SB_SB_SB_SB_SB_SB_SA_SA_,@function
_ZN2at6native12_GLOBAL__N_16kernel17lstm_cell_forwardIN3c108BFloat16EfiLi1EEEvNS_4cuda6detail10TensorInfoIT_T1_EESB_SB_SB_SB_SB_SB_SB_SA_SA_: ; @_ZN2at6native12_GLOBAL__N_16kernel17lstm_cell_forwardIN3c108BFloat16EfiLi1EEEvNS_4cuda6detail10TensorInfoIT_T1_EESB_SB_SB_SB_SB_SB_SB_SA_SA_
; %bb.0:
	s_clause 0x1
	s_load_b32 s4, s[0:1], 0x6d4
	s_load_b64 s[2:3], s[0:1], 0x6c0
	s_wait_kmcnt 0x0
	s_and_b32 s28, s4, 0xffff
	s_mov_b32 s4, exec_lo
	v_mad_co_u64_u32 v[0:1], null, ttmp9, s28, v[0:1]
	s_delay_alu instid0(VALU_DEP_1)
	v_cmpx_gt_i32_e64 s3, v0
	s_cbranch_execz .LBB12_14
; %bb.1:
	s_clause 0x1
	s_load_b64 s[4:5], s[0:1], 0x1b0
	s_load_b32 s34, s[0:1], 0x57c
	s_add_nc_u64 s[8:9], s[0:1], 0x6c8
	s_clause 0x4
	s_load_b32 s20, s[0:1], 0x21c
	s_load_b64 s[6:7], s[0:1], 0x288
	s_load_b32 s21, s[0:1], 0x2f4
	s_load_b32 s31, s[0:1], 0x3cc
	s_load_b32 s33, s[0:1], 0x4a4
	s_load_b32 s29, s[8:9], 0x0
	s_mov_b32 s26, 0
	s_mul_i32 s27, s2, 3
	s_mov_b32 s36, 0xbbbac73d
	s_wait_kmcnt 0x0
	s_cmp_lg_u64 s[4:5], 0
	v_mul_lo_u32 v5, v0, s34
	s_cselect_b32 s22, -1, 0
	s_abs_i32 s23, s2
	v_mul_lo_u32 v3, v0, s33
	s_cvt_f32_u32 s10, s23
	s_sub_co_i32 s35, 0, s23
	s_mul_i32 s28, s29, s28
	s_ashr_i32 s29, s2, 31
	v_rcp_iflag_f32_e32 v1, s10
	s_clause 0x8
	s_load_b64 s[8:9], s[0:1], 0x360
	s_load_b64 s[10:11], s[0:1], 0x438
	;; [unrolled: 1-line block ×3, first 2 shown]
	s_load_b32 s24, s[0:1], 0x6c
	s_load_b64 s[14:15], s[0:1], 0xd8
	s_load_b32 s25, s[0:1], 0x144
	s_load_b64 s[16:17], s[0:1], 0x510
	s_load_b64 s[18:19], s[0:1], 0x5e8
	s_load_b32 s1, s[0:1], 0x654
	s_sub_co_i32 s30, 0, s2
	s_mul_i32 s33, s28, s33
	s_mul_i32 s34, s28, s34
	v_readfirstlane_b32 s0, v1
	v_mul_lo_u32 v1, v0, s31
	s_mul_i32 s31, s28, s31
	s_mul_f32 s0, s0, 0x4f7ffffe
	s_wait_alu 0xfffe
	s_delay_alu instid0(SALU_CYCLE_2) | instskip(SKIP_1) | instid1(SALU_CYCLE_2)
	s_cvt_u32_f32 s0, s0
	s_wait_alu 0xfffe
	s_mul_i32 s35, s35, s0
	s_wait_alu 0xfffe
	s_mul_hi_u32 s35, s0, s35
	s_wait_alu 0xfffe
	s_add_co_i32 s35, s0, s35
	s_branch .LBB12_3
.LBB12_2:                               ;   in Loop: Header=BB12_3 Depth=1
	s_wait_alu 0xfffe
	s_or_b32 exec_lo, exec_lo, s0
	v_lshlrev_b32_e32 v4, 16, v4
	v_lshlrev_b32_e32 v7, 16, v7
	v_mul_lo_u32 v17, v8, s1
	v_bfe_u32 v8, v9, 16, 1
	v_mul_lo_u32 v19, v6, s1
	v_ashrrev_i32_e32 v6, 31, v5
	v_add_f32_e32 v4, v4, v7
	v_bfe_u32 v18, v14, 16, 1
	v_bfe_u32 v20, v11, 16, 1
	v_add_nc_u32_e32 v1, s31, v1
	v_lshlrev_b64_e32 v[23:24], 1, v[5:6]
	v_add_f32_e32 v4, v4, v15
	v_add3_u32 v26, v14, v18, 0x7fff
	v_add3_u32 v27, v11, v20, 0x7fff
	v_ashrrev_i32_e32 v18, 31, v17
	v_ashrrev_i32_e32 v20, 31, v19
	v_add_f32_e32 v4, v13, v4
	v_lshrrev_b32_e32 v26, 16, v26
	v_lshrrev_b32_e32 v27, 16, v27
	v_lshlrev_b64_e32 v[17:18], 1, v[17:18]
	v_lshlrev_b64_e32 v[19:20], 1, v[19:20]
	v_mul_f32_e32 v7, 0xbfb8aa3b, v4
	v_cmp_nlt_f32_e32 vcc_lo, 0x42ce8ed0, v4
	v_add_nc_u32_e32 v5, s34, v5
	s_delay_alu instid0(VALU_DEP_3) | instskip(SKIP_1) | instid1(VALU_DEP_2)
	v_fma_f32 v13, 0xbfb8aa3b, v4, -v7
	v_rndne_f32_e32 v15, v7
	v_fmac_f32_e32 v13, 0xb2a5705f, v4
	s_delay_alu instid0(VALU_DEP_2) | instskip(NEXT) | instid1(VALU_DEP_1)
	v_sub_f32_e32 v7, v7, v15
	v_add_f32_e32 v7, v7, v13
	v_cvt_i32_f32_e32 v13, v15
	v_mul_lo_u32 v15, v2, s1
	s_delay_alu instid0(VALU_DEP_3) | instskip(NEXT) | instid1(TRANS32_DEP_1)
	v_exp_f32_e32 v7, v7
	v_ldexp_f32 v7, v7, v13
	v_bfi_b32 v13, 0x7fffffff, v16, v9
	v_bfe_u32 v16, v12, 16, 1
	s_wait_alu 0xfffd
	s_delay_alu instid0(VALU_DEP_3) | instskip(SKIP_1) | instid1(VALU_DEP_3)
	v_cndmask_b32_e32 v7, 0, v7, vcc_lo
	v_cmp_ngt_f32_e32 vcc_lo, 0xc2b17218, v4
	v_add3_u32 v6, v12, v16, 0x7fff
	v_ashrrev_i32_e32 v16, 31, v15
	s_wait_alu 0xfffd
	v_cndmask_b32_e32 v4, 0x7f800000, v7, vcc_lo
	v_mul_lo_u32 v7, v10, s1
	v_lshrrev_b32_e32 v31, 16, v6
	v_lshlrev_b64_e32 v[15:16], 1, v[15:16]
	s_delay_alu instid0(VALU_DEP_4) | instskip(SKIP_1) | instid1(VALU_DEP_2)
	v_add_f32_e32 v10, 1.0, v4
	v_ashrrev_i32_e32 v4, 31, v3
	v_div_scale_f32 v2, null, v10, v10, 1.0
	s_delay_alu instid0(VALU_DEP_2) | instskip(SKIP_2) | instid1(VALU_DEP_4)
	v_lshlrev_b64_e32 v[21:22], 1, v[3:4]
	v_add3_u32 v4, v9, v8, 0x7fff
	v_div_scale_f32 v28, vcc_lo, 1.0, v10, 1.0
	v_rcp_f32_e32 v25, v2
	v_add_nc_u32_e32 v3, s33, v3
	s_delay_alu instid0(VALU_DEP_3) | instskip(NEXT) | instid1(TRANS32_DEP_1)
	v_lshrrev_b32_e32 v4, 16, v4
	v_fma_f32 v8, -v2, v25, 1.0
	s_delay_alu instid0(VALU_DEP_1) | instskip(SKIP_1) | instid1(VALU_DEP_2)
	v_dual_fmac_f32 v25, v8, v25 :: v_dual_add_nc_u32 v0, s28, v0
	v_ashrrev_i32_e32 v8, 31, v7
	v_mul_f32_e32 v29, v28, v25
	s_delay_alu instid0(VALU_DEP_3) | instskip(NEXT) | instid1(VALU_DEP_3)
	v_cmp_le_i32_e64 s0, s3, v0
	v_lshlrev_b64_e32 v[6:7], 1, v[7:8]
	s_delay_alu instid0(VALU_DEP_3)
	v_fma_f32 v30, -v2, v29, v28
	s_or_b32 s26, s0, s26
	v_add_co_u32 v21, s0, s10, v21
	s_wait_alu 0xf1ff
	v_add_co_ci_u32_e64 v22, null, s11, v22, s0
	v_fmac_f32_e32 v29, v30, v25
	v_add_co_u32 v23, s0, s16, v23
	s_wait_alu 0xf1ff
	v_add_co_ci_u32_e64 v24, null, s17, v24, s0
	s_delay_alu instid0(VALU_DEP_3) | instskip(SKIP_1) | instid1(VALU_DEP_1)
	v_fma_f32 v2, -v2, v29, v28
	s_wait_alu 0xfffd
	v_div_fmas_f32 v2, v2, v25, v29
	v_cmp_o_f32_e32 vcc_lo, v9, v9
	s_delay_alu instid0(VALU_DEP_2) | instskip(SKIP_3) | instid1(VALU_DEP_3)
	v_div_fixup_f32 v2, v2, v10, 1.0
	s_wait_alu 0xfffd
	v_cndmask_b32_e32 v4, 0x7fc0, v4, vcc_lo
	v_cmp_o_f32_e32 vcc_lo, v12, v12
	v_mul_f32_e32 v12, v2, v13
	v_bfe_u32 v10, v2, 16, 1
	s_wait_alu 0xfffd
	v_cndmask_b32_e32 v25, 0x7fc0, v31, vcc_lo
	v_cmp_o_f32_e32 vcc_lo, v14, v14
	v_bfe_u32 v8, v12, 16, 1
	v_add3_u32 v13, v2, v10, 0x7fff
	s_wait_alu 0xfffd
	v_cndmask_b32_e32 v14, 0x7fc0, v26, vcc_lo
	v_cmp_o_f32_e32 vcc_lo, v11, v11
	v_add3_u32 v11, v12, v8, 0x7fff
	s_wait_alu 0xfffd
	v_cndmask_b32_e32 v26, 0x7fc0, v27, vcc_lo
	v_add_co_u32 v6, vcc_lo, s18, v6
	s_wait_alu 0xfffd
	v_add_co_ci_u32_e64 v7, null, s19, v7, vcc_lo
	v_add_co_u32 v8, vcc_lo, s18, v15
	s_wait_alu 0xfffd
	v_add_co_ci_u32_e64 v9, null, s19, v16, vcc_lo
	v_add_co_u32 v10, vcc_lo, s18, v17
	v_lshrrev_b32_e32 v15, 16, v11
	s_wait_alu 0xfffd
	v_add_co_ci_u32_e64 v11, null, s19, v18, vcc_lo
	v_cmp_o_f32_e32 vcc_lo, v12, v12
	v_lshrrev_b32_e32 v16, 16, v13
	s_wait_alu 0xfffd
	v_cndmask_b32_e32 v15, 0x7fc0, v15, vcc_lo
	v_add_co_u32 v12, vcc_lo, s18, v19
	s_wait_alu 0xfffd
	v_add_co_ci_u32_e64 v13, null, s19, v20, vcc_lo
	v_cmp_o_f32_e32 vcc_lo, v2, v2
	s_wait_alu 0xfffd
	v_cndmask_b32_e32 v2, 0x7fc0, v16, vcc_lo
	global_store_b16 v[21:22], v15, off
	global_store_b16 v[23:24], v4, off
	s_clause 0x3
	global_store_b16 v[6:7], v25, off
	global_store_b16 v[8:9], v14, off
	;; [unrolled: 1-line block ×4, first 2 shown]
	s_wait_alu 0xfffe
	s_and_not1_b32 exec_lo, exec_lo, s26
	s_cbranch_execz .LBB12_14
.LBB12_3:                               ; =>This Inner Loop Header: Depth=1
	v_sub_nc_u32_e32 v2, 0, v0
	s_delay_alu instid0(VALU_DEP_1) | instskip(SKIP_1) | instid1(VALU_DEP_1)
	v_max_i32_e32 v2, v0, v2
	s_wait_alu 0xfffe
	v_mul_hi_u32 v4, v2, s35
	s_delay_alu instid0(VALU_DEP_1) | instskip(NEXT) | instid1(VALU_DEP_1)
	v_mul_lo_u32 v6, v4, s23
	v_sub_nc_u32_e32 v2, v2, v6
	v_add_nc_u32_e32 v6, 1, v4
	s_delay_alu instid0(VALU_DEP_2) | instskip(SKIP_2) | instid1(VALU_DEP_3)
	v_subrev_nc_u32_e32 v7, s23, v2
	v_cmp_le_u32_e32 vcc_lo, s23, v2
	s_wait_alu 0xfffd
	v_cndmask_b32_e32 v4, v4, v6, vcc_lo
	s_delay_alu instid0(VALU_DEP_3) | instskip(SKIP_1) | instid1(VALU_DEP_3)
	v_cndmask_b32_e32 v2, v2, v7, vcc_lo
	v_ashrrev_i32_e32 v6, 31, v0
	v_add_nc_u32_e32 v7, 1, v4
	s_delay_alu instid0(VALU_DEP_3) | instskip(NEXT) | instid1(VALU_DEP_3)
	v_cmp_le_u32_e32 vcc_lo, s23, v2
	v_xor_b32_e32 v13, s29, v6
	s_wait_alu 0xfffd
	s_delay_alu instid0(VALU_DEP_3) | instskip(NEXT) | instid1(VALU_DEP_2)
	v_cndmask_b32_e32 v2, v4, v7, vcc_lo
	v_mul_i32_i24_e32 v4, 3, v13
	s_delay_alu instid0(VALU_DEP_2) | instskip(SKIP_1) | instid1(VALU_DEP_2)
	v_xor_b32_e32 v15, v2, v13
	v_ashrrev_i32_e32 v2, 31, v1
	v_lshl_add_u32 v6, v15, 1, v15
	v_sub_nc_u32_e32 v19, v15, v13
	s_delay_alu instid0(VALU_DEP_2) | instskip(NEXT) | instid1(VALU_DEP_2)
	v_sub_nc_u32_e32 v4, v6, v4
	v_mad_co_u64_u32 v[10:11], null, s27, v19, v[0:1]
	v_lshlrev_b64_e32 v[11:12], 1, v[1:2]
	s_delay_alu instid0(VALU_DEP_3)
	v_mul_lo_u32 v2, s2, v4
	v_add_nc_u32_e32 v6, 2, v4
	v_add_nc_u32_e32 v4, 3, v4
	s_wait_kmcnt 0x0
	v_mul_lo_u32 v16, v10, s24
	v_mul_lo_u32 v20, v10, s25
	v_mad_co_u64_u32 v[8:9], null, s2, v6, v[0:1]
	v_add3_u32 v2, v2, s2, v0
	v_mad_co_u64_u32 v[6:7], null, s2, v4, v[0:1]
	v_add_co_u32 v22, vcc_lo, s8, v11
	s_delay_alu instid0(VALU_DEP_3)
	v_mul_lo_u32 v11, v2, s24
	v_mul_lo_u32 v24, v8, s24
	v_ashrrev_i32_e32 v17, 31, v16
	v_ashrrev_i32_e32 v21, 31, v20
	v_mul_lo_u32 v26, v6, s24
	v_mul_lo_u32 v28, v2, s25
	s_wait_alu 0xfffd
	v_add_co_ci_u32_e64 v23, null, s9, v12, vcc_lo
	v_mul_lo_u32 v30, v8, s25
	v_ashrrev_i32_e32 v12, 31, v11
	v_lshlrev_b64_e32 v[16:17], 1, v[16:17]
	v_mul_lo_u32 v32, v6, s25
	v_ashrrev_i32_e32 v25, 31, v24
	v_lshlrev_b64_e32 v[20:21], 1, v[20:21]
	v_ashrrev_i32_e32 v27, 31, v26
	v_lshlrev_b64_e32 v[11:12], 1, v[11:12]
	v_ashrrev_i32_e32 v29, 31, v28
	v_add_co_u32 v16, vcc_lo, s12, v16
	v_lshlrev_b64_e32 v[24:25], 1, v[24:25]
	v_ashrrev_i32_e32 v31, 31, v30
	s_wait_alu 0xfffd
	v_add_co_ci_u32_e64 v17, null, s13, v17, vcc_lo
	v_add_co_u32 v20, vcc_lo, s14, v20
	v_lshlrev_b64_e32 v[26:27], 1, v[26:27]
	v_ashrrev_i32_e32 v33, 31, v32
	s_wait_alu 0xfffd
	v_add_co_ci_u32_e64 v21, null, s15, v21, vcc_lo
	v_lshlrev_b64_e32 v[28:29], 1, v[28:29]
	v_add_co_u32 v11, vcc_lo, s12, v11
	v_lshlrev_b64_e32 v[30:31], 1, v[30:31]
	s_wait_alu 0xfffd
	v_add_co_ci_u32_e64 v12, null, s13, v12, vcc_lo
	v_add_co_u32 v24, vcc_lo, s12, v24
	v_lshlrev_b64_e32 v[32:33], 1, v[32:33]
	s_wait_alu 0xfffd
	v_add_co_ci_u32_e64 v25, null, s13, v25, vcc_lo
	v_add_co_u32 v26, vcc_lo, s12, v26
	s_wait_alu 0xfffd
	v_add_co_ci_u32_e64 v27, null, s13, v27, vcc_lo
	v_add_co_u32 v28, vcc_lo, s14, v28
	;; [unrolled: 3-line block ×4, first 2 shown]
	s_wait_alu 0xfffd
	v_add_co_ci_u32_e64 v33, null, s15, v33, vcc_lo
	s_clause 0x3
	global_load_u16 v14, v[16:17], off
	global_load_u16 v11, v[11:12], off
	;; [unrolled: 1-line block ×4, first 2 shown]
	s_clause 0x3
	global_load_u16 v16, v[20:21], off
	global_load_u16 v12, v[28:29], off
	;; [unrolled: 1-line block ×5, first 2 shown]
	s_and_not1_b32 vcc_lo, exec_lo, s22
	s_wait_alu 0xfffe
	s_cbranch_vccnz .LBB12_5
; %bb.4:                                ;   in Loop: Header=BB12_3 Depth=1
	v_sub_nc_u32_e32 v13, v13, v15
	v_mad_co_u64_u32 v[19:20], null, s30, v19, v[0:1]
	s_delay_alu instid0(VALU_DEP_2) | instskip(SKIP_2) | instid1(VALU_DEP_4)
	v_mul_lo_u32 v15, s2, v13
	v_add_nc_u32_e32 v21, 2, v13
	v_add_nc_u32_e32 v13, 3, v13
	v_mul_lo_u32 v20, v19, s20
	s_delay_alu instid0(VALU_DEP_3) | instskip(SKIP_1) | instid1(VALU_DEP_4)
	v_mad_co_u64_u32 v[22:23], null, s2, v21, v[0:1]
	v_add3_u32 v15, v15, s2, v0
	v_mad_co_u64_u32 v[23:24], null, s2, v13, v[0:1]
	v_mul_lo_u32 v24, v19, s21
	v_ashrrev_i32_e32 v21, 31, v20
	s_delay_alu instid0(VALU_DEP_4)
	v_mul_lo_u32 v26, v15, s20
	v_mul_lo_u32 v19, v22, s20
	;; [unrolled: 1-line block ×4, first 2 shown]
	v_lshlrev_b64_e32 v[30:31], 1, v[20:21]
	v_mul_lo_u32 v21, v15, s21
	v_ashrrev_i32_e32 v25, 31, v24
	v_ashrrev_i32_e32 v27, 31, v26
	;; [unrolled: 1-line block ×3, first 2 shown]
	v_mul_lo_u32 v23, v23, s21
	v_add_co_u32 v30, vcc_lo, s4, v30
	v_ashrrev_i32_e32 v29, 31, v28
	v_lshlrev_b64_e32 v[26:27], 1, v[26:27]
	v_lshlrev_b64_e32 v[19:20], 1, v[19:20]
	s_wait_alu 0xfffd
	v_add_co_ci_u32_e64 v31, null, s5, v31, vcc_lo
	v_lshlrev_b64_e32 v[28:29], 1, v[28:29]
	v_lshlrev_b64_e32 v[24:25], 1, v[24:25]
	v_add_co_u32 v26, vcc_lo, s4, v26
	s_wait_alu 0xfffd
	v_add_co_ci_u32_e64 v27, null, s5, v27, vcc_lo
	v_add_co_u32 v19, vcc_lo, s4, v19
	v_ashrrev_i32_e32 v22, 31, v21
	s_wait_alu 0xfffd
	v_add_co_ci_u32_e64 v20, null, s5, v20, vcc_lo
	v_add_co_u32 v28, vcc_lo, s4, v28
	v_ashrrev_i32_e32 v33, 31, v32
	;; [unrolled: 4-line block ×3, first 2 shown]
	v_lshlrev_b64_e32 v[21:22], 1, v[21:22]
	v_lshlrev_b64_e32 v[32:33], 1, v[32:33]
	s_wait_alu 0xfffd
	v_add_co_ci_u32_e64 v35, null, s7, v25, vcc_lo
	v_lshlrev_b64_e32 v[23:24], 1, v[23:24]
	s_delay_alu instid0(VALU_DEP_4)
	v_add_co_u32 v21, vcc_lo, s6, v21
	s_wait_alu 0xfffd
	v_add_co_ci_u32_e64 v22, null, s7, v22, vcc_lo
	v_add_co_u32 v32, vcc_lo, s6, v32
	s_wait_alu 0xfffd
	v_add_co_ci_u32_e64 v33, null, s7, v33, vcc_lo
	;; [unrolled: 3-line block ×3, first 2 shown]
	global_load_u16 v13, v[30:31], off
	global_load_u16 v15, v[34:35], off
	;; [unrolled: 1-line block ×4, first 2 shown]
	s_clause 0x1
	global_load_u16 v27, v[19:20], off
	global_load_u16 v28, v[28:29], off
	s_clause 0x1
	global_load_u16 v29, v[32:33], off
	global_load_u16 v30, v[23:24], off
	s_wait_loadcnt 0x7
	v_lshlrev_b32_e32 v22, 16, v13
	s_wait_loadcnt 0x6
	v_lshlrev_b32_e32 v20, 16, v15
	s_wait_loadcnt 0x5
	v_lshlrev_b32_e32 v21, 16, v25
	s_wait_loadcnt 0x4
	v_lshlrev_b32_e32 v19, 16, v26
	s_wait_loadcnt 0x3
	v_lshlrev_b32_e32 v24, 16, v27
	s_wait_loadcnt 0x2
	v_lshlrev_b32_e32 v15, 16, v28
	s_wait_loadcnt 0x1
	v_lshlrev_b32_e32 v23, 16, v29
	s_wait_loadcnt 0x0
	v_lshlrev_b32_e32 v13, 16, v30
	s_branch .LBB12_6
.LBB12_5:                               ;   in Loop: Header=BB12_3 Depth=1
	v_dual_mov_b32 v23, 0 :: v_dual_mov_b32 v20, 0
	v_dual_mov_b32 v13, 0 :: v_dual_mov_b32 v24, 0
	;; [unrolled: 1-line block ×3, first 2 shown]
	v_mov_b32_e32 v15, 0
	v_mov_b32_e32 v21, 0
.LBB12_6:                               ;   in Loop: Header=BB12_3 Depth=1
	s_wait_loadcnt 0x6
	v_lshlrev_b32_e32 v17, 16, v17
	s_wait_loadcnt 0x2
	v_lshlrev_b32_e32 v18, 16, v18
	s_delay_alu instid0(VALU_DEP_1) | instskip(NEXT) | instid1(VALU_DEP_1)
	v_add_f32_e32 v17, v17, v18
                                        ; implicit-def: $vgpr18
	v_add_f32_e32 v17, v17, v24
	s_delay_alu instid0(VALU_DEP_1) | instskip(NEXT) | instid1(VALU_DEP_1)
	v_add_f32_e32 v17, v23, v17
	v_cmp_ngt_f32_e64 s0, 0x3f200000, |v17|
	s_and_saveexec_b32 s37, s0
	s_wait_alu 0xfffe
	s_xor_b32 s0, exec_lo, s37
	s_cbranch_execz .LBB12_8
; %bb.7:                                ;   in Loop: Header=BB12_3 Depth=1
	v_add_f32_e64 v18, |v17|, |v17|
	s_delay_alu instid0(VALU_DEP_1) | instskip(SKIP_1) | instid1(VALU_DEP_2)
	v_mul_f32_e32 v23, 0x3fb8aa3b, v18
	v_cmp_ngt_f32_e32 vcc_lo, 0xc2ce8ed0, v18
	v_rndne_f32_e32 v24, v23
	v_fma_f32 v25, 0x3fb8aa3b, v18, -v23
	s_delay_alu instid0(VALU_DEP_2) | instskip(NEXT) | instid1(VALU_DEP_2)
	v_sub_f32_e32 v23, v23, v24
	v_fmac_f32_e32 v25, 0x32a5705f, v18
	v_cvt_i32_f32_e32 v24, v24
	s_delay_alu instid0(VALU_DEP_2) | instskip(NEXT) | instid1(VALU_DEP_1)
	v_add_f32_e32 v23, v23, v25
	v_exp_f32_e32 v23, v23
	s_delay_alu instid0(TRANS32_DEP_1) | instskip(SKIP_1) | instid1(VALU_DEP_1)
	v_ldexp_f32 v23, v23, v24
	s_wait_alu 0xfffd
	v_cndmask_b32_e32 v23, 0, v23, vcc_lo
	v_cmp_nlt_f32_e32 vcc_lo, 0x42b17218, v18
	s_wait_alu 0xfffd
	s_delay_alu instid0(VALU_DEP_2) | instskip(NEXT) | instid1(VALU_DEP_1)
	v_cndmask_b32_e32 v18, 0x7f800000, v23, vcc_lo
	v_add_f32_e32 v18, 1.0, v18
	s_delay_alu instid0(VALU_DEP_1) | instskip(NEXT) | instid1(TRANS32_DEP_1)
	v_rcp_f32_e32 v18, v18
	v_fma_f32 v18, v18, -2.0, 1.0
.LBB12_8:                               ;   in Loop: Header=BB12_3 Depth=1
	s_wait_alu 0xfffe
	s_and_not1_saveexec_b32 s0, s0
	s_cbranch_execz .LBB12_10
; %bb.9:                                ;   in Loop: Header=BB12_3 Depth=1
	v_mul_f32_e32 v18, v17, v17
	s_delay_alu instid0(VALU_DEP_1) | instskip(NEXT) | instid1(VALU_DEP_1)
	v_fmaak_f32 v23, s36, v18, 0x3ca908c9
	v_fmaak_f32 v23, v18, v23, 0xbd5c1c4e
	s_delay_alu instid0(VALU_DEP_1) | instskip(NEXT) | instid1(VALU_DEP_1)
	v_fmaak_f32 v23, v18, v23, 0x3e088382
	v_fmaak_f32 v23, v18, v23, 0xbeaaaa99
	s_delay_alu instid0(VALU_DEP_1) | instskip(NEXT) | instid1(VALU_DEP_1)
	v_mul_f32_e64 v23, |v17|, v23
	v_fma_f32 v18, v18, v23, |v17|
.LBB12_10:                              ;   in Loop: Header=BB12_3 Depth=1
	s_wait_alu 0xfffe
	s_or_b32 exec_lo, exec_lo, s0
	v_lshlrev_b32_e32 v11, 16, v11
	v_lshlrev_b32_e32 v12, 16, v12
	s_delay_alu instid0(VALU_DEP_1) | instskip(NEXT) | instid1(VALU_DEP_1)
	v_dual_add_f32 v11, v11, v12 :: v_dual_lshlrev_b32 v14, 16, v14
	v_dual_add_f32 v11, v11, v21 :: v_dual_lshlrev_b32 v16, 16, v16
	s_delay_alu instid0(VALU_DEP_1) | instskip(NEXT) | instid1(VALU_DEP_1)
	v_dual_add_f32 v14, v14, v16 :: v_dual_add_f32 v11, v19, v11
	v_mul_f32_e32 v16, 0xbfb8aa3b, v11
	s_delay_alu instid0(VALU_DEP_1) | instskip(NEXT) | instid1(VALU_DEP_3)
	v_fma_f32 v21, 0xbfb8aa3b, v11, -v16
	v_add_f32_e32 v12, v14, v22
	v_rndne_f32_e32 v22, v16
	s_delay_alu instid0(VALU_DEP_2) | instskip(NEXT) | instid1(VALU_DEP_2)
	v_dual_fmac_f32 v21, 0xb2a5705f, v11 :: v_dual_add_f32 v12, v20, v12
	v_sub_f32_e32 v16, v16, v22
	s_delay_alu instid0(VALU_DEP_2) | instskip(SKIP_1) | instid1(VALU_DEP_3)
	v_mul_f32_e32 v14, 0xbfb8aa3b, v12
	v_cmp_nlt_f32_e32 vcc_lo, 0x42ce8ed0, v12
	v_add_f32_e32 v16, v16, v21
	s_delay_alu instid0(VALU_DEP_3) | instskip(SKIP_1) | instid1(VALU_DEP_3)
	v_fma_f32 v19, 0xbfb8aa3b, v12, -v14
	v_rndne_f32_e32 v20, v14
	v_exp_f32_e32 v16, v16
	s_delay_alu instid0(VALU_DEP_2) | instskip(NEXT) | instid1(VALU_DEP_2)
	v_fmac_f32_e32 v19, 0xb2a5705f, v12
	v_sub_f32_e32 v14, v14, v20
	s_delay_alu instid0(VALU_DEP_1) | instskip(SKIP_2) | instid1(VALU_DEP_3)
	v_add_f32_e32 v14, v14, v19
	v_cvt_i32_f32_e32 v19, v20
	v_cvt_i32_f32_e32 v20, v22
	v_exp_f32_e32 v14, v14
	s_delay_alu instid0(TRANS32_DEP_2) | instid1(VALU_DEP_1)
	v_ldexp_f32 v16, v16, v20
	s_delay_alu instid0(TRANS32_DEP_1) | instskip(SKIP_1) | instid1(VALU_DEP_1)
	v_ldexp_f32 v14, v14, v19
	s_wait_alu 0xfffd
	v_cndmask_b32_e32 v14, 0, v14, vcc_lo
	v_cmp_nlt_f32_e32 vcc_lo, 0x42ce8ed0, v11
	s_wait_alu 0xfffd
	v_cndmask_b32_e32 v16, 0, v16, vcc_lo
	v_cmp_ngt_f32_e32 vcc_lo, 0xc2b17218, v12
	s_wait_alu 0xfffd
	v_cndmask_b32_e32 v12, 0x7f800000, v14, vcc_lo
	v_cmp_ngt_f32_e32 vcc_lo, 0xc2b17218, v11
	s_delay_alu instid0(VALU_DEP_2) | instskip(SKIP_2) | instid1(VALU_DEP_2)
	v_add_f32_e32 v12, 1.0, v12
	s_wait_alu 0xfffd
	v_cndmask_b32_e32 v11, 0x7f800000, v16, vcc_lo
	v_div_scale_f32 v23, vcc_lo, 1.0, v12, 1.0
	s_delay_alu instid0(VALU_DEP_2) | instskip(SKIP_1) | instid1(VALU_DEP_2)
	v_add_f32_e32 v14, 1.0, v11
	v_div_scale_f32 v11, null, v12, v12, 1.0
	v_div_scale_f32 v16, null, v14, v14, 1.0
	s_delay_alu instid0(VALU_DEP_2) | instskip(NEXT) | instid1(VALU_DEP_1)
	v_rcp_f32_e32 v19, v11
	v_rcp_f32_e32 v20, v16
	s_delay_alu instid0(TRANS32_DEP_2) | instskip(NEXT) | instid1(TRANS32_DEP_1)
	v_fma_f32 v21, -v11, v19, 1.0
	v_fma_f32 v22, -v16, v20, 1.0
	s_delay_alu instid0(VALU_DEP_2) | instskip(SKIP_1) | instid1(VALU_DEP_3)
	v_fmac_f32_e32 v19, v21, v19
	v_div_scale_f32 v21, s0, 1.0, v14, 1.0
	v_fmac_f32_e32 v20, v22, v20
	s_delay_alu instid0(VALU_DEP_3) | instskip(NEXT) | instid1(VALU_DEP_2)
	v_mul_f32_e32 v22, v23, v19
	v_mul_f32_e32 v24, v21, v20
	s_delay_alu instid0(VALU_DEP_2) | instskip(NEXT) | instid1(VALU_DEP_2)
	v_fma_f32 v25, -v11, v22, v23
	v_fma_f32 v26, -v16, v24, v21
	s_delay_alu instid0(VALU_DEP_2) | instskip(NEXT) | instid1(VALU_DEP_2)
	v_fmac_f32_e32 v22, v25, v19
	v_fmac_f32_e32 v24, v26, v20
	s_delay_alu instid0(VALU_DEP_2) | instskip(NEXT) | instid1(VALU_DEP_2)
	v_fma_f32 v11, -v11, v22, v23
	v_fma_f32 v16, -v16, v24, v21
	s_wait_alu 0xfffd
	s_delay_alu instid0(VALU_DEP_2) | instskip(SKIP_3) | instid1(VALU_DEP_2)
	v_div_fmas_f32 v11, v11, v19, v22
	s_mov_b32 vcc_lo, s0
	s_wait_alu 0xfffe
	v_div_fmas_f32 v16, v16, v20, v24
	v_div_fixup_f32 v12, v11, v12, 1.0
	v_bfi_b32 v11, 0x7fffffff, v18, v17
	s_delay_alu instid0(VALU_DEP_3) | instskip(SKIP_1) | instid1(VALU_DEP_2)
	v_div_fixup_f32 v14, v16, v14, 1.0
	s_wait_loadcnt 0x0
	v_dual_mul_f32 v9, v12, v11 :: v_dual_lshlrev_b32 v16, 16, v9
	s_delay_alu instid0(VALU_DEP_1) | instskip(NEXT) | instid1(VALU_DEP_1)
	v_fmac_f32_e32 v9, v14, v16
                                        ; implicit-def: $vgpr16
	v_cmp_ngt_f32_e64 s0, 0x3f200000, |v9|
	s_and_saveexec_b32 s37, s0
	s_wait_alu 0xfffe
	s_xor_b32 s0, exec_lo, s37
	s_cbranch_execz .LBB12_12
; %bb.11:                               ;   in Loop: Header=BB12_3 Depth=1
	v_add_f32_e64 v16, |v9|, |v9|
	s_delay_alu instid0(VALU_DEP_1) | instskip(SKIP_1) | instid1(VALU_DEP_2)
	v_mul_f32_e32 v17, 0x3fb8aa3b, v16
	v_cmp_ngt_f32_e32 vcc_lo, 0xc2ce8ed0, v16
	v_rndne_f32_e32 v18, v17
	v_fma_f32 v19, 0x3fb8aa3b, v16, -v17
	s_delay_alu instid0(VALU_DEP_2) | instskip(NEXT) | instid1(VALU_DEP_2)
	v_sub_f32_e32 v17, v17, v18
	v_fmac_f32_e32 v19, 0x32a5705f, v16
	v_cvt_i32_f32_e32 v18, v18
	s_delay_alu instid0(VALU_DEP_2) | instskip(NEXT) | instid1(VALU_DEP_1)
	v_add_f32_e32 v17, v17, v19
	v_exp_f32_e32 v17, v17
	s_delay_alu instid0(TRANS32_DEP_1) | instskip(SKIP_1) | instid1(VALU_DEP_1)
	v_ldexp_f32 v17, v17, v18
	s_wait_alu 0xfffd
	v_cndmask_b32_e32 v17, 0, v17, vcc_lo
	v_cmp_nlt_f32_e32 vcc_lo, 0x42b17218, v16
	s_wait_alu 0xfffd
	s_delay_alu instid0(VALU_DEP_2) | instskip(NEXT) | instid1(VALU_DEP_1)
	v_cndmask_b32_e32 v16, 0x7f800000, v17, vcc_lo
	v_add_f32_e32 v16, 1.0, v16
	s_delay_alu instid0(VALU_DEP_1) | instskip(NEXT) | instid1(TRANS32_DEP_1)
	v_rcp_f32_e32 v16, v16
	v_fma_f32 v16, v16, -2.0, 1.0
.LBB12_12:                              ;   in Loop: Header=BB12_3 Depth=1
	s_wait_alu 0xfffe
	s_and_not1_saveexec_b32 s0, s0
	s_cbranch_execz .LBB12_2
; %bb.13:                               ;   in Loop: Header=BB12_3 Depth=1
	v_mul_f32_e32 v16, v9, v9
	s_delay_alu instid0(VALU_DEP_1) | instskip(NEXT) | instid1(VALU_DEP_1)
	v_fmaak_f32 v17, s36, v16, 0x3ca908c9
	v_fmaak_f32 v17, v16, v17, 0xbd5c1c4e
	s_delay_alu instid0(VALU_DEP_1) | instskip(NEXT) | instid1(VALU_DEP_1)
	v_fmaak_f32 v17, v16, v17, 0x3e088382
	v_fmaak_f32 v17, v16, v17, 0xbeaaaa99
	s_delay_alu instid0(VALU_DEP_1) | instskip(NEXT) | instid1(VALU_DEP_1)
	v_mul_f32_e64 v17, |v9|, v17
	v_fma_f32 v16, v16, v17, |v9|
	s_branch .LBB12_2
.LBB12_14:
	s_endpgm
	.section	.rodata,"a",@progbits
	.p2align	6, 0x0
	.amdhsa_kernel _ZN2at6native12_GLOBAL__N_16kernel17lstm_cell_forwardIN3c108BFloat16EfiLi1EEEvNS_4cuda6detail10TensorInfoIT_T1_EESB_SB_SB_SB_SB_SB_SB_SA_SA_
		.amdhsa_group_segment_fixed_size 0
		.amdhsa_private_segment_fixed_size 0
		.amdhsa_kernarg_size 1992
		.amdhsa_user_sgpr_count 2
		.amdhsa_user_sgpr_dispatch_ptr 0
		.amdhsa_user_sgpr_queue_ptr 0
		.amdhsa_user_sgpr_kernarg_segment_ptr 1
		.amdhsa_user_sgpr_dispatch_id 0
		.amdhsa_user_sgpr_private_segment_size 0
		.amdhsa_wavefront_size32 1
		.amdhsa_uses_dynamic_stack 0
		.amdhsa_enable_private_segment 0
		.amdhsa_system_sgpr_workgroup_id_x 1
		.amdhsa_system_sgpr_workgroup_id_y 0
		.amdhsa_system_sgpr_workgroup_id_z 0
		.amdhsa_system_sgpr_workgroup_info 0
		.amdhsa_system_vgpr_workitem_id 0
		.amdhsa_next_free_vgpr 36
		.amdhsa_next_free_sgpr 38
		.amdhsa_reserve_vcc 1
		.amdhsa_float_round_mode_32 0
		.amdhsa_float_round_mode_16_64 0
		.amdhsa_float_denorm_mode_32 3
		.amdhsa_float_denorm_mode_16_64 3
		.amdhsa_fp16_overflow 0
		.amdhsa_workgroup_processor_mode 1
		.amdhsa_memory_ordered 1
		.amdhsa_forward_progress 1
		.amdhsa_inst_pref_size 27
		.amdhsa_round_robin_scheduling 0
		.amdhsa_exception_fp_ieee_invalid_op 0
		.amdhsa_exception_fp_denorm_src 0
		.amdhsa_exception_fp_ieee_div_zero 0
		.amdhsa_exception_fp_ieee_overflow 0
		.amdhsa_exception_fp_ieee_underflow 0
		.amdhsa_exception_fp_ieee_inexact 0
		.amdhsa_exception_int_div_zero 0
	.end_amdhsa_kernel
	.section	.text._ZN2at6native12_GLOBAL__N_16kernel17lstm_cell_forwardIN3c108BFloat16EfiLi1EEEvNS_4cuda6detail10TensorInfoIT_T1_EESB_SB_SB_SB_SB_SB_SB_SA_SA_,"axG",@progbits,_ZN2at6native12_GLOBAL__N_16kernel17lstm_cell_forwardIN3c108BFloat16EfiLi1EEEvNS_4cuda6detail10TensorInfoIT_T1_EESB_SB_SB_SB_SB_SB_SB_SA_SA_,comdat
.Lfunc_end12:
	.size	_ZN2at6native12_GLOBAL__N_16kernel17lstm_cell_forwardIN3c108BFloat16EfiLi1EEEvNS_4cuda6detail10TensorInfoIT_T1_EESB_SB_SB_SB_SB_SB_SB_SA_SA_, .Lfunc_end12-_ZN2at6native12_GLOBAL__N_16kernel17lstm_cell_forwardIN3c108BFloat16EfiLi1EEEvNS_4cuda6detail10TensorInfoIT_T1_EESB_SB_SB_SB_SB_SB_SB_SA_SA_
                                        ; -- End function
	.set _ZN2at6native12_GLOBAL__N_16kernel17lstm_cell_forwardIN3c108BFloat16EfiLi1EEEvNS_4cuda6detail10TensorInfoIT_T1_EESB_SB_SB_SB_SB_SB_SB_SA_SA_.num_vgpr, 36
	.set _ZN2at6native12_GLOBAL__N_16kernel17lstm_cell_forwardIN3c108BFloat16EfiLi1EEEvNS_4cuda6detail10TensorInfoIT_T1_EESB_SB_SB_SB_SB_SB_SB_SA_SA_.num_agpr, 0
	.set _ZN2at6native12_GLOBAL__N_16kernel17lstm_cell_forwardIN3c108BFloat16EfiLi1EEEvNS_4cuda6detail10TensorInfoIT_T1_EESB_SB_SB_SB_SB_SB_SB_SA_SA_.numbered_sgpr, 38
	.set _ZN2at6native12_GLOBAL__N_16kernel17lstm_cell_forwardIN3c108BFloat16EfiLi1EEEvNS_4cuda6detail10TensorInfoIT_T1_EESB_SB_SB_SB_SB_SB_SB_SA_SA_.num_named_barrier, 0
	.set _ZN2at6native12_GLOBAL__N_16kernel17lstm_cell_forwardIN3c108BFloat16EfiLi1EEEvNS_4cuda6detail10TensorInfoIT_T1_EESB_SB_SB_SB_SB_SB_SB_SA_SA_.private_seg_size, 0
	.set _ZN2at6native12_GLOBAL__N_16kernel17lstm_cell_forwardIN3c108BFloat16EfiLi1EEEvNS_4cuda6detail10TensorInfoIT_T1_EESB_SB_SB_SB_SB_SB_SB_SA_SA_.uses_vcc, 1
	.set _ZN2at6native12_GLOBAL__N_16kernel17lstm_cell_forwardIN3c108BFloat16EfiLi1EEEvNS_4cuda6detail10TensorInfoIT_T1_EESB_SB_SB_SB_SB_SB_SB_SA_SA_.uses_flat_scratch, 0
	.set _ZN2at6native12_GLOBAL__N_16kernel17lstm_cell_forwardIN3c108BFloat16EfiLi1EEEvNS_4cuda6detail10TensorInfoIT_T1_EESB_SB_SB_SB_SB_SB_SB_SA_SA_.has_dyn_sized_stack, 0
	.set _ZN2at6native12_GLOBAL__N_16kernel17lstm_cell_forwardIN3c108BFloat16EfiLi1EEEvNS_4cuda6detail10TensorInfoIT_T1_EESB_SB_SB_SB_SB_SB_SB_SA_SA_.has_recursion, 0
	.set _ZN2at6native12_GLOBAL__N_16kernel17lstm_cell_forwardIN3c108BFloat16EfiLi1EEEvNS_4cuda6detail10TensorInfoIT_T1_EESB_SB_SB_SB_SB_SB_SB_SA_SA_.has_indirect_call, 0
	.section	.AMDGPU.csdata,"",@progbits
; Kernel info:
; codeLenInByte = 3424
; TotalNumSgprs: 40
; NumVgprs: 36
; ScratchSize: 0
; MemoryBound: 0
; FloatMode: 240
; IeeeMode: 1
; LDSByteSize: 0 bytes/workgroup (compile time only)
; SGPRBlocks: 0
; VGPRBlocks: 4
; NumSGPRsForWavesPerEU: 40
; NumVGPRsForWavesPerEU: 36
; Occupancy: 16
; WaveLimiterHint : 1
; COMPUTE_PGM_RSRC2:SCRATCH_EN: 0
; COMPUTE_PGM_RSRC2:USER_SGPR: 2
; COMPUTE_PGM_RSRC2:TRAP_HANDLER: 0
; COMPUTE_PGM_RSRC2:TGID_X_EN: 1
; COMPUTE_PGM_RSRC2:TGID_Y_EN: 0
; COMPUTE_PGM_RSRC2:TGID_Z_EN: 0
; COMPUTE_PGM_RSRC2:TIDIG_COMP_CNT: 0
	.section	.text._ZN2at6native12_GLOBAL__N_16kernel17lstm_cell_forwardIN3c108BFloat16EfiLi2EEEvNS_4cuda6detail10TensorInfoIT_T1_EESB_SB_SB_SB_SB_SB_SB_SA_SA_,"axG",@progbits,_ZN2at6native12_GLOBAL__N_16kernel17lstm_cell_forwardIN3c108BFloat16EfiLi2EEEvNS_4cuda6detail10TensorInfoIT_T1_EESB_SB_SB_SB_SB_SB_SB_SA_SA_,comdat
	.globl	_ZN2at6native12_GLOBAL__N_16kernel17lstm_cell_forwardIN3c108BFloat16EfiLi2EEEvNS_4cuda6detail10TensorInfoIT_T1_EESB_SB_SB_SB_SB_SB_SB_SA_SA_ ; -- Begin function _ZN2at6native12_GLOBAL__N_16kernel17lstm_cell_forwardIN3c108BFloat16EfiLi2EEEvNS_4cuda6detail10TensorInfoIT_T1_EESB_SB_SB_SB_SB_SB_SB_SA_SA_
	.p2align	8
	.type	_ZN2at6native12_GLOBAL__N_16kernel17lstm_cell_forwardIN3c108BFloat16EfiLi2EEEvNS_4cuda6detail10TensorInfoIT_T1_EESB_SB_SB_SB_SB_SB_SB_SA_SA_,@function
_ZN2at6native12_GLOBAL__N_16kernel17lstm_cell_forwardIN3c108BFloat16EfiLi2EEEvNS_4cuda6detail10TensorInfoIT_T1_EESB_SB_SB_SB_SB_SB_SB_SA_SA_: ; @_ZN2at6native12_GLOBAL__N_16kernel17lstm_cell_forwardIN3c108BFloat16EfiLi2EEEvNS_4cuda6detail10TensorInfoIT_T1_EESB_SB_SB_SB_SB_SB_SB_SA_SA_
; %bb.0:
	s_clause 0x1
	s_load_b32 s2, s[0:1], 0x6d4
	s_load_b64 s[6:7], s[0:1], 0x6c0
	s_mov_b32 s3, exec_lo
	s_wait_kmcnt 0x0
	s_and_b32 s2, s2, 0xffff
	s_delay_alu instid0(SALU_CYCLE_1) | instskip(NEXT) | instid1(VALU_DEP_1)
	v_mad_co_u64_u32 v[0:1], null, ttmp9, s2, v[0:1]
	v_cmpx_gt_i32_e64 s7, v0
	s_cbranch_execz .LBB13_13
; %bb.1:
	s_clause 0xc
	s_load_b64 s[8:9], s[0:1], 0x1b0
	s_load_b32 s5, s[0:1], 0xc
	s_load_b32 s33, s[0:1], 0xe4
	s_load_b64 s[10:11], s[0:1], 0x0
	s_load_b64 s[12:13], s[0:1], 0x6c
	;; [unrolled: 1-line block ×4, first 2 shown]
	s_load_b32 s38, s[0:1], 0x21c
	s_load_b64 s[18:19], s[0:1], 0x288
	s_load_b32 s39, s[0:1], 0x2f4
	s_load_b64 s[20:21], s[0:1], 0x360
	s_load_b32 s3, s[0:1], 0x36c
	s_load_b32 s40, s[0:1], 0x5f4
	s_add_nc_u64 s[22:23], s[0:1], 0x6c8
	s_mov_b32 s45, 0
	s_load_b32 s46, s[22:23], 0x0
	s_clause 0x3
	s_load_b64 s[22:23], s[0:1], 0x3cc
	s_load_b64 s[24:25], s[0:1], 0x438
	s_load_b32 s68, s[0:1], 0x444
	s_load_b64 s[26:27], s[0:1], 0x4a4
	s_mul_i32 s65, s6, 3
	s_mov_b32 s70, 0xbbbac73d
	s_wait_kmcnt 0x0
	s_cmp_lg_u64 s[8:9], 0
	s_cselect_b32 s41, -1, 0
	s_abs_i32 s42, s6
	s_abs_i32 s43, s5
	s_cvt_f32_u32 s4, s42
	s_cvt_f32_u32 s28, s43
	s_abs_i32 s44, s33
	s_abs_i32 s49, s40
	v_rcp_iflag_f32_e32 v1, s4
	v_rcp_iflag_f32_e32 v2, s28
	s_cvt_f32_u32 s47, s44
	s_clause 0x4
	s_load_b64 s[28:29], s[0:1], 0x510
	s_load_b32 s4, s[0:1], 0x51c
	s_load_b64 s[30:31], s[0:1], 0x57c
	s_load_b64 s[34:35], s[0:1], 0x5e8
	;; [unrolled: 1-line block ×3, first 2 shown]
	s_cvt_f32_u32 s50, s49
	s_mul_i32 s46, s46, s2
	v_rcp_iflag_f32_e32 v3, s47
	s_sub_co_i32 s2, 0, s42
	s_sub_co_i32 s52, 0, s43
	s_abs_i32 s55, s68
	v_readfirstlane_b32 s0, v1
	v_readfirstlane_b32 s1, v2
	v_rcp_iflag_f32_e32 v1, s50
	s_ashr_i32 s47, s6, 31
	s_ashr_i32 s48, s5, 31
	s_mul_f32 s0, s0, 0x4f7ffffe
	s_mul_f32 s1, s1, 0x4f7ffffe
	v_readfirstlane_b32 s51, v3
	s_sub_co_i32 s66, 0, s6
	s_wait_alu 0xfffe
	s_cvt_u32_f32 s0, s0
	s_cvt_u32_f32 s1, s1
	s_wait_kmcnt 0x0
	s_abs_i32 s56, s4
	s_mul_f32 s53, s51, 0x4f7ffffe
	s_wait_alu 0xfffe
	s_mul_i32 s2, s2, s0
	s_mul_i32 s52, s52, s1
	s_wait_alu 0xfffe
	s_mul_hi_u32 s2, s0, s2
	s_abs_i32 s51, s3
	s_wait_alu 0xfffe
	s_add_co_i32 s50, s0, s2
	s_mul_hi_u32 s0, s1, s52
	s_cvt_f32_u32 s2, s51
	s_cvt_u32_f32 s54, s53
	s_wait_alu 0xfffe
	s_add_co_i32 s52, s1, s0
	s_sub_co_i32 s0, 0, s44
	v_readfirstlane_b32 s1, v1
	v_rcp_iflag_f32_e32 v2, s2
	s_wait_alu 0xfffe
	s_mul_i32 s0, s0, s54
	s_cvt_f32_u32 s57, s56
	s_wait_alu 0xfffe
	s_mul_hi_u32 s0, s54, s0
	s_sub_co_i32 s59, 0, s51
	s_wait_alu 0xfffe
	s_add_co_i32 s54, s54, s0
	s_mul_f32 s0, s1, 0x4f7ffffe
	s_cvt_f32_u32 s1, s55
	s_sub_co_i32 s62, 0, s56
	s_ashr_i32 s53, s33, 31
	v_readfirstlane_b32 s2, v2
	s_wait_alu 0xfffe
	v_rcp_iflag_f32_e32 v1, s1
	v_rcp_iflag_f32_e32 v2, s57
	s_cvt_u32_f32 s0, s0
	s_sub_co_i32 s1, 0, s49
	s_mul_f32 s2, s2, 0x4f7ffffe
	s_ashr_i32 s57, s40, 31
	s_wait_alu 0xfffe
	s_mul_i32 s1, s1, s0
	s_sub_co_i32 s67, 0, s3
	s_wait_alu 0xfffe
	s_mul_hi_u32 s1, s0, s1
	s_cvt_u32_f32 s2, s2
	v_readfirstlane_b32 s60, v1
	s_wait_alu 0xfffe
	s_add_co_i32 s58, s0, s1
	v_readfirstlane_b32 s0, v2
	s_mul_i32 s59, s59, s2
	s_sub_co_i32 s69, 0, s4
	s_mul_f32 s61, s60, 0x4f7ffffe
	s_mul_hi_u32 s1, s2, s59
	s_mul_f32 s0, s0, 0x4f7ffffe
	s_wait_alu 0xfffe
	s_add_co_i32 s60, s2, s1
	s_cvt_u32_f32 s1, s61
	s_sub_co_i32 s2, 0, s55
	s_cvt_u32_f32 s0, s0
	s_ashr_i32 s59, s3, 31
	s_wait_alu 0xfffe
	s_mul_i32 s2, s2, s1
	s_ashr_i32 s61, s68, 31
	s_wait_alu 0xfffe
	s_mul_hi_u32 s2, s1, s2
	s_mul_i32 s63, s62, s0
	s_wait_alu 0xfffe
	s_add_co_i32 s62, s1, s2
	s_mul_hi_u32 s1, s0, s63
	s_ashr_i32 s63, s4, 31
	s_wait_alu 0xfffe
	s_add_co_i32 s64, s0, s1
	s_sub_co_i32 s68, 0, s68
	s_branch .LBB13_3
.LBB13_2:                               ;   in Loop: Header=BB13_3 Depth=1
	s_wait_alu 0xfffe
	s_or_b32 exec_lo, exec_lo, s0
	v_lshlrev_b32_e32 v18, 16, v18
	v_lshlrev_b32_e32 v20, 16, v20
	v_mul_hi_u32 v27, v4, s64
	v_mul_hi_u32 v24, v8, s58
	v_xor_b32_e32 v14, s57, v14
	v_xor_b32_e32 v12, s57, v12
	v_add_f32_e32 v18, v18, v20
	v_mul_hi_u32 v20, v7, s58
	v_mul_hi_u32 v25, v10, s58
	v_xor_b32_e32 v13, s57, v13
	v_xor_b32_e32 v11, s57, v11
	v_mul_lo_u32 v31, v24, s49
	v_mul_hi_u32 v26, v4, s62
	v_mul_lo_u32 v41, v27, s56
	v_mul_lo_u32 v28, v20, s49
	v_add_nc_u32_e32 v30, 1, v20
	v_mul_lo_u32 v37, v25, s49
	v_add_nc_u32_e32 v38, 1, v25
	v_sub_nc_u32_e32 v8, v8, v31
	v_mul_lo_u32 v39, v26, s55
	v_sub_nc_u32_e32 v7, v7, v28
	s_delay_alu instid0(VALU_DEP_3) | instskip(SKIP_1) | instid1(VALU_DEP_3)
	v_cmp_le_u32_e64 s0, s49, v8
	v_sub_nc_u32_e32 v10, v10, v37
	v_cmp_le_u32_e32 vcc_lo, s49, v7
	s_delay_alu instid0(VALU_DEP_2)
	v_cmp_le_u32_e64 s2, s49, v10
	s_wait_alu 0xfffd
	v_cndmask_b32_e32 v20, v20, v30, vcc_lo
	v_subrev_nc_u32_e32 v30, s49, v7
	s_wait_alu 0xf1ff
	v_cndmask_b32_e64 v25, v25, v38, s2
	s_delay_alu instid0(VALU_DEP_2) | instskip(NEXT) | instid1(VALU_DEP_1)
	v_dual_cndmask_b32 v7, v7, v30 :: v_dual_add_nc_u32 v30, 1, v20
	v_cmp_le_u32_e32 vcc_lo, s49, v7
	v_add_f32_e32 v18, v18, v23
	v_mul_hi_u32 v23, v9, s58
	s_wait_alu 0xfffd
	v_cndmask_b32_e32 v7, v20, v30, vcc_lo
	s_delay_alu instid0(VALU_DEP_2) | instskip(SKIP_1) | instid1(VALU_DEP_3)
	v_mul_lo_u32 v33, v23, s49
	v_add_nc_u32_e32 v36, 1, v23
	v_xor_b32_e32 v7, v7, v14
	s_delay_alu instid0(VALU_DEP_1) | instskip(NEXT) | instid1(VALU_DEP_4)
	v_sub_nc_u32_e32 v7, v7, v14
	v_sub_nc_u32_e32 v9, v9, v33
	v_subrev_nc_u32_e32 v33, s49, v10
	v_add_nc_u32_e32 v14, 1, v25
	s_delay_alu instid0(VALU_DEP_3) | instskip(NEXT) | instid1(VALU_DEP_3)
	v_cmp_le_u32_e64 s1, s49, v9
	v_cndmask_b32_e64 v10, v10, v33, s2
	s_wait_alu 0xf1ff
	s_delay_alu instid0(VALU_DEP_2) | instskip(NEXT) | instid1(VALU_DEP_1)
	v_cndmask_b32_e64 v23, v23, v36, s1
	v_add_nc_u32_e32 v30, 1, v23
	v_add_nc_u32_e32 v32, 1, v24
	s_delay_alu instid0(VALU_DEP_1) | instskip(SKIP_1) | instid1(VALU_DEP_1)
	v_cndmask_b32_e64 v24, v24, v32, s0
	v_subrev_nc_u32_e32 v32, s49, v8
	v_cndmask_b32_e64 v8, v8, v32, s0
	s_delay_alu instid0(VALU_DEP_3) | instskip(NEXT) | instid1(VALU_DEP_2)
	v_add_nc_u32_e32 v32, 1, v24
	v_cmp_le_u32_e32 vcc_lo, s49, v8
	s_wait_alu 0xfffd
	s_delay_alu instid0(VALU_DEP_2) | instskip(NEXT) | instid1(VALU_DEP_1)
	v_cndmask_b32_e32 v8, v24, v32, vcc_lo
	v_xor_b32_e32 v8, v8, v12
	s_delay_alu instid0(VALU_DEP_1) | instskip(SKIP_1) | instid1(VALU_DEP_1)
	v_sub_nc_u32_e32 v12, v8, v12
	v_mul_lo_u32 v8, v7, s40
	v_sub_nc_u32_e32 v5, v5, v8
	v_add_f32_e32 v18, v21, v18
	v_xor_b32_e32 v21, s61, v3
	v_xor_b32_e32 v3, s63, v3
	s_delay_alu instid0(VALU_DEP_4) | instskip(NEXT) | instid1(VALU_DEP_4)
	v_add_nc_u32_e32 v5, v0, v5
	v_mul_f32_e32 v29, 0xbfb8aa3b, v18
	v_cmp_nlt_f32_e64 s3, 0x42ce8ed0, v18
	v_cmp_ngt_f32_e64 s4, 0xc2b17218, v18
	s_delay_alu instid0(VALU_DEP_3) | instskip(SKIP_1) | instid1(VALU_DEP_1)
	v_fma_f32 v34, 0xbfb8aa3b, v18, -v29
	v_rndne_f32_e32 v35, v29
	v_dual_fmac_f32 v34, 0xb2a5705f, v18 :: v_dual_sub_f32 v29, v29, v35
	v_cvt_i32_f32_e32 v31, v35
	s_delay_alu instid0(VALU_DEP_2) | instskip(SKIP_1) | instid1(VALU_DEP_2)
	v_add_f32_e32 v28, v29, v34
	v_sub_nc_u32_e32 v29, v4, v39
	v_exp_f32_e32 v28, v28
	s_delay_alu instid0(TRANS32_DEP_1) | instskip(SKIP_2) | instid1(VALU_DEP_2)
	v_ldexp_f32 v28, v28, v31
	v_subrev_nc_u32_e32 v31, s49, v9
	s_wait_alu 0xf1ff
	v_cndmask_b32_e64 v28, 0, v28, s3
	s_delay_alu instid0(VALU_DEP_2) | instskip(SKIP_1) | instid1(VALU_DEP_3)
	v_cndmask_b32_e64 v9, v9, v31, s1
	v_cmp_le_u32_e64 s3, s55, v29
	v_cndmask_b32_e64 v18, 0x7f800000, v28, s4
	s_delay_alu instid0(VALU_DEP_3) | instskip(SKIP_1) | instid1(VALU_DEP_3)
	v_cmp_le_u32_e32 vcc_lo, s49, v9
	v_subrev_nc_u32_e32 v28, s55, v29
	v_add_f32_e32 v18, 1.0, v18
	s_wait_alu 0xfffd
	v_cndmask_b32_e32 v9, v23, v30, vcc_lo
	v_cmp_le_u32_e32 vcc_lo, s49, v10
	s_delay_alu instid0(VALU_DEP_3)
	v_div_scale_f32 v20, null, v18, v18, 1.0
	s_wait_alu 0xfffd
	v_cndmask_b32_e32 v10, v25, v14, vcc_lo
	v_mul_lo_u32 v14, v12, s40
	v_div_scale_f32 v25, vcc_lo, 1.0, v18, 1.0
	v_rcp_f32_e32 v24, v20
	v_xor_b32_e32 v8, v9, v13
	v_xor_b32_e32 v9, v10, v11
	s_delay_alu instid0(VALU_DEP_4) | instskip(SKIP_1) | instid1(VALU_DEP_4)
	v_sub_nc_u32_e32 v14, v1, v14
	v_mul_lo_u32 v1, v5, s37
	v_sub_nc_u32_e32 v13, v8, v13
	s_delay_alu instid0(TRANS32_DEP_1) | instskip(NEXT) | instid1(VALU_DEP_1)
	v_fma_f32 v23, -v20, v24, 1.0
	v_dual_fmac_f32 v24, v23, v24 :: v_dual_add_nc_u32 v5, v0, v14
	s_wait_alu 0xf1ff
	v_cndmask_b32_e64 v23, v29, v28, s3
	v_sub_nc_u32_e32 v28, v9, v11
	v_mul_lo_u32 v11, v13, s40
	v_mul_lo_u32 v5, v5, s37
	v_mul_f32_e32 v10, v25, v24
	v_cmp_le_u32_e64 s0, s55, v23
	v_mul_lo_u32 v14, v28, s40
	v_add_nc_u32_e32 v23, 1, v27
	s_delay_alu instid0(VALU_DEP_4) | instskip(SKIP_1) | instid1(VALU_DEP_2)
	v_fma_f32 v8, -v20, v10, v25
	v_sub_nc_u32_e32 v6, v6, v11
	v_fmac_f32_e32 v10, v8, v24
	v_mad_co_u64_u32 v[7:8], null, v7, s36, v[1:2]
	v_sub_nc_u32_e32 v2, v2, v14
	s_delay_alu instid0(VALU_DEP_3)
	v_fma_f32 v1, -v20, v10, v25
	v_sub_nc_u32_e32 v20, v4, v41
	v_mad_co_u64_u32 v[4:5], null, v12, s36, v[5:6]
	v_add_nc_u32_e32 v6, v0, v6
	s_wait_alu 0xfffd
	v_div_fmas_f32 v1, v1, v24, v10
	v_cmp_le_u32_e32 vcc_lo, s56, v20
	v_add_nc_u32_e32 v2, v0, v2
	v_ashrrev_i32_e32 v8, 31, v7
	s_delay_alu instid0(VALU_DEP_4) | instskip(SKIP_4) | instid1(VALU_DEP_3)
	v_div_fixup_f32 v18, v1, v18, 1.0
	v_subrev_nc_u32_e32 v1, s56, v20
	s_wait_alu 0xfffd
	v_cndmask_b32_e32 v5, v27, v23, vcc_lo
	v_mul_lo_u32 v2, v2, s37
	v_cndmask_b32_e32 v1, v20, v1, vcc_lo
	v_bfi_b32 v20, 0x7fffffff, v22, v19
	v_add_nc_u32_e32 v40, 1, v26
	v_add_nc_u32_e32 v10, 1, v5
	s_delay_alu instid0(VALU_DEP_4) | instskip(SKIP_1) | instid1(VALU_DEP_4)
	v_cmp_le_u32_e32 vcc_lo, s56, v1
	v_mul_lo_u32 v1, v6, s37
	v_cndmask_b32_e64 v26, v26, v40, s3
	v_lshlrev_b64_e32 v[6:7], 1, v[7:8]
	s_wait_alu 0xfffd
	v_cndmask_b32_e32 v5, v5, v10, vcc_lo
	s_delay_alu instid0(VALU_DEP_3) | instskip(NEXT) | instid1(VALU_DEP_3)
	v_add_nc_u32_e32 v9, 1, v26
	v_add_co_u32 v6, vcc_lo, s34, v6
	s_delay_alu instid0(VALU_DEP_3) | instskip(SKIP_1) | instid1(VALU_DEP_3)
	v_xor_b32_e32 v14, v5, v3
	s_wait_alu 0xf1ff
	v_cndmask_b32_e64 v9, v26, v9, s0
	v_ashrrev_i32_e32 v5, 31, v4
	s_wait_alu 0xfffd
	v_add_co_ci_u32_e64 v7, null, s35, v7, vcc_lo
	v_sub_nc_u32_e32 v14, v14, v3
	v_xor_b32_e32 v9, v9, v21
	v_lshlrev_b64_e32 v[4:5], 1, v[4:5]
	v_cmp_o_f32_e64 s0, v18, v18
	s_delay_alu instid0(VALU_DEP_3) | instskip(SKIP_1) | instid1(VALU_DEP_2)
	v_sub_nc_u32_e32 v12, v9, v21
	v_bfe_u32 v21, v17, 16, 1
	v_mad_co_u64_u32 v[9:10], null, s68, v12, v[0:1]
	v_mad_co_u64_u32 v[10:11], null, v13, s36, v[1:2]
	;; [unrolled: 1-line block ×3, first 2 shown]
	s_delay_alu instid0(VALU_DEP_3) | instskip(NEXT) | instid1(VALU_DEP_3)
	v_mul_lo_u32 v3, v9, s27
	v_ashrrev_i32_e32 v11, 31, v10
	s_delay_alu instid0(VALU_DEP_3)
	v_mad_co_u64_u32 v[8:9], null, s69, v14, v[0:1]
	v_ashrrev_i32_e32 v2, 31, v1
	v_add_nc_u32_e32 v0, s46, v0
	v_mad_co_u64_u32 v[12:13], null, v12, s26, v[3:4]
	v_add_co_u32 v4, vcc_lo, s34, v4
	v_mul_lo_u32 v3, v8, s31
	v_lshlrev_b64_e32 v[8:9], 1, v[10:11]
	v_lshlrev_b64_e32 v[1:2], 1, v[1:2]
	s_wait_alu 0xfffd
	v_add_co_ci_u32_e64 v5, null, s35, v5, vcc_lo
	v_ashrrev_i32_e32 v13, 31, v12
	s_delay_alu instid0(VALU_DEP_4) | instskip(SKIP_2) | instid1(VALU_DEP_4)
	v_add_co_u32 v8, vcc_lo, s34, v8
	v_mad_co_u64_u32 v[10:11], null, v14, s30, v[3:4]
	v_mul_f32_e32 v3, v18, v20
	v_lshlrev_b64_e32 v[12:13], 1, v[12:13]
	s_wait_alu 0xfffd
	v_add_co_ci_u32_e64 v9, null, s35, v9, vcc_lo
	v_add_co_u32 v1, vcc_lo, s34, v1
	v_ashrrev_i32_e32 v11, 31, v10
	v_bfe_u32 v14, v3, 16, 1
	v_bfe_u32 v20, v19, 16, 1
	s_wait_alu 0xfffd
	v_add_co_ci_u32_e64 v2, null, s35, v2, vcc_lo
	v_lshlrev_b64_e32 v[10:11], 1, v[10:11]
	v_add3_u32 v14, v3, v14, 0x7fff
	v_add_co_u32 v12, vcc_lo, s24, v12
	s_wait_alu 0xfffd
	v_add_co_ci_u32_e64 v13, null, s25, v13, vcc_lo
	s_delay_alu instid0(VALU_DEP_4)
	v_add_co_u32 v10, vcc_lo, s28, v10
	v_lshrrev_b32_e32 v14, 16, v14
	v_add3_u32 v20, v19, v20, 0x7fff
	s_wait_alu 0xfffd
	v_add_co_ci_u32_e64 v11, null, s29, v11, vcc_lo
	v_cmp_o_f32_e32 vcc_lo, v3, v3
	s_delay_alu instid0(VALU_DEP_3)
	v_lshrrev_b32_e32 v20, 16, v20
	s_wait_alu 0xfffd
	v_cndmask_b32_e32 v3, 0x7fc0, v14, vcc_lo
	v_cmp_o_f32_e32 vcc_lo, v19, v19
	v_add3_u32 v19, v17, v21, 0x7fff
	global_store_b16 v[12:13], v3, off
	s_wait_alu 0xfffd
	v_cndmask_b32_e32 v14, 0x7fc0, v20, vcc_lo
	v_bfe_u32 v20, v16, 16, 1
	v_bfe_u32 v3, v15, 16, 1
	v_cmp_o_f32_e32 vcc_lo, v17, v17
	v_bfe_u32 v12, v18, 16, 1
	global_store_b16 v[10:11], v14, off
	v_lshrrev_b32_e32 v10, 16, v19
	v_add3_u32 v11, v16, v20, 0x7fff
	v_add3_u32 v3, v15, v3, 0x7fff
	;; [unrolled: 1-line block ×3, first 2 shown]
	s_wait_alu 0xfffd
	v_cndmask_b32_e32 v10, 0x7fc0, v10, vcc_lo
	v_lshrrev_b32_e32 v11, 16, v11
	v_cmp_o_f32_e32 vcc_lo, v16, v16
	v_lshrrev_b32_e32 v3, 16, v3
	v_lshrrev_b32_e32 v12, 16, v12
	s_wait_alu 0xfffd
	v_cndmask_b32_e32 v11, 0x7fc0, v11, vcc_lo
	v_cmp_o_f32_e32 vcc_lo, v15, v15
	s_wait_alu 0xf1ff
	v_cndmask_b32_e64 v12, 0x7fc0, v12, s0
	s_clause 0x1
	global_store_b16 v[6:7], v10, off
	global_store_b16 v[4:5], v11, off
	s_wait_alu 0xfffd
	v_cndmask_b32_e32 v3, 0x7fc0, v3, vcc_lo
	v_cmp_le_i32_e32 vcc_lo, s7, v0
	s_clause 0x1
	global_store_b16 v[8:9], v3, off
	global_store_b16 v[1:2], v12, off
	s_or_b32 s45, vcc_lo, s45
	s_wait_alu 0xfffe
	s_and_not1_b32 exec_lo, exec_lo, s45
	s_cbranch_execz .LBB13_13
.LBB13_3:                               ; =>This Inner Loop Header: Depth=1
	v_sub_nc_u32_e32 v1, 0, v0
	s_delay_alu instid0(VALU_DEP_1) | instskip(NEXT) | instid1(VALU_DEP_1)
	v_max_i32_e32 v4, v0, v1
	v_mul_hi_u32 v1, v4, s50
	s_delay_alu instid0(VALU_DEP_1) | instskip(SKIP_1) | instid1(VALU_DEP_2)
	v_mul_lo_u32 v2, v1, s42
	v_add_nc_u32_e32 v3, 1, v1
	v_sub_nc_u32_e32 v2, v4, v2
	s_delay_alu instid0(VALU_DEP_1) | instskip(SKIP_2) | instid1(VALU_DEP_2)
	v_subrev_nc_u32_e32 v5, s42, v2
	v_cmp_le_u32_e32 vcc_lo, s42, v2
	s_wait_alu 0xfffd
	v_dual_cndmask_b32 v1, v1, v3 :: v_dual_cndmask_b32 v2, v2, v5
	v_ashrrev_i32_e32 v3, 31, v0
	s_delay_alu instid0(VALU_DEP_2) | instskip(NEXT) | instid1(VALU_DEP_3)
	v_add_nc_u32_e32 v5, 1, v1
	v_cmp_le_u32_e32 vcc_lo, s42, v2
	s_delay_alu instid0(VALU_DEP_3) | instskip(SKIP_1) | instid1(VALU_DEP_3)
	v_xor_b32_e32 v15, s47, v3
	s_wait_alu 0xfffd
	v_cndmask_b32_e32 v1, v1, v5, vcc_lo
	s_delay_alu instid0(VALU_DEP_1) | instskip(SKIP_1) | instid1(VALU_DEP_2)
	v_xor_b32_e32 v16, v1, v15
	v_mul_i32_i24_e32 v1, 3, v15
	v_sub_nc_u32_e32 v17, v16, v15
	v_lshl_add_u32 v2, v16, 1, v16
	s_delay_alu instid0(VALU_DEP_2) | instskip(NEXT) | instid1(VALU_DEP_2)
	v_mul_lo_u32 v5, s65, v17
	v_sub_nc_u32_e32 v6, v2, v1
	s_delay_alu instid0(VALU_DEP_1) | instskip(NEXT) | instid1(VALU_DEP_3)
	v_mad_co_u64_u32 v[1:2], null, s6, v6, s[6:7]
	v_add_nc_u32_e32 v7, v0, v5
	v_add_nc_u32_e32 v2, 2, v6
	;; [unrolled: 1-line block ×3, first 2 shown]
	s_delay_alu instid0(VALU_DEP_3) | instskip(NEXT) | instid1(VALU_DEP_3)
	v_ashrrev_i32_e32 v14, 31, v7
	v_mul_lo_u32 v6, s6, v2
	s_delay_alu instid0(VALU_DEP_3) | instskip(SKIP_1) | instid1(VALU_DEP_4)
	v_mul_lo_u32 v2, s6, v8
	v_add_nc_u32_e32 v7, v0, v1
	v_add3_u32 v8, v14, v5, v0
	v_xor_b32_e32 v18, s48, v14
	v_xor_b32_e32 v20, s53, v14
	s_delay_alu instid0(VALU_DEP_4) | instskip(SKIP_3) | instid1(VALU_DEP_4)
	v_ashrrev_i32_e32 v12, 31, v7
	v_add_nc_u32_e32 v9, v0, v6
	v_xor_b32_e32 v7, v8, v14
	v_add_nc_u32_e32 v10, v0, v2
	v_add3_u32 v8, v12, v1, v0
	s_delay_alu instid0(VALU_DEP_4) | instskip(NEXT) | instid1(VALU_DEP_4)
	v_ashrrev_i32_e32 v13, 31, v9
	v_mul_hi_u32 v21, v7, s52
	v_mul_hi_u32 v24, v7, s54
	v_ashrrev_i32_e32 v11, 31, v10
	v_xor_b32_e32 v8, v8, v12
	v_add3_u32 v9, v13, v6, v0
	v_xor_b32_e32 v19, s48, v12
	v_xor_b32_e32 v22, s48, v13
	v_add3_u32 v10, v11, v2, v0
	v_mul_lo_u32 v27, v21, s43
	v_mul_hi_u32 v25, v8, s52
	v_mul_lo_u32 v31, v24, s44
	v_xor_b32_e32 v9, v9, v13
	v_xor_b32_e32 v10, v10, v11
	v_mul_hi_u32 v26, v8, s54
	v_xor_b32_e32 v23, s48, v11
	v_xor_b32_e32 v28, s53, v12
	v_sub_nc_u32_e32 v27, v7, v27
	v_mul_lo_u32 v37, v25, s43
	v_sub_nc_u32_e32 v31, v7, v31
	v_mul_hi_u32 v33, v9, s52
	v_mul_hi_u32 v35, v9, s54
	v_cmp_le_u32_e32 vcc_lo, s43, v27
	v_add_nc_u32_e32 v38, 1, v25
	v_add_nc_u32_e32 v30, 1, v21
	v_mul_hi_u32 v36, v10, s54
	v_add_nc_u32_e32 v32, 1, v24
	v_sub_nc_u32_e32 v37, v8, v37
	v_cmp_le_u32_e64 s0, s44, v31
	s_wait_alu 0xfffd
	v_cndmask_b32_e32 v21, v21, v30, vcc_lo
	v_subrev_nc_u32_e32 v30, s43, v27
	v_mul_hi_u32 v34, v10, s52
	v_mul_lo_u32 v41, v33, s43
	s_wait_alu 0xf1ff
	v_cndmask_b32_e64 v24, v24, v32, s0
	v_subrev_nc_u32_e32 v32, s44, v31
	v_cndmask_b32_e32 v27, v27, v30, vcc_lo
	v_cmp_le_u32_e32 vcc_lo, s43, v37
	v_mul_lo_u32 v45, v35, s44
	v_mul_lo_u32 v47, v36, s44
	v_cndmask_b32_e64 v31, v31, v32, s0
	v_mul_lo_u32 v43, v34, s43
	s_wait_alu 0xfffd
	v_cndmask_b32_e32 v25, v25, v38, vcc_lo
	v_subrev_nc_u32_e32 v38, s43, v37
	v_add_nc_u32_e32 v42, 1, v33
	v_sub_nc_u32_e32 v41, v9, v41
	v_sub_nc_u32_e32 v45, v9, v45
	v_add_nc_u32_e32 v30, 1, v21
	v_sub_nc_u32_e32 v47, v10, v47
	v_add_nc_u32_e32 v32, 1, v24
	v_cmp_le_u32_e64 s1, s43, v27
	v_cndmask_b32_e32 v27, v37, v38, vcc_lo
	v_cmp_le_u32_e64 s2, s44, v31
	v_sub_nc_u32_e32 v43, v10, v43
	v_cmp_le_u32_e32 vcc_lo, s43, v41
	s_wait_alu 0xf1ff
	v_cndmask_b32_e64 v21, v21, v30, s1
	v_add_nc_u32_e32 v30, 1, v25
	v_subrev_nc_u32_e32 v37, s43, v41
	v_cndmask_b32_e64 v24, v24, v32, s2
	v_cmp_le_u32_e64 s2, s43, v27
	v_add_nc_u32_e32 v44, 1, v34
	s_wait_alu 0xfffd
	v_dual_cndmask_b32 v33, v33, v42 :: v_dual_add_nc_u32 v46, 1, v35
	v_cmp_le_u32_e64 s1, s43, v43
	v_subrev_nc_u32_e32 v38, s43, v43
	v_xor_b32_e32 v21, v21, v18
	s_wait_alu 0xf1ff
	v_cndmask_b32_e64 v25, v25, v30, s2
	v_cndmask_b32_e32 v27, v41, v37, vcc_lo
	v_mul_lo_u32 v39, v26, s44
	v_cndmask_b32_e64 v34, v34, v44, s1
	v_add_nc_u32_e32 v30, 1, v33
	v_cndmask_b32_e64 v31, v43, v38, s1
	v_sub_nc_u32_e32 v21, v21, v18
	v_xor_b32_e32 v18, v25, v19
	v_cmp_le_u32_e32 vcc_lo, s43, v27
	v_add_nc_u32_e32 v48, 1, v36
	v_add_nc_u32_e32 v32, 1, v34
	v_sub_nc_u32_e32 v39, v8, v39
	v_xor_b32_e32 v24, v24, v20
	s_wait_alu 0xfffd
	v_cndmask_b32_e32 v25, v33, v30, vcc_lo
	v_cmp_le_u32_e32 vcc_lo, s43, v31
	v_sub_nc_u32_e32 v31, v18, v19
	v_mul_lo_u32 v30, v21, s5
	v_add_nc_u32_e32 v40, 1, v26
	v_cmp_le_u32_e64 s0, s44, v39
	s_wait_alu 0xfffd
	v_cndmask_b32_e32 v27, v34, v32, vcc_lo
	v_mul_lo_u32 v32, v31, s5
	v_xor_b32_e32 v18, v25, v22
	v_cmp_le_u32_e32 vcc_lo, s44, v45
	s_wait_alu 0xf1ff
	v_cndmask_b32_e64 v26, v26, v40, s0
	v_xor_b32_e32 v27, v27, v23
	v_subrev_nc_u32_e32 v40, s44, v39
	v_sub_nc_u32_e32 v33, v18, v22
	v_sub_nc_u32_e32 v18, v5, v30
	v_sub_nc_u32_e32 v32, v1, v32
	v_sub_nc_u32_e32 v27, v27, v23
	v_cndmask_b32_e64 v19, v39, v40, s0
	s_wait_alu 0xfffd
	v_cndmask_b32_e32 v30, v35, v46, vcc_lo
	v_add_nc_u32_e32 v18, v0, v18
	v_add_nc_u32_e32 v32, v0, v32
	v_mul_lo_u32 v23, v33, s5
	v_mul_lo_u32 v35, v27, s5
	v_cmp_le_u32_e64 s0, s44, v19
	v_mul_lo_u32 v18, v18, s13
	v_mul_lo_u32 v19, v32, s13
	v_subrev_nc_u32_e32 v22, s44, v45
	v_sub_nc_u32_e32 v32, v24, v20
	v_add_nc_u32_e32 v25, 1, v26
	v_sub_nc_u32_e32 v23, v6, v23
	v_subrev_nc_u32_e32 v34, s44, v47
	v_cndmask_b32_e32 v37, v45, v22, vcc_lo
	v_sub_nc_u32_e32 v22, v2, v35
	v_mad_co_u64_u32 v[20:21], null, v21, s12, v[18:19]
	v_add_nc_u32_e32 v23, v0, v23
	s_wait_alu 0xf1ff
	v_cndmask_b32_e64 v26, v26, v25, s0
	v_add_nc_u32_e32 v21, v0, v22
	v_add_nc_u32_e32 v35, 1, v30
	v_cmp_le_u32_e64 s0, s44, v37
	v_mul_lo_u32 v18, v23, s13
	v_mad_co_u64_u32 v[22:23], null, v31, s12, v[19:20]
	v_mul_lo_u32 v19, v21, s13
	v_ashrrev_i32_e32 v21, 31, v20
	v_mul_lo_u32 v31, v32, s33
	v_xor_b32_e32 v29, s53, v13
	v_ashrrev_i32_e32 v23, 31, v22
	s_delay_alu instid0(VALU_DEP_4) | instskip(SKIP_2) | instid1(VALU_DEP_4)
	v_lshlrev_b64_e32 v[20:21], 1, v[20:21]
	v_mad_co_u64_u32 v[24:25], null, v33, s12, v[18:19]
	v_xor_b32_e32 v33, v26, v28
	v_lshlrev_b64_e32 v[22:23], 1, v[22:23]
	v_sub_nc_u32_e32 v31, v5, v31
	v_mad_co_u64_u32 v[18:19], null, v27, s12, v[19:20]
	v_add_co_u32 v20, vcc_lo, s10, v20
	v_ashrrev_i32_e32 v25, 31, v24
	s_wait_alu 0xfffd
	v_add_co_ci_u32_e64 v21, null, s11, v21, vcc_lo
	v_add_co_u32 v22, vcc_lo, s10, v22
	s_delay_alu instid0(VALU_DEP_3) | instskip(SKIP_2) | instid1(VALU_DEP_2)
	v_lshlrev_b64_e32 v[24:25], 1, v[24:25]
	s_wait_alu 0xfffd
	v_add_co_ci_u32_e64 v23, null, s11, v23, vcc_lo
	v_add_co_u32 v26, vcc_lo, s10, v24
	s_wait_alu 0xfffd
	s_delay_alu instid0(VALU_DEP_3)
	v_add_co_ci_u32_e64 v27, null, s11, v25, vcc_lo
	v_cmp_le_u32_e32 vcc_lo, s44, v47
	s_wait_alu 0xf1ff
	v_cndmask_b32_e64 v24, v30, v35, s0
	v_sub_nc_u32_e32 v30, v33, v28
	v_mul_hi_u32 v33, v4, s60
	v_xor_b32_e32 v35, s53, v11
	s_wait_alu 0xfffd
	v_cndmask_b32_e32 v19, v36, v48, vcc_lo
	v_cndmask_b32_e32 v25, v47, v34, vcc_lo
	v_xor_b32_e32 v24, v24, v29
	v_mul_lo_u32 v34, v30, s33
	s_delay_alu instid0(VALU_DEP_4) | instskip(NEXT) | instid1(VALU_DEP_4)
	v_add_nc_u32_e32 v28, 1, v19
	v_cmp_le_u32_e32 vcc_lo, s44, v25
	s_delay_alu instid0(VALU_DEP_4) | instskip(SKIP_1) | instid1(VALU_DEP_3)
	v_sub_nc_u32_e32 v36, v24, v29
	s_wait_alu 0xfffd
	v_dual_cndmask_b32 v25, v19, v28 :: v_dual_add_nc_u32 v24, v0, v31
	v_mul_lo_u32 v28, v33, s51
	s_delay_alu instid0(VALU_DEP_3) | instskip(NEXT) | instid1(VALU_DEP_3)
	v_mul_lo_u32 v29, v36, s33
	v_mul_lo_u32 v24, v24, s17
	v_sub_nc_u32_e32 v31, v1, v34
	v_xor_b32_e32 v25, v25, v35
	v_ashrrev_i32_e32 v19, 31, v18
	s_delay_alu instid0(VALU_DEP_3) | instskip(NEXT) | instid1(VALU_DEP_3)
	v_add_nc_u32_e32 v31, v0, v31
	v_sub_nc_u32_e32 v37, v25, v35
	v_sub_nc_u32_e32 v25, v4, v28
	v_add_nc_u32_e32 v28, 1, v33
	v_sub_nc_u32_e32 v34, v6, v29
	v_lshlrev_b64_e32 v[18:19], 1, v[18:19]
	v_mul_lo_u32 v35, v37, s33
	v_subrev_nc_u32_e32 v38, s51, v25
	v_cmp_le_u32_e32 vcc_lo, s51, v25
	s_wait_alu 0xfffd
	v_cndmask_b32_e32 v33, v33, v28, vcc_lo
	v_mad_co_u64_u32 v[28:29], null, v32, s16, v[24:25]
	v_cndmask_b32_e32 v25, v25, v38, vcc_lo
	v_mul_lo_u32 v24, v31, s17
	s_delay_alu instid0(VALU_DEP_4) | instskip(SKIP_4) | instid1(VALU_DEP_4)
	v_add_nc_u32_e32 v29, 1, v33
	v_add_nc_u32_e32 v31, v0, v34
	v_xor_b32_e32 v34, s59, v3
	v_cmp_le_u32_e32 vcc_lo, s51, v25
	v_sub_nc_u32_e32 v32, v2, v35
	v_mul_lo_u32 v25, v31, s17
	s_wait_alu 0xfffd
	v_cndmask_b32_e32 v29, v33, v29, vcc_lo
	v_add_co_u32 v18, vcc_lo, s10, v18
	s_wait_alu 0xfffd
	v_add_co_ci_u32_e64 v19, null, s11, v19, vcc_lo
	s_delay_alu instid0(VALU_DEP_3) | instskip(SKIP_3) | instid1(VALU_DEP_4)
	v_xor_b32_e32 v33, v29, v34
	v_add_nc_u32_e32 v35, v0, v32
	v_mad_co_u64_u32 v[30:31], null, v30, s16, v[24:25]
	v_ashrrev_i32_e32 v29, 31, v28
	v_sub_nc_u32_e32 v38, v33, v34
	v_mad_co_u64_u32 v[32:33], null, v36, s16, v[25:26]
	s_clause 0x3
	global_load_u16 v25, v[20:21], off
	global_load_u16 v22, v[22:23], off
	;; [unrolled: 1-line block ×4, first 2 shown]
	v_mul_lo_u32 v24, v35, s17
	v_mad_co_u64_u32 v[34:35], null, s67, v38, v[0:1]
	v_ashrrev_i32_e32 v31, 31, v30
	v_lshlrev_b64_e32 v[19:20], 1, v[28:29]
	v_ashrrev_i32_e32 v33, 31, v32
	s_delay_alu instid0(VALU_DEP_3) | instskip(SKIP_1) | instid1(VALU_DEP_3)
	v_lshlrev_b64_e32 v[28:29], 1, v[30:31]
	v_mul_lo_u32 v21, v34, s23
	v_lshlrev_b64_e32 v[32:33], 1, v[32:33]
	v_add_co_u32 v19, vcc_lo, s14, v19
	s_wait_alu 0xfffd
	v_add_co_ci_u32_e64 v20, null, s15, v20, vcc_lo
	v_add_co_u32 v28, vcc_lo, s14, v28
	s_wait_alu 0xfffd
	v_add_co_ci_u32_e64 v29, null, s15, v29, vcc_lo
	;; [unrolled: 3-line block ×3, first 2 shown]
	s_wait_loadcnt 0x3
	v_mad_co_u64_u32 v[23:24], null, v37, s16, v[24:25]
	s_wait_loadcnt 0x2
	v_mad_co_u64_u32 v[30:31], null, v38, s22, v[21:22]
	v_mov_b32_e32 v21, 0
	s_delay_alu instid0(VALU_DEP_3) | instskip(NEXT) | instid1(VALU_DEP_3)
	v_ashrrev_i32_e32 v24, 31, v23
	v_ashrrev_i32_e32 v31, 31, v30
	s_delay_alu instid0(VALU_DEP_2) | instskip(NEXT) | instid1(VALU_DEP_2)
	v_lshlrev_b64_e32 v[23:24], 1, v[23:24]
	v_lshlrev_b64_e32 v[30:31], 1, v[30:31]
	s_delay_alu instid0(VALU_DEP_2) | instskip(SKIP_1) | instid1(VALU_DEP_3)
	v_add_co_u32 v34, vcc_lo, s14, v23
	s_wait_alu 0xfffd
	v_add_co_ci_u32_e64 v35, null, s15, v24, vcc_lo
	s_delay_alu instid0(VALU_DEP_3)
	v_add_co_u32 v30, vcc_lo, s20, v30
	s_wait_alu 0xfffd
	v_add_co_ci_u32_e64 v31, null, s21, v31, vcc_lo
	s_clause 0x3
	global_load_u16 v26, v[19:20], off
	global_load_u16 v24, v[28:29], off
	;; [unrolled: 1-line block ×5, first 2 shown]
	v_mov_b32_e32 v33, 0
	v_dual_mov_b32 v29, 0 :: v_dual_mov_b32 v30, 0
	v_dual_mov_b32 v34, 0 :: v_dual_mov_b32 v23, 0
	;; [unrolled: 1-line block ×3, first 2 shown]
	s_and_not1_b32 vcc_lo, exec_lo, s41
	s_wait_alu 0xfffe
	s_cbranch_vccnz .LBB13_5
; %bb.4:                                ;   in Loop: Header=BB13_3 Depth=1
	v_sub_nc_u32_e32 v21, v15, v16
	v_mad_co_u64_u32 v[15:16], null, s66, v17, v[0:1]
	s_delay_alu instid0(VALU_DEP_2) | instskip(SKIP_2) | instid1(VALU_DEP_4)
	v_mul_lo_u32 v17, s6, v21
	v_add_nc_u32_e32 v23, 2, v21
	v_add_nc_u32_e32 v21, 3, v21
	v_mul_lo_u32 v16, v15, s38
	s_delay_alu instid0(VALU_DEP_3) | instskip(SKIP_1) | instid1(VALU_DEP_4)
	v_mad_co_u64_u32 v[29:30], null, s6, v23, v[0:1]
	v_add3_u32 v23, v17, s6, v0
	v_mad_co_u64_u32 v[30:31], null, s6, v21, v[0:1]
	v_mul_lo_u32 v31, v15, s39
	v_ashrrev_i32_e32 v17, 31, v16
	s_delay_alu instid0(VALU_DEP_4)
	v_mul_lo_u32 v33, v23, s38
	v_mul_lo_u32 v15, v29, s38
	;; [unrolled: 1-line block ×5, first 2 shown]
	v_lshlrev_b64_e32 v[37:38], 1, v[16:17]
	v_mul_lo_u32 v41, v30, s39
	v_ashrrev_i32_e32 v32, 31, v31
	v_ashrrev_i32_e32 v34, 31, v33
	;; [unrolled: 1-line block ×4, first 2 shown]
	v_add_co_u32 v37, vcc_lo, s8, v37
	v_ashrrev_i32_e32 v36, 31, v35
	v_lshlrev_b64_e32 v[33:34], 1, v[33:34]
	v_lshlrev_b64_e32 v[15:16], 1, v[15:16]
	v_ashrrev_i32_e32 v30, 31, v29
	s_wait_alu 0xfffd
	v_add_co_ci_u32_e64 v38, null, s9, v38, vcc_lo
	v_lshlrev_b64_e32 v[35:36], 1, v[35:36]
	v_add_co_u32 v33, vcc_lo, s8, v33
	v_lshlrev_b64_e32 v[31:32], 1, v[31:32]
	v_ashrrev_i32_e32 v42, 31, v41
	s_wait_alu 0xfffd
	v_add_co_ci_u32_e64 v34, null, s9, v34, vcc_lo
	v_add_co_u32 v15, vcc_lo, s8, v15
	v_lshlrev_b64_e32 v[39:40], 1, v[39:40]
	s_wait_alu 0xfffd
	v_add_co_ci_u32_e64 v16, null, s9, v16, vcc_lo
	v_add_co_u32 v35, vcc_lo, s8, v35
	v_lshlrev_b64_e32 v[29:30], 1, v[29:30]
	;; [unrolled: 4-line block ×3, first 2 shown]
	s_wait_alu 0xfffd
	v_add_co_ci_u32_e64 v32, null, s19, v32, vcc_lo
	v_add_co_u32 v39, vcc_lo, s18, v39
	s_wait_alu 0xfffd
	v_add_co_ci_u32_e64 v40, null, s19, v40, vcc_lo
	v_add_co_u32 v29, vcc_lo, s18, v29
	;; [unrolled: 3-line block ×3, first 2 shown]
	s_wait_alu 0xfffd
	v_add_co_ci_u32_e64 v42, null, s19, v42, vcc_lo
	global_load_u16 v17, v[37:38], off
	global_load_u16 v21, v[31:32], off
	;; [unrolled: 1-line block ×4, first 2 shown]
	s_clause 0x1
	global_load_u16 v15, v[15:16], off
	global_load_u16 v16, v[35:36], off
	s_clause 0x1
	global_load_u16 v35, v[29:30], off
	global_load_u16 v36, v[41:42], off
	s_wait_loadcnt 0x7
	v_lshlrev_b32_e32 v32, 16, v17
	s_wait_loadcnt 0x6
	v_lshlrev_b32_e32 v30, 16, v21
	;; [unrolled: 2-line block ×8, first 2 shown]
.LBB13_5:                               ;   in Loop: Header=BB13_3 Depth=1
	s_wait_loadcnt 0x6
	v_lshlrev_b32_e32 v15, 16, v27
	s_wait_loadcnt 0x2
	v_lshlrev_b32_e32 v16, 16, v28
	s_delay_alu instid0(VALU_DEP_1) | instskip(NEXT) | instid1(VALU_DEP_1)
	v_add_f32_e32 v15, v15, v16
                                        ; implicit-def: $vgpr16
	v_add_f32_e32 v15, v15, v34
	s_delay_alu instid0(VALU_DEP_1) | instskip(NEXT) | instid1(VALU_DEP_1)
	v_add_f32_e32 v15, v33, v15
	v_cmp_ngt_f32_e64 s0, 0x3f200000, |v15|
	s_and_saveexec_b32 s1, s0
	s_wait_alu 0xfffe
	s_xor_b32 s0, exec_lo, s1
	s_cbranch_execz .LBB13_7
; %bb.6:                                ;   in Loop: Header=BB13_3 Depth=1
	v_add_f32_e64 v16, |v15|, |v15|
	s_delay_alu instid0(VALU_DEP_1) | instskip(SKIP_1) | instid1(VALU_DEP_2)
	v_mul_f32_e32 v17, 0x3fb8aa3b, v16
	v_cmp_ngt_f32_e32 vcc_lo, 0xc2ce8ed0, v16
	v_rndne_f32_e32 v27, v17
	v_fma_f32 v28, 0x3fb8aa3b, v16, -v17
	s_delay_alu instid0(VALU_DEP_1) | instskip(SKIP_1) | instid1(VALU_DEP_2)
	v_dual_sub_f32 v17, v17, v27 :: v_dual_fmac_f32 v28, 0x32a5705f, v16
	v_cvt_i32_f32_e32 v27, v27
	v_add_f32_e32 v17, v17, v28
	s_delay_alu instid0(VALU_DEP_1) | instskip(NEXT) | instid1(TRANS32_DEP_1)
	v_exp_f32_e32 v17, v17
	v_ldexp_f32 v17, v17, v27
	s_wait_alu 0xfffd
	s_delay_alu instid0(VALU_DEP_1) | instskip(SKIP_2) | instid1(VALU_DEP_2)
	v_cndmask_b32_e32 v17, 0, v17, vcc_lo
	v_cmp_nlt_f32_e32 vcc_lo, 0x42b17218, v16
	s_wait_alu 0xfffd
	v_cndmask_b32_e32 v16, 0x7f800000, v17, vcc_lo
	s_delay_alu instid0(VALU_DEP_1) | instskip(NEXT) | instid1(VALU_DEP_1)
	v_add_f32_e32 v16, 1.0, v16
	v_rcp_f32_e32 v16, v16
	s_delay_alu instid0(TRANS32_DEP_1)
	v_fma_f32 v16, v16, -2.0, 1.0
.LBB13_7:                               ;   in Loop: Header=BB13_3 Depth=1
	s_wait_alu 0xfffe
	s_and_not1_saveexec_b32 s0, s0
	s_cbranch_execz .LBB13_9
; %bb.8:                                ;   in Loop: Header=BB13_3 Depth=1
	v_mul_f32_e32 v16, v15, v15
	s_delay_alu instid0(VALU_DEP_1) | instskip(NEXT) | instid1(VALU_DEP_1)
	v_fmaak_f32 v17, s70, v16, 0x3ca908c9
	v_fmaak_f32 v17, v16, v17, 0xbd5c1c4e
	s_delay_alu instid0(VALU_DEP_1) | instskip(NEXT) | instid1(VALU_DEP_1)
	v_fmaak_f32 v17, v16, v17, 0x3e088382
	v_fmaak_f32 v17, v16, v17, 0xbeaaaa99
	s_delay_alu instid0(VALU_DEP_1) | instskip(NEXT) | instid1(VALU_DEP_1)
	v_mul_f32_e64 v17, |v15|, v17
	v_fma_f32 v16, v16, v17, |v15|
.LBB13_9:                               ;   in Loop: Header=BB13_3 Depth=1
	s_wait_alu 0xfffe
	s_or_b32 exec_lo, exec_lo, s0
	v_lshlrev_b32_e32 v22, 16, v22
	v_lshlrev_b32_e32 v24, 16, v24
	;; [unrolled: 1-line block ×3, first 2 shown]
	v_bfi_b32 v15, 0x7fffffff, v16, v15
	s_delay_alu instid0(VALU_DEP_3) | instskip(NEXT) | instid1(VALU_DEP_1)
	v_dual_add_f32 v22, v22, v24 :: v_dual_lshlrev_b32 v25, 16, v26
	v_dual_add_f32 v22, v22, v31 :: v_dual_add_f32 v17, v17, v25
	s_delay_alu instid0(VALU_DEP_1) | instskip(NEXT) | instid1(VALU_DEP_2)
	v_add_f32_e32 v22, v29, v22
	v_add_f32_e32 v17, v17, v32
	s_delay_alu instid0(VALU_DEP_2) | instskip(NEXT) | instid1(VALU_DEP_2)
	v_mul_f32_e32 v25, 0xbfb8aa3b, v22
	v_add_f32_e32 v17, v30, v17
	s_delay_alu instid0(VALU_DEP_2) | instskip(NEXT) | instid1(VALU_DEP_2)
	v_fma_f32 v28, 0xbfb8aa3b, v22, -v25
	v_mul_f32_e32 v24, 0xbfb8aa3b, v17
	v_rndne_f32_e32 v29, v25
	v_cmp_nlt_f32_e32 vcc_lo, 0x42ce8ed0, v17
	s_delay_alu instid0(VALU_DEP_4) | instskip(NEXT) | instid1(VALU_DEP_4)
	v_fmac_f32_e32 v28, 0xb2a5705f, v22
	v_fma_f32 v26, 0xbfb8aa3b, v17, -v24
	v_rndne_f32_e32 v27, v24
	v_sub_f32_e32 v25, v25, v29
	s_delay_alu instid0(VALU_DEP_3) | instskip(NEXT) | instid1(VALU_DEP_2)
	v_fmac_f32_e32 v26, 0xb2a5705f, v17
	v_dual_sub_f32 v24, v24, v27 :: v_dual_add_f32 v25, v25, v28
	s_delay_alu instid0(VALU_DEP_1) | instskip(SKIP_1) | instid1(VALU_DEP_3)
	v_add_f32_e32 v24, v24, v26
	v_cvt_i32_f32_e32 v26, v27
	v_exp_f32_e32 v25, v25
	v_cvt_i32_f32_e32 v27, v29
	s_delay_alu instid0(VALU_DEP_3)
	v_exp_f32_e32 v24, v24
	s_delay_alu instid0(TRANS32_DEP_2) | instid1(VALU_DEP_1)
	v_ldexp_f32 v25, v25, v27
	s_delay_alu instid0(TRANS32_DEP_1) | instskip(SKIP_1) | instid1(VALU_DEP_1)
	v_ldexp_f32 v24, v24, v26
	s_wait_alu 0xfffd
	v_cndmask_b32_e32 v24, 0, v24, vcc_lo
	v_cmp_nlt_f32_e32 vcc_lo, 0x42ce8ed0, v22
	s_wait_alu 0xfffd
	v_cndmask_b32_e32 v25, 0, v25, vcc_lo
	v_cmp_ngt_f32_e32 vcc_lo, 0xc2b17218, v17
	s_wait_alu 0xfffd
	v_cndmask_b32_e32 v17, 0x7f800000, v24, vcc_lo
	v_cmp_ngt_f32_e32 vcc_lo, 0xc2b17218, v22
	s_wait_alu 0xfffd
	v_cndmask_b32_e32 v22, 0x7f800000, v25, vcc_lo
	s_delay_alu instid0(VALU_DEP_1) | instskip(NEXT) | instid1(VALU_DEP_1)
	v_dual_add_f32 v22, 1.0, v22 :: v_dual_add_f32 v17, 1.0, v17
	v_div_scale_f32 v25, null, v22, v22, 1.0
	s_delay_alu instid0(VALU_DEP_2) | instskip(SKIP_1) | instid1(VALU_DEP_3)
	v_div_scale_f32 v24, null, v17, v17, 1.0
	v_div_scale_f32 v30, vcc_lo, 1.0, v17, 1.0
	v_rcp_f32_e32 v27, v25
	s_delay_alu instid0(VALU_DEP_2) | instskip(NEXT) | instid1(TRANS32_DEP_2)
	v_rcp_f32_e32 v26, v24
	v_fma_f32 v29, -v25, v27, 1.0
	s_delay_alu instid0(TRANS32_DEP_1) | instskip(NEXT) | instid1(VALU_DEP_1)
	v_fma_f32 v28, -v24, v26, 1.0
	v_dual_fmac_f32 v27, v29, v27 :: v_dual_fmac_f32 v26, v28, v26
	v_div_scale_f32 v28, s0, 1.0, v22, 1.0
	s_delay_alu instid0(VALU_DEP_1) | instskip(NEXT) | instid1(VALU_DEP_1)
	v_mul_f32_e32 v31, v28, v27
	v_fma_f32 v33, -v25, v31, v28
	s_delay_alu instid0(VALU_DEP_1) | instskip(SKIP_1) | instid1(VALU_DEP_2)
	v_fmac_f32_e32 v31, v33, v27
	v_mul_f32_e32 v29, v30, v26
	v_fma_f32 v25, -v25, v31, v28
	s_delay_alu instid0(VALU_DEP_2) | instskip(NEXT) | instid1(VALU_DEP_1)
	v_fma_f32 v32, -v24, v29, v30
	v_fmac_f32_e32 v29, v32, v26
	s_delay_alu instid0(VALU_DEP_1) | instskip(SKIP_1) | instid1(VALU_DEP_1)
	v_fma_f32 v24, -v24, v29, v30
	s_wait_alu 0xfffd
	v_div_fmas_f32 v24, v24, v26, v29
	s_mov_b32 vcc_lo, s0
	s_wait_alu 0xfffe
	v_div_fmas_f32 v25, v25, v27, v31
	s_delay_alu instid0(VALU_DEP_2) | instskip(NEXT) | instid1(VALU_DEP_2)
	v_div_fixup_f32 v17, v24, v17, 1.0
	v_div_fixup_f32 v16, v25, v22, 1.0
	s_wait_loadcnt 0x0
	v_lshlrev_b32_e32 v22, 16, v19
	s_delay_alu instid0(VALU_DEP_3) | instskip(NEXT) | instid1(VALU_DEP_1)
	v_mul_f32_e32 v19, v17, v15
	v_fmac_f32_e32 v19, v16, v22
                                        ; implicit-def: $vgpr22
	s_delay_alu instid0(VALU_DEP_1)
	v_cmp_ngt_f32_e64 s0, 0x3f200000, |v19|
	s_and_saveexec_b32 s1, s0
	s_wait_alu 0xfffe
	s_xor_b32 s0, exec_lo, s1
	s_cbranch_execz .LBB13_11
; %bb.10:                               ;   in Loop: Header=BB13_3 Depth=1
	v_add_f32_e64 v22, |v19|, |v19|
	s_delay_alu instid0(VALU_DEP_1) | instskip(SKIP_1) | instid1(VALU_DEP_2)
	v_mul_f32_e32 v24, 0x3fb8aa3b, v22
	v_cmp_ngt_f32_e32 vcc_lo, 0xc2ce8ed0, v22
	v_rndne_f32_e32 v25, v24
	v_fma_f32 v26, 0x3fb8aa3b, v22, -v24
	s_delay_alu instid0(VALU_DEP_2) | instskip(NEXT) | instid1(VALU_DEP_2)
	v_sub_f32_e32 v24, v24, v25
	v_fmac_f32_e32 v26, 0x32a5705f, v22
	v_cvt_i32_f32_e32 v25, v25
	s_delay_alu instid0(VALU_DEP_2) | instskip(NEXT) | instid1(VALU_DEP_1)
	v_add_f32_e32 v24, v24, v26
	v_exp_f32_e32 v24, v24
	s_delay_alu instid0(TRANS32_DEP_1) | instskip(SKIP_1) | instid1(VALU_DEP_1)
	v_ldexp_f32 v24, v24, v25
	s_wait_alu 0xfffd
	v_cndmask_b32_e32 v24, 0, v24, vcc_lo
	v_cmp_nlt_f32_e32 vcc_lo, 0x42b17218, v22
	s_wait_alu 0xfffd
	s_delay_alu instid0(VALU_DEP_2) | instskip(NEXT) | instid1(VALU_DEP_1)
	v_cndmask_b32_e32 v22, 0x7f800000, v24, vcc_lo
	v_add_f32_e32 v22, 1.0, v22
	s_delay_alu instid0(VALU_DEP_1) | instskip(NEXT) | instid1(TRANS32_DEP_1)
	v_rcp_f32_e32 v22, v22
	v_fma_f32 v22, v22, -2.0, 1.0
.LBB13_11:                              ;   in Loop: Header=BB13_3 Depth=1
	s_wait_alu 0xfffe
	s_and_not1_saveexec_b32 s0, s0
	s_cbranch_execz .LBB13_2
; %bb.12:                               ;   in Loop: Header=BB13_3 Depth=1
	v_mul_f32_e32 v22, v19, v19
	s_delay_alu instid0(VALU_DEP_1) | instskip(NEXT) | instid1(VALU_DEP_1)
	v_fmaak_f32 v24, s70, v22, 0x3ca908c9
	v_fmaak_f32 v24, v22, v24, 0xbd5c1c4e
	s_delay_alu instid0(VALU_DEP_1) | instskip(NEXT) | instid1(VALU_DEP_1)
	v_fmaak_f32 v24, v22, v24, 0x3e088382
	v_fmaak_f32 v24, v22, v24, 0xbeaaaa99
	s_delay_alu instid0(VALU_DEP_1) | instskip(NEXT) | instid1(VALU_DEP_1)
	v_mul_f32_e64 v24, |v19|, v24
	v_fma_f32 v22, v22, v24, |v19|
	s_branch .LBB13_2
.LBB13_13:
	s_endpgm
	.section	.rodata,"a",@progbits
	.p2align	6, 0x0
	.amdhsa_kernel _ZN2at6native12_GLOBAL__N_16kernel17lstm_cell_forwardIN3c108BFloat16EfiLi2EEEvNS_4cuda6detail10TensorInfoIT_T1_EESB_SB_SB_SB_SB_SB_SB_SA_SA_
		.amdhsa_group_segment_fixed_size 0
		.amdhsa_private_segment_fixed_size 0
		.amdhsa_kernarg_size 1992
		.amdhsa_user_sgpr_count 2
		.amdhsa_user_sgpr_dispatch_ptr 0
		.amdhsa_user_sgpr_queue_ptr 0
		.amdhsa_user_sgpr_kernarg_segment_ptr 1
		.amdhsa_user_sgpr_dispatch_id 0
		.amdhsa_user_sgpr_private_segment_size 0
		.amdhsa_wavefront_size32 1
		.amdhsa_uses_dynamic_stack 0
		.amdhsa_enable_private_segment 0
		.amdhsa_system_sgpr_workgroup_id_x 1
		.amdhsa_system_sgpr_workgroup_id_y 0
		.amdhsa_system_sgpr_workgroup_id_z 0
		.amdhsa_system_sgpr_workgroup_info 0
		.amdhsa_system_vgpr_workitem_id 0
		.amdhsa_next_free_vgpr 49
		.amdhsa_next_free_sgpr 71
		.amdhsa_reserve_vcc 1
		.amdhsa_float_round_mode_32 0
		.amdhsa_float_round_mode_16_64 0
		.amdhsa_float_denorm_mode_32 3
		.amdhsa_float_denorm_mode_16_64 3
		.amdhsa_fp16_overflow 0
		.amdhsa_workgroup_processor_mode 1
		.amdhsa_memory_ordered 1
		.amdhsa_forward_progress 1
		.amdhsa_inst_pref_size 44
		.amdhsa_round_robin_scheduling 0
		.amdhsa_exception_fp_ieee_invalid_op 0
		.amdhsa_exception_fp_denorm_src 0
		.amdhsa_exception_fp_ieee_div_zero 0
		.amdhsa_exception_fp_ieee_overflow 0
		.amdhsa_exception_fp_ieee_underflow 0
		.amdhsa_exception_fp_ieee_inexact 0
		.amdhsa_exception_int_div_zero 0
	.end_amdhsa_kernel
	.section	.text._ZN2at6native12_GLOBAL__N_16kernel17lstm_cell_forwardIN3c108BFloat16EfiLi2EEEvNS_4cuda6detail10TensorInfoIT_T1_EESB_SB_SB_SB_SB_SB_SB_SA_SA_,"axG",@progbits,_ZN2at6native12_GLOBAL__N_16kernel17lstm_cell_forwardIN3c108BFloat16EfiLi2EEEvNS_4cuda6detail10TensorInfoIT_T1_EESB_SB_SB_SB_SB_SB_SB_SA_SA_,comdat
.Lfunc_end13:
	.size	_ZN2at6native12_GLOBAL__N_16kernel17lstm_cell_forwardIN3c108BFloat16EfiLi2EEEvNS_4cuda6detail10TensorInfoIT_T1_EESB_SB_SB_SB_SB_SB_SB_SA_SA_, .Lfunc_end13-_ZN2at6native12_GLOBAL__N_16kernel17lstm_cell_forwardIN3c108BFloat16EfiLi2EEEvNS_4cuda6detail10TensorInfoIT_T1_EESB_SB_SB_SB_SB_SB_SB_SA_SA_
                                        ; -- End function
	.set _ZN2at6native12_GLOBAL__N_16kernel17lstm_cell_forwardIN3c108BFloat16EfiLi2EEEvNS_4cuda6detail10TensorInfoIT_T1_EESB_SB_SB_SB_SB_SB_SB_SA_SA_.num_vgpr, 49
	.set _ZN2at6native12_GLOBAL__N_16kernel17lstm_cell_forwardIN3c108BFloat16EfiLi2EEEvNS_4cuda6detail10TensorInfoIT_T1_EESB_SB_SB_SB_SB_SB_SB_SA_SA_.num_agpr, 0
	.set _ZN2at6native12_GLOBAL__N_16kernel17lstm_cell_forwardIN3c108BFloat16EfiLi2EEEvNS_4cuda6detail10TensorInfoIT_T1_EESB_SB_SB_SB_SB_SB_SB_SA_SA_.numbered_sgpr, 71
	.set _ZN2at6native12_GLOBAL__N_16kernel17lstm_cell_forwardIN3c108BFloat16EfiLi2EEEvNS_4cuda6detail10TensorInfoIT_T1_EESB_SB_SB_SB_SB_SB_SB_SA_SA_.num_named_barrier, 0
	.set _ZN2at6native12_GLOBAL__N_16kernel17lstm_cell_forwardIN3c108BFloat16EfiLi2EEEvNS_4cuda6detail10TensorInfoIT_T1_EESB_SB_SB_SB_SB_SB_SB_SA_SA_.private_seg_size, 0
	.set _ZN2at6native12_GLOBAL__N_16kernel17lstm_cell_forwardIN3c108BFloat16EfiLi2EEEvNS_4cuda6detail10TensorInfoIT_T1_EESB_SB_SB_SB_SB_SB_SB_SA_SA_.uses_vcc, 1
	.set _ZN2at6native12_GLOBAL__N_16kernel17lstm_cell_forwardIN3c108BFloat16EfiLi2EEEvNS_4cuda6detail10TensorInfoIT_T1_EESB_SB_SB_SB_SB_SB_SB_SA_SA_.uses_flat_scratch, 0
	.set _ZN2at6native12_GLOBAL__N_16kernel17lstm_cell_forwardIN3c108BFloat16EfiLi2EEEvNS_4cuda6detail10TensorInfoIT_T1_EESB_SB_SB_SB_SB_SB_SB_SA_SA_.has_dyn_sized_stack, 0
	.set _ZN2at6native12_GLOBAL__N_16kernel17lstm_cell_forwardIN3c108BFloat16EfiLi2EEEvNS_4cuda6detail10TensorInfoIT_T1_EESB_SB_SB_SB_SB_SB_SB_SA_SA_.has_recursion, 0
	.set _ZN2at6native12_GLOBAL__N_16kernel17lstm_cell_forwardIN3c108BFloat16EfiLi2EEEvNS_4cuda6detail10TensorInfoIT_T1_EESB_SB_SB_SB_SB_SB_SB_SA_SA_.has_indirect_call, 0
	.section	.AMDGPU.csdata,"",@progbits
; Kernel info:
; codeLenInByte = 5560
; TotalNumSgprs: 73
; NumVgprs: 49
; ScratchSize: 0
; MemoryBound: 0
; FloatMode: 240
; IeeeMode: 1
; LDSByteSize: 0 bytes/workgroup (compile time only)
; SGPRBlocks: 0
; VGPRBlocks: 6
; NumSGPRsForWavesPerEU: 73
; NumVGPRsForWavesPerEU: 49
; Occupancy: 16
; WaveLimiterHint : 1
; COMPUTE_PGM_RSRC2:SCRATCH_EN: 0
; COMPUTE_PGM_RSRC2:USER_SGPR: 2
; COMPUTE_PGM_RSRC2:TRAP_HANDLER: 0
; COMPUTE_PGM_RSRC2:TGID_X_EN: 1
; COMPUTE_PGM_RSRC2:TGID_Y_EN: 0
; COMPUTE_PGM_RSRC2:TGID_Z_EN: 0
; COMPUTE_PGM_RSRC2:TIDIG_COMP_CNT: 0
	.section	.text._ZN2at6native12_GLOBAL__N_16kernel17lstm_cell_forwardIN3c108BFloat16EflLi1EEEvNS_4cuda6detail10TensorInfoIT_T1_EESB_SB_SB_SB_SB_SB_SB_SA_SA_,"axG",@progbits,_ZN2at6native12_GLOBAL__N_16kernel17lstm_cell_forwardIN3c108BFloat16EflLi1EEEvNS_4cuda6detail10TensorInfoIT_T1_EESB_SB_SB_SB_SB_SB_SB_SA_SA_,comdat
	.globl	_ZN2at6native12_GLOBAL__N_16kernel17lstm_cell_forwardIN3c108BFloat16EflLi1EEEvNS_4cuda6detail10TensorInfoIT_T1_EESB_SB_SB_SB_SB_SB_SB_SA_SA_ ; -- Begin function _ZN2at6native12_GLOBAL__N_16kernel17lstm_cell_forwardIN3c108BFloat16EflLi1EEEvNS_4cuda6detail10TensorInfoIT_T1_EESB_SB_SB_SB_SB_SB_SB_SA_SA_
	.p2align	8
	.type	_ZN2at6native12_GLOBAL__N_16kernel17lstm_cell_forwardIN3c108BFloat16EflLi1EEEvNS_4cuda6detail10TensorInfoIT_T1_EESB_SB_SB_SB_SB_SB_SB_SA_SA_,@function
_ZN2at6native12_GLOBAL__N_16kernel17lstm_cell_forwardIN3c108BFloat16EflLi1EEEvNS_4cuda6detail10TensorInfoIT_T1_EESB_SB_SB_SB_SB_SB_SB_SA_SA_: ; @_ZN2at6native12_GLOBAL__N_16kernel17lstm_cell_forwardIN3c108BFloat16EflLi1EEEvNS_4cuda6detail10TensorInfoIT_T1_EESB_SB_SB_SB_SB_SB_SB_SA_SA_
; %bb.0:
	s_clause 0x1
	s_load_b32 s2, s[0:1], 0xd1c
	s_load_b128 s[4:7], s[0:1], 0xd00
	v_mov_b32_e32 v1, 0
	s_wait_kmcnt 0x0
	s_and_b32 s22, s2, 0xffff
	s_mov_b32 s2, exec_lo
	s_delay_alu instid0(VALU_DEP_1) | instskip(SKIP_1) | instid1(VALU_DEP_1)
	v_mad_co_u64_u32 v[3:4], null, ttmp9, s22, v[0:1]
	v_mov_b32_e32 v4, v1
	v_cmpx_gt_i64_e64 s[6:7], v[3:4]
	s_cbranch_execz .LBB14_18
; %bb.1:
	s_load_b64 s[36:37], s[0:1], 0x750
	s_add_nc_u64 s[8:9], s[0:1], 0xd10
	s_clause 0x3
	s_load_b64 s[2:3], s[0:1], 0x340
	s_load_b64 s[38:39], s[0:1], 0x680
	s_load_b64 s[40:41], s[0:1], 0x820
	s_load_b64 s[42:43], s[0:1], 0x8f0
	s_load_b32 s28, s[8:9], 0x0
	s_clause 0xa
	s_load_b64 s[8:9], s[0:1], 0x0
	s_load_b64 s[10:11], s[0:1], 0xd0
	;; [unrolled: 1-line block ×11, first 2 shown]
	s_mov_b32 s23, 0
	s_mul_u64 s[30:31], s[4:5], 3
	s_wait_alu 0xfffe
	s_mov_b32 s29, s23
	s_sub_nc_u64 s[34:35], 0, s[4:5]
	s_mov_b32 s33, 0
	s_wait_kmcnt 0x0
	s_cmp_lg_u64 s[2:3], 0
	s_cselect_b32 s1, -1, 0
	v_mul_lo_u32 v11, 0, s42
	v_mad_co_u64_u32 v[7:8], null, v3, s42, 0
	s_mul_i32 s28, s28, s22
	v_mul_lo_u32 v0, 0, s36
	v_mul_lo_u32 v2, v3, s37
	v_mad_co_u64_u32 v[5:6], null, v3, s36, 0
	v_mul_lo_u32 v12, v3, s45
	v_mad_co_u64_u32 v[9:10], null, v3, s44, 0
	s_mul_u64 s[36:37], s[28:29], s[36:37]
	s_wait_alu 0xfffe
	s_lshl_b64 s[36:37], s[36:37], 1
	v_add3_u32 v6, v6, v2, v0
	v_mul_lo_u32 v0, v3, s43
	v_mul_lo_u32 v2, 0, s44
	s_delay_alu instid0(VALU_DEP_3) | instskip(NEXT) | instid1(VALU_DEP_3)
	v_lshlrev_b64_e32 v[5:6], 1, v[5:6]
	v_add3_u32 v8, v8, v0, v11
	v_cvt_f32_u32_e32 v0, s4
	s_delay_alu instid0(VALU_DEP_4) | instskip(NEXT) | instid1(VALU_DEP_4)
	v_add3_u32 v10, v10, v12, v2
	v_add_co_u32 v5, vcc_lo, s38, v5
	s_delay_alu instid0(VALU_DEP_4) | instskip(NEXT) | instid1(VALU_DEP_4)
	v_lshlrev_b64_e32 v[7:8], 1, v[7:8]
	v_rcp_iflag_f32_e32 v0, v0
	s_delay_alu instid0(VALU_DEP_3)
	v_lshlrev_b64_e32 v[9:10], 1, v[9:10]
	v_add_co_ci_u32_e64 v6, null, s39, v6, vcc_lo
	s_mul_u64 s[38:39], s[28:29], s[42:43]
	v_add_co_u32 v7, vcc_lo, s40, v7
	s_wait_alu 0xfffd
	v_add_co_ci_u32_e64 v8, null, s41, v8, vcc_lo
	v_add_co_u32 v9, vcc_lo, s46, v9
	s_delay_alu instid0(TRANS32_DEP_1)
	v_mul_f32_e32 v0, 0x4f7ffffe, v0
	s_wait_alu 0xfffd
	v_add_co_ci_u32_e64 v10, null, s47, v10, vcc_lo
	s_mul_u64 s[40:41], s[28:29], s[44:45]
	s_wait_alu 0xfffe
	s_lshl_b64 s[38:39], s[38:39], 1
	v_cvt_u32_f32_e32 v0, v0
	s_lshl_b64 s[40:41], s[40:41], 1
	s_ashr_i32 s42, s5, 31
	s_mov_b32 s29, 0xbbbac73d
	s_branch .LBB14_3
.LBB14_2:                               ;   in Loop: Header=BB14_3 Depth=1
	s_wait_alu 0xfffe
	s_or_b32 exec_lo, exec_lo, s0
	v_lshlrev_b32_e32 v16, 16, v16
	v_lshlrev_b32_e32 v21, 16, v21
	v_bfi_b32 v26, 0x7fffffff, v26, v22
	v_bfe_u32 v35, v24, 16, 1
	v_mul_lo_u32 v19, v19, s26
	v_mul_lo_u32 v31, v12, s27
	v_add_f32_e32 v16, v16, v21
	v_bfe_u32 v38, v23, 16, 1
	v_add3_u32 v35, v24, v35, 0x7fff
	v_mul_lo_u32 v28, v20, s26
	v_mul_lo_u32 v29, v14, s27
	v_add_f32_e32 v16, v16, v18
	v_add3_u32 v38, v23, v38, 0x7fff
	v_mul_lo_u32 v33, v13, s26
	v_mul_lo_u32 v34, v15, s27
	;; [unrolled: 1-line block ×3, first 2 shown]
	v_add_f32_e32 v16, v17, v16
	v_bfe_u32 v37, v25, 16, 1
	v_add_co_u32 v3, s0, v3, s28
	s_wait_alu 0xf1ff
	v_add_co_ci_u32_e64 v4, null, 0, v4, s0
	v_mul_f32_e32 v17, 0xbfb8aa3b, v16
	v_cmp_nlt_f32_e32 vcc_lo, 0x42ce8ed0, v16
	v_add3_u32 v37, v25, v37, 0x7fff
	v_add_co_u32 v5, s0, v5, s36
	s_delay_alu instid0(VALU_DEP_4) | instskip(SKIP_4) | instid1(VALU_DEP_3)
	v_fma_f32 v18, 0xbfb8aa3b, v16, -v17
	v_rndne_f32_e32 v21, v17
	s_wait_alu 0xf1ff
	v_add_co_ci_u32_e64 v6, null, s37, v6, s0
	v_cmp_le_i64_e64 s0, s[6:7], v[3:4]
	v_dual_fmac_f32 v18, 0xb2a5705f, v16 :: v_dual_sub_f32 v17, v17, v21
	s_or_b32 s33, s0, s33
	s_delay_alu instid0(VALU_DEP_1) | instskip(SKIP_3) | instid1(VALU_DEP_4)
	v_add_f32_e32 v17, v17, v18
	v_cvt_i32_f32_e32 v18, v21
	v_mad_co_u64_u32 v[20:21], null, v14, s26, 0
	v_mad_co_u64_u32 v[13:14], null, v15, s26, 0
	v_exp_f32_e32 v17, v17
	v_bfe_u32 v15, v22, 16, 1
	s_delay_alu instid0(VALU_DEP_3) | instskip(SKIP_1) | instid1(VALU_DEP_3)
	v_add3_u32 v21, v21, v29, v28
	v_lshrrev_b32_e32 v29, 16, v38
	v_add3_u32 v15, v22, v15, 0x7fff
	v_lshrrev_b32_e32 v28, 16, v37
	v_add3_u32 v14, v14, v34, v33
	s_delay_alu instid0(TRANS32_DEP_1) | instskip(SKIP_1) | instid1(VALU_DEP_3)
	v_ldexp_f32 v17, v17, v18
	v_mul_lo_u32 v18, v11, s27
	v_lshlrev_b64_e32 v[13:14], 1, v[13:14]
	s_wait_alu 0xfffd
	s_delay_alu instid0(VALU_DEP_3) | instskip(SKIP_2) | instid1(VALU_DEP_2)
	v_cndmask_b32_e32 v17, 0, v17, vcc_lo
	v_cmp_ngt_f32_e32 vcc_lo, 0xc2b17218, v16
	s_wait_alu 0xfffd
	v_cndmask_b32_e32 v16, 0x7f800000, v17, vcc_lo
	s_delay_alu instid0(VALU_DEP_1) | instskip(SKIP_2) | instid1(VALU_DEP_3)
	v_add_f32_e32 v27, 1.0, v16
	v_mad_co_u64_u32 v[16:17], null, v11, s26, 0
	v_mad_co_u64_u32 v[11:12], null, v12, s26, 0
	v_div_scale_f32 v30, null, v27, v27, 1.0
	v_div_scale_f32 v39, vcc_lo, 1.0, v27, 1.0
	s_delay_alu instid0(VALU_DEP_4) | instskip(NEXT) | instid1(VALU_DEP_3)
	v_add3_u32 v17, v17, v18, v2
	v_rcp_f32_e32 v32, v30
	s_delay_alu instid0(VALU_DEP_4) | instskip(SKIP_2) | instid1(VALU_DEP_3)
	v_add3_u32 v12, v12, v31, v19
	v_lshrrev_b32_e32 v19, 16, v35
	v_lshrrev_b32_e32 v2, 16, v15
	v_lshlrev_b64_e32 v[11:12], 1, v[11:12]
	s_delay_alu instid0(TRANS32_DEP_1) | instskip(NEXT) | instid1(VALU_DEP_1)
	v_fma_f32 v36, -v30, v32, 1.0
	v_fmac_f32_e32 v32, v36, v32
	s_delay_alu instid0(VALU_DEP_1) | instskip(NEXT) | instid1(VALU_DEP_1)
	v_mul_f32_e32 v36, v39, v32
	v_fma_f32 v40, -v30, v36, v39
	s_delay_alu instid0(VALU_DEP_1) | instskip(NEXT) | instid1(VALU_DEP_1)
	v_fmac_f32_e32 v36, v40, v32
	v_fma_f32 v15, -v30, v36, v39
	s_wait_alu 0xfffd
	s_delay_alu instid0(VALU_DEP_1)
	v_div_fmas_f32 v30, v15, v32, v36
	v_cmp_o_f32_e32 vcc_lo, v22, v22
	v_lshlrev_b64_e32 v[15:16], 1, v[16:17]
	v_lshlrev_b64_e32 v[17:18], 1, v[20:21]
	s_wait_alu 0xfffd
	v_cndmask_b32_e32 v2, 0x7fc0, v2, vcc_lo
	v_cmp_o_f32_e32 vcc_lo, v24, v24
	v_div_fixup_f32 v20, v30, v27, 1.0
	s_wait_alu 0xfffd
	v_cndmask_b32_e32 v19, 0x7fc0, v19, vcc_lo
	v_cmp_o_f32_e32 vcc_lo, v25, v25
	s_delay_alu instid0(VALU_DEP_3)
	v_mul_f32_e32 v21, v20, v26
	v_bfe_u32 v25, v20, 16, 1
	s_wait_alu 0xfffd
	v_cndmask_b32_e32 v22, 0x7fc0, v28, vcc_lo
	v_cmp_o_f32_e32 vcc_lo, v23, v23
	v_bfe_u32 v24, v21, 16, 1
	v_add3_u32 v25, v20, v25, 0x7fff
	s_wait_alu 0xfffd
	v_cndmask_b32_e32 v23, 0x7fc0, v29, vcc_lo
	v_add_co_u32 v15, vcc_lo, s24, v15
	v_add3_u32 v24, v21, v24, 0x7fff
	s_wait_alu 0xfffd
	v_add_co_ci_u32_e64 v16, null, s25, v16, vcc_lo
	v_add_co_u32 v17, vcc_lo, s24, v17
	s_wait_alu 0xfffd
	v_add_co_ci_u32_e64 v18, null, s25, v18, vcc_lo
	v_add_co_u32 v11, vcc_lo, s24, v11
	v_lshrrev_b32_e32 v24, 16, v24
	s_wait_alu 0xfffd
	v_add_co_ci_u32_e64 v12, null, s25, v12, vcc_lo
	v_cmp_o_f32_e32 vcc_lo, v21, v21
	v_lshrrev_b32_e32 v25, 16, v25
	s_wait_alu 0xfffd
	v_cndmask_b32_e32 v21, 0x7fc0, v24, vcc_lo
	v_add_co_u32 v13, vcc_lo, s24, v13
	s_wait_alu 0xfffd
	v_add_co_ci_u32_e64 v14, null, s25, v14, vcc_lo
	v_cmp_o_f32_e32 vcc_lo, v20, v20
	global_store_b16 v[7:8], v21, off
	global_store_b16 v[9:10], v2, off
	s_clause 0x1
	global_store_b16 v[15:16], v19, off
	global_store_b16 v[17:18], v22, off
	s_wait_alu 0xfffd
	v_cndmask_b32_e32 v20, 0x7fc0, v25, vcc_lo
	v_add_co_u32 v7, vcc_lo, v7, s38
	s_wait_alu 0xfffd
	v_add_co_ci_u32_e64 v8, null, s39, v8, vcc_lo
	v_add_co_u32 v9, vcc_lo, v9, s40
	s_wait_alu 0xfffd
	v_add_co_ci_u32_e64 v10, null, s41, v10, vcc_lo
	s_clause 0x1
	global_store_b16 v[11:12], v23, off
	global_store_b16 v[13:14], v20, off
	s_and_not1_b32 exec_lo, exec_lo, s33
	s_cbranch_execz .LBB14_18
.LBB14_3:                               ; =>This Inner Loop Header: Depth=1
	v_or_b32_e32 v2, s5, v4
                                        ; implicit-def: $vgpr17_vgpr18
	s_mov_b32 s0, exec_lo
	s_delay_alu instid0(VALU_DEP_1)
	v_cmpx_ne_u64_e32 0, v[1:2]
	s_wait_alu 0xfffe
	s_xor_b32 s46, exec_lo, s0
	s_cbranch_execz .LBB14_5
; %bb.4:                                ;   in Loop: Header=BB14_3 Depth=1
	s_mov_b32 s43, s42
	v_ashrrev_i32_e32 v2, 31, v4
	s_wait_alu 0xfffe
	s_add_nc_u64 s[44:45], s[4:5], s[42:43]
	s_wait_alu 0xfffe
	s_xor_b64 s[44:45], s[44:45], s[42:43]
	v_add_co_u32 v11, vcc_lo, v3, v2
	s_wait_alu 0xfffe
	s_cvt_f32_u32 s0, s44
	s_cvt_f32_u32 s22, s45
	s_sub_nc_u64 s[50:51], 0, s[44:45]
	s_wait_alu 0xfffd
	v_add_co_ci_u32_e64 v12, null, v4, v2, vcc_lo
	s_wait_alu 0xfffe
	s_fmamk_f32 s0, s22, 0x4f800000, s0
	v_xor_b32_e32 v17, v11, v2
	s_delay_alu instid0(VALU_DEP_2) | instskip(SKIP_3) | instid1(TRANS32_DEP_1)
	v_xor_b32_e32 v18, v12, v2
	s_wait_alu 0xfffe
	v_s_rcp_f32 s0, s0
	v_xor_b32_e32 v2, s42, v2
	s_mul_f32 s0, s0, 0x5f7ffffc
	s_wait_alu 0xfffe
	s_delay_alu instid0(SALU_CYCLE_2) | instskip(SKIP_1) | instid1(SALU_CYCLE_2)
	s_mul_f32 s22, s0, 0x2f800000
	s_wait_alu 0xfffe
	s_trunc_f32 s22, s22
	s_wait_alu 0xfffe
	s_delay_alu instid0(SALU_CYCLE_2) | instskip(SKIP_2) | instid1(SALU_CYCLE_1)
	s_fmamk_f32 s0, s22, 0xcf800000, s0
	s_cvt_u32_f32 s49, s22
	s_wait_alu 0xfffe
	s_cvt_u32_f32 s48, s0
	s_delay_alu instid0(SALU_CYCLE_3) | instskip(NEXT) | instid1(SALU_CYCLE_1)
	s_mul_u64 s[52:53], s[50:51], s[48:49]
	s_mul_hi_u32 s55, s48, s53
	s_mul_i32 s54, s48, s53
	s_mul_hi_u32 s22, s48, s52
	s_mul_i32 s43, s49, s52
	s_wait_alu 0xfffe
	s_add_nc_u64 s[54:55], s[22:23], s[54:55]
	s_mul_hi_u32 s0, s49, s52
	s_mul_hi_u32 s47, s49, s53
	s_add_co_u32 s22, s54, s43
	s_wait_alu 0xfffe
	s_add_co_ci_u32 s22, s55, s0
	s_mul_i32 s52, s49, s53
	s_add_co_ci_u32 s53, s47, 0
	s_wait_alu 0xfffe
	s_add_nc_u64 s[52:53], s[22:23], s[52:53]
	s_delay_alu instid0(SALU_CYCLE_1) | instskip(SKIP_4) | instid1(SALU_CYCLE_1)
	s_add_co_u32 s48, s48, s52
	s_cselect_b32 s0, -1, 0
	s_wait_alu 0xfffe
	s_cmp_lg_u32 s0, 0
	s_add_co_ci_u32 s49, s49, s53
	s_mul_u64 s[50:51], s[50:51], s[48:49]
	s_delay_alu instid0(SALU_CYCLE_1)
	s_mul_hi_u32 s53, s48, s51
	s_mul_i32 s52, s48, s51
	s_mul_hi_u32 s22, s48, s50
	s_mul_i32 s43, s49, s50
	s_wait_alu 0xfffe
	s_add_nc_u64 s[52:53], s[22:23], s[52:53]
	s_mul_hi_u32 s0, s49, s50
	s_mul_hi_u32 s47, s49, s51
	s_add_co_u32 s22, s52, s43
	s_wait_alu 0xfffe
	s_add_co_ci_u32 s22, s53, s0
	s_mul_i32 s50, s49, s51
	s_add_co_ci_u32 s51, s47, 0
	s_wait_alu 0xfffe
	s_add_nc_u64 s[50:51], s[22:23], s[50:51]
	s_delay_alu instid0(SALU_CYCLE_1)
	s_add_co_u32 s0, s48, s50
	s_cselect_b32 s22, -1, 0
	s_wait_alu 0xfffe
	v_mul_hi_u32 v19, v17, s0
	s_cmp_lg_u32 s22, 0
	v_mad_co_u64_u32 v[13:14], null, v18, s0, 0
	s_add_co_ci_u32 s22, s49, s51
	s_wait_alu 0xfffe
	v_mad_co_u64_u32 v[11:12], null, v17, s22, 0
	v_mad_co_u64_u32 v[15:16], null, v18, s22, 0
	s_delay_alu instid0(VALU_DEP_2) | instskip(SKIP_1) | instid1(VALU_DEP_3)
	v_add_co_u32 v11, vcc_lo, v19, v11
	s_wait_alu 0xfffd
	v_add_co_ci_u32_e64 v12, null, 0, v12, vcc_lo
	s_delay_alu instid0(VALU_DEP_2) | instskip(SKIP_1) | instid1(VALU_DEP_2)
	v_add_co_u32 v11, vcc_lo, v11, v13
	s_wait_alu 0xfffd
	v_add_co_ci_u32_e32 v11, vcc_lo, v12, v14, vcc_lo
	s_wait_alu 0xfffd
	v_add_co_ci_u32_e32 v12, vcc_lo, 0, v16, vcc_lo
	s_delay_alu instid0(VALU_DEP_2) | instskip(SKIP_1) | instid1(VALU_DEP_2)
	v_add_co_u32 v13, vcc_lo, v11, v15
	s_wait_alu 0xfffd
	v_add_co_ci_u32_e64 v14, null, 0, v12, vcc_lo
	s_delay_alu instid0(VALU_DEP_2) | instskip(SKIP_1) | instid1(VALU_DEP_3)
	v_mul_lo_u32 v15, s45, v13
	v_mad_co_u64_u32 v[11:12], null, s44, v13, 0
	v_mul_lo_u32 v16, s44, v14
	s_delay_alu instid0(VALU_DEP_2) | instskip(NEXT) | instid1(VALU_DEP_2)
	v_sub_co_u32 v11, vcc_lo, v17, v11
	v_add3_u32 v12, v12, v16, v15
	v_add_co_u32 v16, s0, v13, 2
	s_wait_alu 0xf1ff
	v_add_co_ci_u32_e64 v17, null, 0, v14, s0
	s_delay_alu instid0(VALU_DEP_3) | instskip(SKIP_3) | instid1(VALU_DEP_3)
	v_sub_nc_u32_e32 v15, v18, v12
	v_sub_co_u32 v19, s0, v11, s44
	s_wait_alu 0xfffd
	v_sub_co_ci_u32_e64 v12, null, v18, v12, vcc_lo
	v_subrev_co_ci_u32_e64 v15, null, s45, v15, vcc_lo
	s_delay_alu instid0(VALU_DEP_3) | instskip(SKIP_1) | instid1(VALU_DEP_2)
	v_cmp_le_u32_e32 vcc_lo, s44, v19
	s_wait_alu 0xf1ff
	v_subrev_co_ci_u32_e64 v15, null, 0, v15, s0
	s_wait_alu 0xfffd
	v_cndmask_b32_e64 v18, 0, -1, vcc_lo
	s_delay_alu instid0(VALU_DEP_2)
	v_cmp_le_u32_e32 vcc_lo, s45, v15
	s_wait_alu 0xfffd
	v_cndmask_b32_e64 v19, 0, -1, vcc_lo
	v_cmp_le_u32_e32 vcc_lo, s44, v11
	s_wait_alu 0xfffd
	v_cndmask_b32_e64 v11, 0, -1, vcc_lo
	;; [unrolled: 3-line block ×3, first 2 shown]
	v_cmp_eq_u32_e32 vcc_lo, s45, v15
	s_wait_alu 0xfffd
	v_cndmask_b32_e32 v15, v19, v18, vcc_lo
	v_add_co_u32 v18, vcc_lo, v13, 1
	s_wait_alu 0xfffd
	v_add_co_ci_u32_e64 v19, null, 0, v14, vcc_lo
	v_cmp_eq_u32_e32 vcc_lo, s45, v12
	s_wait_alu 0xfffd
	v_cndmask_b32_e32 v11, v20, v11, vcc_lo
	v_cmp_ne_u32_e32 vcc_lo, 0, v15
	s_wait_alu 0xfffd
	v_cndmask_b32_e32 v12, v19, v17, vcc_lo
	s_delay_alu instid0(VALU_DEP_3) | instskip(SKIP_2) | instid1(VALU_DEP_2)
	v_cmp_ne_u32_e64 s0, 0, v11
	v_cndmask_b32_e32 v11, v18, v16, vcc_lo
	s_wait_alu 0xf1ff
	v_cndmask_b32_e64 v12, v14, v12, s0
	s_delay_alu instid0(VALU_DEP_2) | instskip(NEXT) | instid1(VALU_DEP_2)
	v_cndmask_b32_e64 v11, v13, v11, s0
	v_xor_b32_e32 v12, v12, v2
	s_delay_alu instid0(VALU_DEP_2) | instskip(NEXT) | instid1(VALU_DEP_1)
	v_xor_b32_e32 v11, v11, v2
	v_sub_co_u32 v17, vcc_lo, v11, v2
	s_wait_alu 0xfffd
	s_delay_alu instid0(VALU_DEP_3)
	v_sub_co_ci_u32_e64 v18, null, v12, v2, vcc_lo
.LBB14_5:                               ;   in Loop: Header=BB14_3 Depth=1
	s_wait_alu 0xfffe
	s_and_not1_saveexec_b32 s0, s46
	s_cbranch_execz .LBB14_7
; %bb.6:                                ;   in Loop: Header=BB14_3 Depth=1
	s_sub_co_i32 s22, 0, s4
	v_mov_b32_e32 v18, v1
	s_wait_alu 0xfffe
	v_mul_lo_u32 v2, s22, v0
	s_delay_alu instid0(VALU_DEP_1) | instskip(NEXT) | instid1(VALU_DEP_1)
	v_mul_hi_u32 v2, v0, v2
	v_add_nc_u32_e32 v2, v0, v2
	s_delay_alu instid0(VALU_DEP_1) | instskip(NEXT) | instid1(VALU_DEP_1)
	v_mul_hi_u32 v2, v3, v2
	v_mul_lo_u32 v11, v2, s4
	v_add_nc_u32_e32 v12, 1, v2
	s_delay_alu instid0(VALU_DEP_2) | instskip(NEXT) | instid1(VALU_DEP_1)
	v_sub_nc_u32_e32 v11, v3, v11
	v_subrev_nc_u32_e32 v13, s4, v11
	v_cmp_le_u32_e32 vcc_lo, s4, v11
	s_wait_alu 0xfffd
	s_delay_alu instid0(VALU_DEP_2) | instskip(NEXT) | instid1(VALU_DEP_1)
	v_dual_cndmask_b32 v11, v11, v13 :: v_dual_cndmask_b32 v2, v2, v12
	v_cmp_le_u32_e32 vcc_lo, s4, v11
	s_delay_alu instid0(VALU_DEP_2) | instskip(SKIP_1) | instid1(VALU_DEP_1)
	v_add_nc_u32_e32 v12, 1, v2
	s_wait_alu 0xfffd
	v_cndmask_b32_e32 v17, v2, v12, vcc_lo
.LBB14_7:                               ;   in Loop: Header=BB14_3 Depth=1
	s_wait_alu 0xfffe
	s_or_b32 exec_lo, exec_lo, s0
	s_delay_alu instid0(VALU_DEP_1) | instskip(SKIP_3) | instid1(VALU_DEP_4)
	v_mad_co_u64_u32 v[19:20], null, v17, 3, 0
	v_mul_lo_u32 v14, s31, v17
	v_mad_co_u64_u32 v[11:12], null, s30, v17, v[3:4]
	v_mul_lo_u32 v2, s30, v18
	v_mov_b32_e32 v13, v20
	s_delay_alu instid0(VALU_DEP_3) | instskip(NEXT) | instid1(VALU_DEP_3)
	v_mul_lo_u32 v27, v11, s11
	v_add3_u32 v2, v14, v12, v2
	s_delay_alu instid0(VALU_DEP_3) | instskip(SKIP_4) | instid1(VALU_DEP_4)
	v_mad_co_u64_u32 v[20:21], null, v18, 3, v[13:14]
	v_add_co_u32 v12, vcc_lo, v19, 1
	v_add_co_u32 v13, s0, v19, 2
	v_mad_co_u64_u32 v[21:22], null, v11, s10, 0
	s_wait_alu 0xfffd
	v_add_co_ci_u32_e64 v16, null, 0, v20, vcc_lo
	v_mul_lo_u32 v23, s5, v12
	v_mad_co_u64_u32 v[14:15], null, s4, v12, v[3:4]
	s_wait_alu 0xf1ff
	v_add_co_ci_u32_e64 v24, null, 0, v20, s0
	v_mul_lo_u32 v16, s4, v16
	v_mul_lo_u32 v25, s5, v13
	v_mad_co_u64_u32 v[12:13], null, s4, v13, v[3:4]
	s_delay_alu instid0(VALU_DEP_4)
	v_mul_lo_u32 v26, s4, v24
	v_add_co_u32 v29, vcc_lo, v19, 3
	s_wait_alu 0xfffd
	v_add_co_ci_u32_e64 v30, null, 0, v20, vcc_lo
	v_add3_u32 v20, v23, v15, v16
	v_mul_lo_u32 v31, v14, s11
	v_mad_co_u64_u32 v[23:24], null, v14, s10, 0
	v_add3_u32 v19, v25, v13, v26
	s_delay_alu instid0(VALU_DEP_4)
	v_mul_lo_u32 v13, v20, s10
	v_mul_lo_u32 v30, s4, v30
	;; [unrolled: 1-line block ×3, first 2 shown]
	v_mad_co_u64_u32 v[15:16], null, s4, v29, v[3:4]
	v_mul_lo_u32 v28, v2, s10
	v_mul_lo_u32 v29, v19, s10
	;; [unrolled: 1-line block ×3, first 2 shown]
	v_mad_co_u64_u32 v[25:26], null, v12, s10, 0
	v_add3_u32 v24, v24, v31, v13
	v_add3_u32 v13, v32, v16, v30
	v_mul_lo_u32 v35, v2, s14
	v_add3_u32 v22, v22, v27, v28
	v_mad_co_u64_u32 v[27:28], null, v15, s10, 0
	v_add3_u32 v26, v26, v33, v29
	v_mul_lo_u32 v16, v13, s10
	v_mul_lo_u32 v29, v15, s11
	v_lshlrev_b64_e32 v[21:22], 1, v[21:22]
	v_lshlrev_b64_e32 v[23:24], 1, v[23:24]
	;; [unrolled: 1-line block ×3, first 2 shown]
	v_mul_lo_u32 v36, v20, s14
	v_mul_lo_u32 v37, v14, s15
	v_mad_co_u64_u32 v[31:32], null, v14, s14, 0
	v_add_co_u32 v21, vcc_lo, s8, v21
	v_add3_u32 v28, v28, v29, v16
	s_wait_alu 0xfffd
	v_add_co_ci_u32_e64 v22, null, s9, v22, vcc_lo
	v_add_co_u32 v23, vcc_lo, s8, v23
	s_wait_alu 0xfffd
	v_add_co_ci_u32_e64 v24, null, s9, v24, vcc_lo
	v_add_co_u32 v29, vcc_lo, s8, v25
	s_wait_alu 0xfffd
	v_add_co_ci_u32_e64 v30, null, s9, v26, vcc_lo
	v_lshlrev_b64_e32 v[25:26], 1, v[27:28]
	v_mul_lo_u32 v16, v11, s15
	v_mad_co_u64_u32 v[27:28], null, v11, s14, 0
	v_mul_lo_u32 v38, v12, s15
	v_add3_u32 v32, v32, v37, v36
	v_add_co_u32 v33, vcc_lo, s8, v25
	s_wait_alu 0xfffd
	v_add_co_ci_u32_e64 v34, null, s9, v26, vcc_lo
	v_add3_u32 v28, v28, v16, v35
	v_mul_lo_u32 v16, v19, s14
	v_mad_co_u64_u32 v[25:26], null, v12, s14, 0
	v_mul_lo_u32 v39, v13, s14
	v_mul_lo_u32 v40, v15, s15
	v_mad_co_u64_u32 v[35:36], null, v15, s14, 0
	v_lshlrev_b64_e32 v[27:28], 1, v[27:28]
	v_lshlrev_b64_e32 v[31:32], 1, v[31:32]
	v_add3_u32 v26, v26, v38, v16
	s_delay_alu instid0(VALU_DEP_4) | instskip(NEXT) | instid1(VALU_DEP_4)
	v_add3_u32 v36, v36, v40, v39
	v_add_co_u32 v37, vcc_lo, s12, v27
	s_delay_alu instid0(VALU_DEP_3)
	v_lshlrev_b64_e32 v[25:26], 1, v[25:26]
	s_wait_alu 0xfffd
	v_add_co_ci_u32_e64 v38, null, s13, v28, vcc_lo
	v_lshlrev_b64_e32 v[27:28], 1, v[35:36]
	v_add_co_u32 v31, vcc_lo, s12, v31
	s_wait_alu 0xfffd
	v_add_co_ci_u32_e64 v32, null, s13, v32, vcc_lo
	v_add_co_u32 v35, vcc_lo, s12, v25
	s_wait_alu 0xfffd
	v_add_co_ci_u32_e64 v36, null, s13, v26, vcc_lo
	;; [unrolled: 3-line block ×3, first 2 shown]
	s_clause 0x3
	global_load_u16 v25, v[21:22], off
	global_load_u16 v23, v[23:24], off
	;; [unrolled: 1-line block ×4, first 2 shown]
	s_clause 0x3
	global_load_u16 v26, v[37:38], off
	global_load_u16 v24, v[31:32], off
	;; [unrolled: 1-line block ×5, first 2 shown]
	s_and_not1_b32 vcc_lo, exec_lo, s1
	s_wait_alu 0xfffe
	s_cbranch_vccnz .LBB14_9
; %bb.8:                                ;   in Loop: Header=BB14_3 Depth=1
	v_sub_co_u32 v31, vcc_lo, 1, v17
	s_wait_alu 0xfffd
	v_sub_co_ci_u32_e64 v32, null, 0, v18, vcc_lo
	v_mad_co_u64_u32 v[29:30], null, s34, v17, v[3:4]
	v_mul_lo_u32 v33, s34, v18
	v_mul_lo_u32 v34, s35, v17
	s_delay_alu instid0(VALU_DEP_4)
	v_mul_lo_u32 v35, s4, v32
	v_mul_lo_u32 v36, s5, v31
	v_mad_co_u64_u32 v[31:32], null, s4, v31, v[3:4]
	v_mul_lo_u32 v39, v29, s17
	v_add3_u32 v30, v34, v30, v33
	v_sub_co_u32 v34, vcc_lo, 2, v17
	s_delay_alu instid0(VALU_DEP_4) | instskip(SKIP_2) | instid1(VALU_DEP_3)
	v_add3_u32 v41, v36, v32, v35
	s_wait_alu 0xfffd
	v_sub_co_ci_u32_e64 v35, null, 0, v18, vcc_lo
	v_mul_lo_u32 v37, s5, v34
	v_sub_co_u32 v38, vcc_lo, 3, v17
	s_delay_alu instid0(VALU_DEP_3)
	v_mul_lo_u32 v36, s4, v35
	v_mad_co_u64_u32 v[34:35], null, s4, v34, v[3:4]
	s_wait_alu 0xfffd
	v_sub_co_ci_u32_e64 v43, null, 0, v18, vcc_lo
	v_mul_lo_u32 v42, v41, s16
	v_mul_lo_u32 v44, v31, s17
	v_mad_co_u64_u32 v[17:18], null, v31, s16, 0
	v_add3_u32 v45, v37, v35, v36
	v_mul_lo_u32 v43, s4, v43
	v_mul_lo_u32 v46, s5, v38
	v_mad_co_u64_u32 v[35:36], null, s4, v38, v[3:4]
	v_mul_lo_u32 v40, v30, s16
	v_mad_co_u64_u32 v[32:33], null, v29, s16, 0
	v_add3_u32 v18, v18, v44, v42
	v_mul_lo_u32 v47, v45, s16
	v_mul_lo_u32 v48, v34, s17
	v_add3_u32 v44, v46, v36, v43
	v_mad_co_u64_u32 v[37:38], null, v34, s16, 0
	v_add3_u32 v33, v33, v39, v40
	v_mul_lo_u32 v43, v35, s17
	s_delay_alu instid0(VALU_DEP_4)
	v_mul_lo_u32 v42, v44, s16
	v_mad_co_u64_u32 v[39:40], null, v35, s16, 0
	v_mul_lo_u32 v46, v41, s20
	v_add3_u32 v38, v38, v48, v47
	v_mul_lo_u32 v47, v31, s21
	v_lshlrev_b64_e32 v[32:33], 1, v[32:33]
	v_mul_lo_u32 v44, v44, s20
	v_lshlrev_b64_e32 v[17:18], 1, v[17:18]
	v_add3_u32 v40, v40, v43, v42
	v_mul_lo_u32 v42, v29, s21
	v_mul_lo_u32 v43, v30, s20
	v_mad_co_u64_u32 v[29:30], null, v29, s20, 0
	v_lshlrev_b64_e32 v[36:37], 1, v[37:38]
	v_lshlrev_b64_e32 v[38:39], 1, v[39:40]
	v_mad_co_u64_u32 v[40:41], null, v31, s20, 0
	v_mul_lo_u32 v31, v45, s20
	v_mul_lo_u32 v45, v34, s21
	v_add3_u32 v30, v30, v42, v43
	v_mad_co_u64_u32 v[42:43], null, v34, s20, 0
	v_add_co_u32 v32, vcc_lo, s2, v32
	v_add3_u32 v41, v41, v47, v46
	v_mul_lo_u32 v46, v35, s21
	v_mad_co_u64_u32 v[34:35], null, v35, s20, 0
	v_add3_u32 v43, v43, v45, v31
	s_wait_alu 0xfffd
	v_add_co_ci_u32_e64 v33, null, s3, v33, vcc_lo
	v_add_co_u32 v17, vcc_lo, s2, v17
	v_lshlrev_b64_e32 v[29:30], 1, v[29:30]
	v_add3_u32 v35, v35, v46, v44
	s_wait_alu 0xfffd
	v_add_co_ci_u32_e64 v18, null, s3, v18, vcc_lo
	v_add_co_u32 v36, vcc_lo, s2, v36
	v_lshlrev_b64_e32 v[40:41], 1, v[40:41]
	s_wait_alu 0xfffd
	v_add_co_ci_u32_e64 v37, null, s3, v37, vcc_lo
	v_add_co_u32 v38, vcc_lo, s2, v38
	v_lshlrev_b64_e32 v[42:43], 1, v[42:43]
	;; [unrolled: 4-line block ×3, first 2 shown]
	s_wait_alu 0xfffd
	v_add_co_ci_u32_e64 v30, null, s19, v30, vcc_lo
	v_add_co_u32 v40, vcc_lo, s18, v40
	s_wait_alu 0xfffd
	v_add_co_ci_u32_e64 v41, null, s19, v41, vcc_lo
	v_add_co_u32 v42, vcc_lo, s18, v42
	;; [unrolled: 3-line block ×3, first 2 shown]
	s_wait_alu 0xfffd
	v_add_co_ci_u32_e64 v35, null, s19, v35, vcc_lo
	global_load_u16 v31, v[32:33], off
	global_load_u16 v29, v[29:30], off
	;; [unrolled: 1-line block ×4, first 2 shown]
	s_clause 0x1
	global_load_u16 v33, v[36:37], off
	global_load_u16 v36, v[38:39], off
	s_clause 0x1
	global_load_u16 v37, v[42:43], off
	global_load_u16 v35, v[34:35], off
	s_wait_loadcnt 0x7
	v_lshlrev_b32_e32 v32, 16, v31
	s_wait_loadcnt 0x6
	v_lshlrev_b32_e32 v30, 16, v29
	;; [unrolled: 2-line block ×8, first 2 shown]
	s_branch .LBB14_10
.LBB14_9:                               ;   in Loop: Header=BB14_3 Depth=1
	v_dual_mov_b32 v33, 0 :: v_dual_mov_b32 v30, 0
	v_dual_mov_b32 v17, 0 :: v_dual_mov_b32 v34, 0
	;; [unrolled: 1-line block ×4, first 2 shown]
.LBB14_10:                              ;   in Loop: Header=BB14_3 Depth=1
	s_wait_loadcnt 0x6
	v_lshlrev_b32_e32 v27, 16, v27
	s_wait_loadcnt 0x2
	v_lshlrev_b32_e32 v28, 16, v28
	s_delay_alu instid0(VALU_DEP_1) | instskip(NEXT) | instid1(VALU_DEP_1)
	v_add_f32_e32 v27, v27, v28
                                        ; implicit-def: $vgpr28
	v_add_f32_e32 v27, v27, v34
	s_delay_alu instid0(VALU_DEP_1) | instskip(NEXT) | instid1(VALU_DEP_1)
	v_add_f32_e32 v27, v33, v27
	v_cmp_ngt_f32_e64 s0, 0x3f200000, |v27|
	s_and_saveexec_b32 s22, s0
	s_wait_alu 0xfffe
	s_xor_b32 s0, exec_lo, s22
	s_cbranch_execz .LBB14_12
; %bb.11:                               ;   in Loop: Header=BB14_3 Depth=1
	v_add_f32_e64 v28, |v27|, |v27|
	s_delay_alu instid0(VALU_DEP_1) | instskip(SKIP_1) | instid1(VALU_DEP_2)
	v_mul_f32_e32 v33, 0x3fb8aa3b, v28
	v_cmp_ngt_f32_e32 vcc_lo, 0xc2ce8ed0, v28
	v_rndne_f32_e32 v34, v33
	v_fma_f32 v35, 0x3fb8aa3b, v28, -v33
	s_delay_alu instid0(VALU_DEP_2) | instskip(NEXT) | instid1(VALU_DEP_2)
	v_sub_f32_e32 v33, v33, v34
	v_fmac_f32_e32 v35, 0x32a5705f, v28
	v_cvt_i32_f32_e32 v34, v34
	s_delay_alu instid0(VALU_DEP_2) | instskip(NEXT) | instid1(VALU_DEP_1)
	v_add_f32_e32 v33, v33, v35
	v_exp_f32_e32 v33, v33
	s_delay_alu instid0(TRANS32_DEP_1) | instskip(SKIP_1) | instid1(VALU_DEP_1)
	v_ldexp_f32 v33, v33, v34
	s_wait_alu 0xfffd
	v_cndmask_b32_e32 v33, 0, v33, vcc_lo
	v_cmp_nlt_f32_e32 vcc_lo, 0x42b17218, v28
	s_wait_alu 0xfffd
	s_delay_alu instid0(VALU_DEP_2) | instskip(NEXT) | instid1(VALU_DEP_1)
	v_cndmask_b32_e32 v28, 0x7f800000, v33, vcc_lo
	v_add_f32_e32 v28, 1.0, v28
	s_delay_alu instid0(VALU_DEP_1) | instskip(NEXT) | instid1(TRANS32_DEP_1)
	v_rcp_f32_e32 v28, v28
	v_fma_f32 v28, v28, -2.0, 1.0
.LBB14_12:                              ;   in Loop: Header=BB14_3 Depth=1
	s_wait_alu 0xfffe
	s_and_not1_saveexec_b32 s0, s0
	s_cbranch_execz .LBB14_14
; %bb.13:                               ;   in Loop: Header=BB14_3 Depth=1
	v_mul_f32_e32 v28, v27, v27
	s_delay_alu instid0(VALU_DEP_1) | instskip(NEXT) | instid1(VALU_DEP_1)
	v_fmaak_f32 v33, s29, v28, 0x3ca908c9
	v_fmaak_f32 v33, v28, v33, 0xbd5c1c4e
	s_delay_alu instid0(VALU_DEP_1) | instskip(NEXT) | instid1(VALU_DEP_1)
	v_fmaak_f32 v33, v28, v33, 0x3e088382
	v_fmaak_f32 v33, v28, v33, 0xbeaaaa99
	s_delay_alu instid0(VALU_DEP_1) | instskip(NEXT) | instid1(VALU_DEP_1)
	v_mul_f32_e64 v33, |v27|, v33
	v_fma_f32 v28, v28, v33, |v27|
.LBB14_14:                              ;   in Loop: Header=BB14_3 Depth=1
	s_wait_alu 0xfffe
	s_or_b32 exec_lo, exec_lo, s0
	v_lshlrev_b32_e32 v25, 16, v25
	v_lshlrev_b32_e32 v23, 16, v23
	;; [unrolled: 1-line block ×3, first 2 shown]
	s_delay_alu instid0(VALU_DEP_1) | instskip(NEXT) | instid1(VALU_DEP_1)
	v_dual_add_f32 v23, v23, v24 :: v_dual_lshlrev_b32 v26, 16, v26
	v_add_f32_e32 v25, v25, v26
	s_delay_alu instid0(VALU_DEP_1) | instskip(NEXT) | instid1(VALU_DEP_1)
	v_dual_add_f32 v23, v23, v31 :: v_dual_add_f32 v24, v25, v32
	v_dual_add_f32 v23, v29, v23 :: v_dual_add_f32 v24, v30, v24
	s_delay_alu instid0(VALU_DEP_1) | instskip(SKIP_1) | instid1(VALU_DEP_2)
	v_dual_mul_f32 v26, 0xbfb8aa3b, v23 :: v_dual_mul_f32 v25, 0xbfb8aa3b, v24
	v_cmp_nlt_f32_e32 vcc_lo, 0x42ce8ed0, v24
	v_fma_f32 v31, 0xbfb8aa3b, v23, -v26
	s_delay_alu instid0(VALU_DEP_3) | instskip(SKIP_2) | instid1(VALU_DEP_4)
	v_fma_f32 v29, 0xbfb8aa3b, v24, -v25
	v_rndne_f32_e32 v30, v25
	v_rndne_f32_e32 v32, v26
	v_fmac_f32_e32 v31, 0xb2a5705f, v23
	s_delay_alu instid0(VALU_DEP_2) | instskip(NEXT) | instid1(VALU_DEP_1)
	v_dual_sub_f32 v25, v25, v30 :: v_dual_sub_f32 v26, v26, v32
	v_dual_fmac_f32 v29, 0xb2a5705f, v24 :: v_dual_add_f32 v26, v26, v31
	s_delay_alu instid0(VALU_DEP_1) | instskip(SKIP_2) | instid1(VALU_DEP_4)
	v_add_f32_e32 v25, v25, v29
	v_cvt_i32_f32_e32 v29, v30
	v_cvt_i32_f32_e32 v30, v32
	v_exp_f32_e32 v26, v26
	s_delay_alu instid0(VALU_DEP_3) | instskip(NEXT) | instid1(TRANS32_DEP_2)
	v_exp_f32_e32 v25, v25
	v_ldexp_f32 v26, v26, v30
	s_delay_alu instid0(TRANS32_DEP_1) | instskip(SKIP_1) | instid1(VALU_DEP_1)
	v_ldexp_f32 v25, v25, v29
	s_wait_alu 0xfffd
	v_cndmask_b32_e32 v25, 0, v25, vcc_lo
	v_cmp_nlt_f32_e32 vcc_lo, 0x42ce8ed0, v23
	s_wait_alu 0xfffd
	v_cndmask_b32_e32 v26, 0, v26, vcc_lo
	v_cmp_ngt_f32_e32 vcc_lo, 0xc2b17218, v24
	s_wait_alu 0xfffd
	v_cndmask_b32_e32 v24, 0x7f800000, v25, vcc_lo
	v_cmp_ngt_f32_e32 vcc_lo, 0xc2b17218, v23
	s_wait_alu 0xfffd
	v_cndmask_b32_e32 v23, 0x7f800000, v26, vcc_lo
	s_delay_alu instid0(VALU_DEP_1) | instskip(NEXT) | instid1(VALU_DEP_1)
	v_dual_add_f32 v25, 1.0, v23 :: v_dual_add_f32 v24, 1.0, v24
	v_div_scale_f32 v26, null, v25, v25, 1.0
	s_delay_alu instid0(VALU_DEP_2) | instskip(SKIP_1) | instid1(VALU_DEP_3)
	v_div_scale_f32 v23, null, v24, v24, 1.0
	v_div_scale_f32 v33, vcc_lo, 1.0, v24, 1.0
	v_rcp_f32_e32 v30, v26
	s_delay_alu instid0(VALU_DEP_2) | instskip(NEXT) | instid1(TRANS32_DEP_2)
	v_rcp_f32_e32 v29, v23
	v_fma_f32 v32, -v26, v30, 1.0
	s_delay_alu instid0(TRANS32_DEP_1) | instskip(NEXT) | instid1(VALU_DEP_1)
	v_fma_f32 v31, -v23, v29, 1.0
	v_dual_fmac_f32 v30, v32, v30 :: v_dual_fmac_f32 v29, v31, v29
	v_div_scale_f32 v31, s0, 1.0, v25, 1.0
	s_delay_alu instid0(VALU_DEP_2) | instskip(NEXT) | instid1(VALU_DEP_2)
	v_mul_f32_e32 v32, v33, v29
	v_mul_f32_e32 v34, v31, v30
	s_delay_alu instid0(VALU_DEP_2) | instskip(NEXT) | instid1(VALU_DEP_2)
	v_fma_f32 v35, -v23, v32, v33
	v_fma_f32 v36, -v26, v34, v31
	s_delay_alu instid0(VALU_DEP_2) | instskip(NEXT) | instid1(VALU_DEP_2)
	v_fmac_f32_e32 v32, v35, v29
	v_fmac_f32_e32 v34, v36, v30
	s_delay_alu instid0(VALU_DEP_2) | instskip(NEXT) | instid1(VALU_DEP_2)
	v_fma_f32 v23, -v23, v32, v33
	v_fma_f32 v26, -v26, v34, v31
	s_wait_alu 0xfffd
	s_delay_alu instid0(VALU_DEP_2) | instskip(SKIP_3) | instid1(VALU_DEP_2)
	v_div_fmas_f32 v23, v23, v29, v32
	s_mov_b32 vcc_lo, s0
	s_wait_alu 0xfffe
	v_div_fmas_f32 v26, v26, v30, v34
	v_div_fixup_f32 v24, v23, v24, 1.0
	v_bfi_b32 v23, 0x7fffffff, v28, v27
	s_delay_alu instid0(VALU_DEP_3) | instskip(SKIP_2) | instid1(VALU_DEP_3)
	v_div_fixup_f32 v25, v26, v25, 1.0
	s_wait_loadcnt 0x0
	v_lshlrev_b32_e32 v26, 16, v22
	v_mul_f32_e32 v22, v24, v23
	s_delay_alu instid0(VALU_DEP_1) | instskip(NEXT) | instid1(VALU_DEP_1)
	v_fmac_f32_e32 v22, v25, v26
                                        ; implicit-def: $vgpr26
	v_cmp_ngt_f32_e64 s0, 0x3f200000, |v22|
	s_and_saveexec_b32 s22, s0
	s_wait_alu 0xfffe
	s_xor_b32 s0, exec_lo, s22
	s_cbranch_execz .LBB14_16
; %bb.15:                               ;   in Loop: Header=BB14_3 Depth=1
	v_add_f32_e64 v26, |v22|, |v22|
	s_delay_alu instid0(VALU_DEP_1) | instskip(SKIP_1) | instid1(VALU_DEP_2)
	v_mul_f32_e32 v27, 0x3fb8aa3b, v26
	v_cmp_ngt_f32_e32 vcc_lo, 0xc2ce8ed0, v26
	v_rndne_f32_e32 v28, v27
	v_fma_f32 v29, 0x3fb8aa3b, v26, -v27
	s_delay_alu instid0(VALU_DEP_2) | instskip(NEXT) | instid1(VALU_DEP_2)
	v_sub_f32_e32 v27, v27, v28
	v_fmac_f32_e32 v29, 0x32a5705f, v26
	v_cvt_i32_f32_e32 v28, v28
	s_delay_alu instid0(VALU_DEP_2) | instskip(NEXT) | instid1(VALU_DEP_1)
	v_add_f32_e32 v27, v27, v29
	v_exp_f32_e32 v27, v27
	s_delay_alu instid0(TRANS32_DEP_1) | instskip(SKIP_1) | instid1(VALU_DEP_1)
	v_ldexp_f32 v27, v27, v28
	s_wait_alu 0xfffd
	v_cndmask_b32_e32 v27, 0, v27, vcc_lo
	v_cmp_nlt_f32_e32 vcc_lo, 0x42b17218, v26
	s_wait_alu 0xfffd
	s_delay_alu instid0(VALU_DEP_2) | instskip(NEXT) | instid1(VALU_DEP_1)
	v_cndmask_b32_e32 v26, 0x7f800000, v27, vcc_lo
	v_add_f32_e32 v26, 1.0, v26
	s_delay_alu instid0(VALU_DEP_1) | instskip(NEXT) | instid1(TRANS32_DEP_1)
	v_rcp_f32_e32 v26, v26
	v_fma_f32 v26, v26, -2.0, 1.0
.LBB14_16:                              ;   in Loop: Header=BB14_3 Depth=1
	s_wait_alu 0xfffe
	s_and_not1_saveexec_b32 s0, s0
	s_cbranch_execz .LBB14_2
; %bb.17:                               ;   in Loop: Header=BB14_3 Depth=1
	v_mul_f32_e32 v26, v22, v22
	s_delay_alu instid0(VALU_DEP_1) | instskip(NEXT) | instid1(VALU_DEP_1)
	v_fmaak_f32 v27, s29, v26, 0x3ca908c9
	v_fmaak_f32 v27, v26, v27, 0xbd5c1c4e
	s_delay_alu instid0(VALU_DEP_1) | instskip(NEXT) | instid1(VALU_DEP_1)
	v_fmaak_f32 v27, v26, v27, 0x3e088382
	v_fmaak_f32 v27, v26, v27, 0xbeaaaa99
	s_delay_alu instid0(VALU_DEP_1) | instskip(NEXT) | instid1(VALU_DEP_1)
	v_mul_f32_e64 v27, |v22|, v27
	v_fma_f32 v26, v26, v27, |v22|
	s_branch .LBB14_2
.LBB14_18:
	s_endpgm
	.section	.rodata,"a",@progbits
	.p2align	6, 0x0
	.amdhsa_kernel _ZN2at6native12_GLOBAL__N_16kernel17lstm_cell_forwardIN3c108BFloat16EflLi1EEEvNS_4cuda6detail10TensorInfoIT_T1_EESB_SB_SB_SB_SB_SB_SB_SA_SA_
		.amdhsa_group_segment_fixed_size 0
		.amdhsa_private_segment_fixed_size 0
		.amdhsa_kernarg_size 3600
		.amdhsa_user_sgpr_count 2
		.amdhsa_user_sgpr_dispatch_ptr 0
		.amdhsa_user_sgpr_queue_ptr 0
		.amdhsa_user_sgpr_kernarg_segment_ptr 1
		.amdhsa_user_sgpr_dispatch_id 0
		.amdhsa_user_sgpr_private_segment_size 0
		.amdhsa_wavefront_size32 1
		.amdhsa_uses_dynamic_stack 0
		.amdhsa_enable_private_segment 0
		.amdhsa_system_sgpr_workgroup_id_x 1
		.amdhsa_system_sgpr_workgroup_id_y 0
		.amdhsa_system_sgpr_workgroup_id_z 0
		.amdhsa_system_sgpr_workgroup_info 0
		.amdhsa_system_vgpr_workitem_id 0
		.amdhsa_next_free_vgpr 49
		.amdhsa_next_free_sgpr 56
		.amdhsa_reserve_vcc 1
		.amdhsa_float_round_mode_32 0
		.amdhsa_float_round_mode_16_64 0
		.amdhsa_float_denorm_mode_32 3
		.amdhsa_float_denorm_mode_16_64 3
		.amdhsa_fp16_overflow 0
		.amdhsa_workgroup_processor_mode 1
		.amdhsa_memory_ordered 1
		.amdhsa_forward_progress 1
		.amdhsa_inst_pref_size 40
		.amdhsa_round_robin_scheduling 0
		.amdhsa_exception_fp_ieee_invalid_op 0
		.amdhsa_exception_fp_denorm_src 0
		.amdhsa_exception_fp_ieee_div_zero 0
		.amdhsa_exception_fp_ieee_overflow 0
		.amdhsa_exception_fp_ieee_underflow 0
		.amdhsa_exception_fp_ieee_inexact 0
		.amdhsa_exception_int_div_zero 0
	.end_amdhsa_kernel
	.section	.text._ZN2at6native12_GLOBAL__N_16kernel17lstm_cell_forwardIN3c108BFloat16EflLi1EEEvNS_4cuda6detail10TensorInfoIT_T1_EESB_SB_SB_SB_SB_SB_SB_SA_SA_,"axG",@progbits,_ZN2at6native12_GLOBAL__N_16kernel17lstm_cell_forwardIN3c108BFloat16EflLi1EEEvNS_4cuda6detail10TensorInfoIT_T1_EESB_SB_SB_SB_SB_SB_SB_SA_SA_,comdat
.Lfunc_end14:
	.size	_ZN2at6native12_GLOBAL__N_16kernel17lstm_cell_forwardIN3c108BFloat16EflLi1EEEvNS_4cuda6detail10TensorInfoIT_T1_EESB_SB_SB_SB_SB_SB_SB_SA_SA_, .Lfunc_end14-_ZN2at6native12_GLOBAL__N_16kernel17lstm_cell_forwardIN3c108BFloat16EflLi1EEEvNS_4cuda6detail10TensorInfoIT_T1_EESB_SB_SB_SB_SB_SB_SB_SA_SA_
                                        ; -- End function
	.set _ZN2at6native12_GLOBAL__N_16kernel17lstm_cell_forwardIN3c108BFloat16EflLi1EEEvNS_4cuda6detail10TensorInfoIT_T1_EESB_SB_SB_SB_SB_SB_SB_SA_SA_.num_vgpr, 49
	.set _ZN2at6native12_GLOBAL__N_16kernel17lstm_cell_forwardIN3c108BFloat16EflLi1EEEvNS_4cuda6detail10TensorInfoIT_T1_EESB_SB_SB_SB_SB_SB_SB_SA_SA_.num_agpr, 0
	.set _ZN2at6native12_GLOBAL__N_16kernel17lstm_cell_forwardIN3c108BFloat16EflLi1EEEvNS_4cuda6detail10TensorInfoIT_T1_EESB_SB_SB_SB_SB_SB_SB_SA_SA_.numbered_sgpr, 56
	.set _ZN2at6native12_GLOBAL__N_16kernel17lstm_cell_forwardIN3c108BFloat16EflLi1EEEvNS_4cuda6detail10TensorInfoIT_T1_EESB_SB_SB_SB_SB_SB_SB_SA_SA_.num_named_barrier, 0
	.set _ZN2at6native12_GLOBAL__N_16kernel17lstm_cell_forwardIN3c108BFloat16EflLi1EEEvNS_4cuda6detail10TensorInfoIT_T1_EESB_SB_SB_SB_SB_SB_SB_SA_SA_.private_seg_size, 0
	.set _ZN2at6native12_GLOBAL__N_16kernel17lstm_cell_forwardIN3c108BFloat16EflLi1EEEvNS_4cuda6detail10TensorInfoIT_T1_EESB_SB_SB_SB_SB_SB_SB_SA_SA_.uses_vcc, 1
	.set _ZN2at6native12_GLOBAL__N_16kernel17lstm_cell_forwardIN3c108BFloat16EflLi1EEEvNS_4cuda6detail10TensorInfoIT_T1_EESB_SB_SB_SB_SB_SB_SB_SA_SA_.uses_flat_scratch, 0
	.set _ZN2at6native12_GLOBAL__N_16kernel17lstm_cell_forwardIN3c108BFloat16EflLi1EEEvNS_4cuda6detail10TensorInfoIT_T1_EESB_SB_SB_SB_SB_SB_SB_SA_SA_.has_dyn_sized_stack, 0
	.set _ZN2at6native12_GLOBAL__N_16kernel17lstm_cell_forwardIN3c108BFloat16EflLi1EEEvNS_4cuda6detail10TensorInfoIT_T1_EESB_SB_SB_SB_SB_SB_SB_SA_SA_.has_recursion, 0
	.set _ZN2at6native12_GLOBAL__N_16kernel17lstm_cell_forwardIN3c108BFloat16EflLi1EEEvNS_4cuda6detail10TensorInfoIT_T1_EESB_SB_SB_SB_SB_SB_SB_SA_SA_.has_indirect_call, 0
	.section	.AMDGPU.csdata,"",@progbits
; Kernel info:
; codeLenInByte = 5056
; TotalNumSgprs: 58
; NumVgprs: 49
; ScratchSize: 0
; MemoryBound: 0
; FloatMode: 240
; IeeeMode: 1
; LDSByteSize: 0 bytes/workgroup (compile time only)
; SGPRBlocks: 0
; VGPRBlocks: 6
; NumSGPRsForWavesPerEU: 58
; NumVGPRsForWavesPerEU: 49
; Occupancy: 16
; WaveLimiterHint : 1
; COMPUTE_PGM_RSRC2:SCRATCH_EN: 0
; COMPUTE_PGM_RSRC2:USER_SGPR: 2
; COMPUTE_PGM_RSRC2:TRAP_HANDLER: 0
; COMPUTE_PGM_RSRC2:TGID_X_EN: 1
; COMPUTE_PGM_RSRC2:TGID_Y_EN: 0
; COMPUTE_PGM_RSRC2:TGID_Z_EN: 0
; COMPUTE_PGM_RSRC2:TIDIG_COMP_CNT: 0
	.section	.text._ZN2at6native12_GLOBAL__N_16kernel17lstm_cell_forwardIN3c108BFloat16EflLi2EEEvNS_4cuda6detail10TensorInfoIT_T1_EESB_SB_SB_SB_SB_SB_SB_SA_SA_,"axG",@progbits,_ZN2at6native12_GLOBAL__N_16kernel17lstm_cell_forwardIN3c108BFloat16EflLi2EEEvNS_4cuda6detail10TensorInfoIT_T1_EESB_SB_SB_SB_SB_SB_SB_SA_SA_,comdat
	.globl	_ZN2at6native12_GLOBAL__N_16kernel17lstm_cell_forwardIN3c108BFloat16EflLi2EEEvNS_4cuda6detail10TensorInfoIT_T1_EESB_SB_SB_SB_SB_SB_SB_SA_SA_ ; -- Begin function _ZN2at6native12_GLOBAL__N_16kernel17lstm_cell_forwardIN3c108BFloat16EflLi2EEEvNS_4cuda6detail10TensorInfoIT_T1_EESB_SB_SB_SB_SB_SB_SB_SA_SA_
	.p2align	8
	.type	_ZN2at6native12_GLOBAL__N_16kernel17lstm_cell_forwardIN3c108BFloat16EflLi2EEEvNS_4cuda6detail10TensorInfoIT_T1_EESB_SB_SB_SB_SB_SB_SB_SA_SA_,@function
_ZN2at6native12_GLOBAL__N_16kernel17lstm_cell_forwardIN3c108BFloat16EflLi2EEEvNS_4cuda6detail10TensorInfoIT_T1_EESB_SB_SB_SB_SB_SB_SB_SA_SA_: ; @_ZN2at6native12_GLOBAL__N_16kernel17lstm_cell_forwardIN3c108BFloat16EflLi2EEEvNS_4cuda6detail10TensorInfoIT_T1_EESB_SB_SB_SB_SB_SB_SB_SA_SA_
; %bb.0:
	s_clause 0x1
	s_load_b32 s2, s[0:1], 0xd1c
	s_load_b128 s[4:7], s[0:1], 0xd00
	v_mov_b32_e32 v1, 0
	s_wait_kmcnt 0x0
	s_and_b32 s64, s2, 0xffff
	s_mov_b32 s2, exec_lo
	s_delay_alu instid0(VALU_DEP_1) | instskip(SKIP_1) | instid1(VALU_DEP_1)
	v_mad_co_u64_u32 v[3:4], null, ttmp9, s64, v[0:1]
	v_mov_b32_e32 v4, v1
	v_cmpx_gt_i64_e64 s[6:7], v[3:4]
	s_cbranch_execz .LBB15_78
; %bb.1:
	s_clause 0x1
	s_load_b64 s[2:3], s[0:1], 0x0
	s_load_b64 s[34:35], s[0:1], 0x10
	v_cvt_f32_u32_e32 v0, s4
	s_add_nc_u64 s[16:17], s[0:1], 0xd10
	s_clause 0x9
	s_load_b128 s[8:11], s[0:1], 0xd0
	s_load_b64 s[36:37], s[0:1], 0x1a0
	s_load_b64 s[38:39], s[0:1], 0x1b0
	s_load_b128 s[12:15], s[0:1], 0x270
	s_load_b64 s[40:41], s[0:1], 0x340
	s_load_b64 s[42:43], s[0:1], 0x410
	;; [unrolled: 1-line block ×6, first 2 shown]
	s_load_b32 s65, s[16:17], 0x0
	s_clause 0x9
	s_load_b128 s[16:19], s[0:1], 0x750
	s_load_b64 s[52:53], s[0:1], 0x820
	s_load_b64 s[54:55], s[0:1], 0x830
	s_load_b128 s[20:23], s[0:1], 0x8f0
	s_load_b64 s[56:57], s[0:1], 0x9c0
	s_load_b64 s[58:59], s[0:1], 0x9d0
	;; [unrolled: 3-line block ×3, first 2 shown]
	s_load_b128 s[28:31], s[0:1], 0xc30
	s_mov_b32 s1, 0
	v_rcp_iflag_f32_e32 v0, v0
	s_sub_nc_u64 s[66:67], 0, s[4:5]
	s_mov_b32 s79, 0xbbbac73d
	s_mov_b32 s80, 0
	s_wait_kmcnt 0x0
	s_cmp_lg_u64 s[40:41], 0
	s_cselect_b32 s33, -1, 0
	s_sub_nc_u64 s[68:69], 0, s[50:51]
	s_delay_alu instid0(TRANS32_DEP_1)
	v_mul_f32_e32 v0, 0x4f7ffffe, v0
	s_mul_i32 s78, s65, s64
	s_mul_u64 s[64:65], s[4:5], 3
	v_cvt_f32_u32_e32 v2, s34
	s_sub_nc_u64 s[70:71], 0, s[54:55]
	v_cvt_u32_f32_e32 v0, v0
	s_sub_nc_u64 s[72:73], 0, s[58:59]
	s_delay_alu instid0(VALU_DEP_2) | instskip(NEXT) | instid1(TRANS32_DEP_1)
	v_rcp_iflag_f32_e32 v2, v2
	v_mul_f32_e32 v2, 0x4f7ffffe, v2
	s_delay_alu instid0(VALU_DEP_1)
	v_cvt_u32_f32_e32 v27, v2
	s_branch .LBB15_3
.LBB15_2:                               ;   in Loop: Header=BB15_3 Depth=1
	s_wait_alu 0xfffe
	s_or_b32 exec_lo, exec_lo, s0
	v_lshlrev_b32_e32 v30, 16, v32
	v_lshlrev_b32_e32 v31, 16, v38
	v_mul_lo_u32 v38, s72, v26
	v_mul_lo_u32 v41, v26, s24
	;; [unrolled: 1-line block ×4, first 2 shown]
	v_add_f32_e32 v30, v30, v31
	v_mul_lo_u32 v44, s71, v23
	v_mul_lo_u32 v48, v22, s62
	v_mul_lo_u32 v49, v21, s63
	v_mul_lo_u32 v53, v20, s62
	v_add_f32_e32 v32, v30, v39
	v_mad_co_u64_u32 v[30:31], null, s72, v25, v[3:4]
	v_mul_lo_u32 v39, s73, v25
	v_mad_co_u64_u32 v[25:26], null, v25, s24, 0
	s_delay_alu instid0(VALU_DEP_4) | instskip(SKIP_3) | instid1(VALU_DEP_4)
	v_add_f32_e32 v40, v36, v32
	v_mad_co_u64_u32 v[32:33], null, s70, v23, v[3:4]
	v_mul_lo_u32 v54, v19, s63
	v_mul_lo_u32 v45, v24, s20
	v_mul_f32_e32 v34, 0xbfb8aa3b, v40
	v_cmp_nlt_f32_e32 vcc_lo, 0x42ce8ed0, v40
	v_add3_u32 v26, v26, v42, v41
	v_mul_lo_u32 v47, v23, s21
	v_add3_u32 v41, v44, v33, v43
	v_fma_f32 v36, 0xbfb8aa3b, v40, -v34
	v_rndne_f32_e32 v46, v34
	v_mad_co_u64_u32 v[23:24], null, v23, s20, 0
	v_add3_u32 v38, v39, v31, v38
	s_delay_alu instid0(VALU_DEP_3) | instskip(SKIP_3) | instid1(VALU_DEP_4)
	v_dual_fmac_f32 v36, 0xb2a5705f, v40 :: v_dual_sub_f32 v37, v34, v46
	v_cvt_i32_f32_e32 v46, v46
	v_mad_co_u64_u32 v[34:35], null, v21, s62, 0
	v_mul_lo_u32 v39, v30, s27
	v_add_f32_e32 v36, v37, v36
	v_mad_co_u64_u32 v[30:31], null, v30, s26, 0
	v_mul_lo_u32 v38, v38, s26
	v_add3_u32 v24, v24, v47, v45
	s_delay_alu instid0(VALU_DEP_4)
	v_exp_f32_e32 v52, v36
	v_mad_co_u64_u32 v[36:37], null, v19, s62, 0
	v_add3_u32 v35, v35, v49, v48
	v_lshlrev_b64_e32 v[25:26], 1, v[25:26]
	v_mul_lo_u32 v42, v32, s23
	v_add3_u32 v31, v31, v39, v38
	v_mad_co_u64_u32 v[32:33], null, v32, s22, 0
	v_add3_u32 v37, v37, v54, v53
	s_delay_alu instid0(TRANS32_DEP_1)
	v_ldexp_f32 v46, v52, v46
	v_mul_lo_u32 v41, v41, s22
	v_lshlrev_b64_e32 v[23:24], 1, v[23:24]
	v_mul_lo_u32 v50, v22, s28
	v_mul_lo_u32 v51, v21, s29
	s_wait_alu 0xfffd
	v_cndmask_b32_e32 v43, 0, v46, vcc_lo
	v_cmp_ngt_f32_e32 vcc_lo, 0xc2b17218, v40
	v_mad_co_u64_u32 v[21:22], null, v21, s28, 0
	v_add3_u32 v33, v33, v42, v41
	s_wait_alu 0xfffd
	v_cndmask_b32_e32 v40, 0x7f800000, v43, vcc_lo
	v_sub_co_u32 v13, vcc_lo, v13, v34
	s_wait_alu 0xfffd
	v_sub_co_ci_u32_e64 v14, null, v14, v35, vcc_lo
	s_delay_alu instid0(VALU_DEP_3) | instskip(NEXT) | instid1(VALU_DEP_3)
	v_add_f32_e32 v40, 1.0, v40
	v_add_co_u32 v13, vcc_lo, v3, v13
	v_sub_co_u32 v35, s0, v11, v36
	s_delay_alu instid0(VALU_DEP_3)
	v_div_scale_f32 v43, null, v40, v40, 1.0
	s_wait_alu 0xf1ff
	v_sub_co_ci_u32_e64 v36, null, v12, v37, s0
	s_wait_alu 0xfffd
	v_add_co_ci_u32_e64 v37, null, v4, v14, vcc_lo
	v_rcp_f32_e32 v34, v43
	v_div_scale_f32 v45, vcc_lo, 1.0, v40, 1.0
	v_mul_lo_u32 v44, v13, s31
	v_mad_co_u64_u32 v[11:12], null, v13, s30, 0
	v_add_co_u32 v35, s0, v3, v35
	s_wait_alu 0xf1ff
	v_add_co_ci_u32_e64 v36, null, v4, v36, s0
	s_delay_alu instid0(TRANS32_DEP_1) | instskip(SKIP_3) | instid1(VALU_DEP_3)
	v_fma_f32 v14, -v43, v34, 1.0
	v_add_co_u32 v25, s0, s56, v25
	s_wait_alu 0xf1ff
	v_add_co_ci_u32_e64 v26, null, s57, v26, s0
	v_fmac_f32_e32 v34, v14, v34
	v_lshlrev_b64_e32 v[13:14], 1, v[30:31]
	v_add_co_u32 v31, s0, s52, v23
	s_wait_alu 0xf1ff
	v_add_co_ci_u32_e64 v39, null, s53, v24, s0
	v_mul_f32_e32 v38, v45, v34
	s_delay_alu instid0(VALU_DEP_4) | instskip(SKIP_2) | instid1(VALU_DEP_4)
	v_add_co_u32 v13, s0, v25, v13
	v_mul_lo_u32 v37, v37, s30
	v_lshlrev_b64_e32 v[23:24], 1, v[32:33]
	v_fma_f32 v30, -v43, v38, v45
	v_add3_u32 v22, v22, v51, v50
	s_wait_alu 0xf1ff
	v_add_co_ci_u32_e64 v14, null, v26, v14, s0
	v_mul_lo_u32 v32, v36, s30
	v_fmac_f32_e32 v38, v30, v34
	v_add3_u32 v12, v12, v44, v37
	v_mul_lo_u32 v36, v19, s29
	v_mul_lo_u32 v37, v18, s62
	v_lshlrev_b64_e32 v[21:22], 1, v[21:22]
	v_fma_f32 v25, -v43, v38, v45
	v_lshlrev_b64_e32 v[11:12], 1, v[11:12]
	v_cmp_o_f32_e64 s0, v2, v2
	s_wait_alu 0xfffd
	s_delay_alu instid0(VALU_DEP_3) | instskip(SKIP_3) | instid1(VALU_DEP_4)
	v_div_fmas_f32 v25, v25, v34, v38
	v_add_co_u32 v23, vcc_lo, v31, v23
	v_mul_lo_u32 v34, v35, s31
	v_mul_lo_u32 v38, v17, s63
	v_div_fixup_f32 v33, v25, v40, 1.0
	v_mad_co_u64_u32 v[25:26], null, v35, s30, 0
	v_mul_lo_u32 v35, v20, s28
	v_mad_co_u64_u32 v[30:31], null, v17, s62, 0
	v_mad_co_u64_u32 v[19:20], null, v19, s28, 0
	s_wait_alu 0xfffd
	v_add_co_ci_u32_e64 v24, null, v39, v24, vcc_lo
	v_add_co_u32 v39, vcc_lo, s60, v21
	s_delay_alu instid0(VALU_DEP_4)
	v_add3_u32 v21, v31, v38, v37
	s_wait_alu 0xfffd
	v_add_co_ci_u32_e64 v40, null, s61, v22, vcc_lo
	v_add3_u32 v20, v20, v36, v35
	v_sub_co_u32 v22, vcc_lo, v7, v30
	s_wait_alu 0xfffd
	v_sub_co_ci_u32_e64 v21, null, v8, v21, vcc_lo
	s_delay_alu instid0(VALU_DEP_3)
	v_lshlrev_b64_e32 v[7:8], 1, v[19:20]
	v_add3_u32 v26, v26, v34, v32
	v_add_co_u32 v19, vcc_lo, v3, v22
	s_wait_alu 0xfffd
	v_add_co_ci_u32_e64 v20, null, v4, v21, vcc_lo
	v_mul_lo_u32 v35, v16, s62
	v_mul_lo_u32 v36, v15, s63
	v_mad_co_u64_u32 v[21:22], null, v15, s62, 0
	v_add_co_u32 v30, vcc_lo, s60, v7
	s_wait_alu 0xfffd
	v_add_co_ci_u32_e64 v31, null, s61, v8, vcc_lo
	v_lshlrev_b64_e32 v[7:8], 1, v[25:26]
	v_mul_lo_u32 v32, v18, s28
	v_mul_lo_u32 v34, v17, s29
	v_mad_co_u64_u32 v[17:18], null, v17, s28, 0
	v_add_co_u32 v11, vcc_lo, v39, v11
	v_add3_u32 v22, v22, v36, v35
	s_wait_alu 0xfffd
	v_add_co_ci_u32_e64 v12, null, v40, v12, vcc_lo
	v_add_co_u32 v7, vcc_lo, v30, v7
	v_mul_lo_u32 v25, v20, s30
	v_mul_lo_u32 v26, v19, s31
	v_mad_co_u64_u32 v[19:20], null, v19, s30, 0
	s_wait_alu 0xfffd
	v_add_co_ci_u32_e64 v8, null, v31, v8, vcc_lo
	v_add3_u32 v18, v18, v34, v32
	v_sub_co_u32 v21, vcc_lo, v5, v21
	s_wait_alu 0xfffd
	v_sub_co_ci_u32_e64 v22, null, v6, v22, vcc_lo
	s_delay_alu instid0(VALU_DEP_3) | instskip(NEXT) | instid1(VALU_DEP_3)
	v_lshlrev_b64_e32 v[5:6], 1, v[17:18]
	v_add_co_u32 v17, vcc_lo, v3, v21
	s_wait_alu 0xfffd
	s_delay_alu instid0(VALU_DEP_3)
	v_add_co_ci_u32_e64 v18, null, v4, v22, vcc_lo
	v_mul_lo_u32 v21, v16, s28
	v_mul_lo_u32 v22, v15, s29
	v_mad_co_u64_u32 v[15:16], null, v15, s28, 0
	v_add3_u32 v20, v20, v26, v25
	v_bfi_b32 v25, 0x7fffffff, v29, v28
	v_add_co_u32 v26, vcc_lo, s60, v5
	s_wait_alu 0xfffd
	v_add_co_ci_u32_e64 v29, null, s61, v6, vcc_lo
	v_lshlrev_b64_e32 v[5:6], 1, v[19:20]
	v_mul_f32_e32 v20, v33, v25
	v_mul_lo_u32 v19, v18, s30
	v_add3_u32 v16, v16, v22, v21
	v_mul_lo_u32 v21, v17, s31
	v_mad_co_u64_u32 v[17:18], null, v17, s30, 0
	v_bfe_u32 v22, v20, 16, 1
	s_delay_alu instid0(VALU_DEP_4)
	v_lshlrev_b64_e32 v[15:16], 1, v[15:16]
	v_bfe_u32 v25, v28, 16, 1
	v_add_co_u32 v5, vcc_lo, v26, v5
	s_wait_alu 0xfffd
	v_add_co_ci_u32_e64 v6, null, v29, v6, vcc_lo
	v_add3_u32 v18, v18, v21, v19
	v_add3_u32 v19, v20, v22, 0x7fff
	v_add_co_u32 v22, vcc_lo, s60, v15
	v_add3_u32 v21, v28, v25, 0x7fff
	s_wait_alu 0xfffd
	v_add_co_ci_u32_e64 v25, null, s61, v16, vcc_lo
	v_lshrrev_b32_e32 v19, 16, v19
	v_cmp_o_f32_e32 vcc_lo, v20, v20
	v_lshlrev_b64_e32 v[15:16], 1, v[17:18]
	v_bfe_u32 v18, v10, 16, 1
	v_lshrrev_b32_e32 v17, 16, v21
	v_bfe_u32 v20, v9, 16, 1
	s_wait_alu 0xfffd
	v_cndmask_b32_e32 v19, 0x7fc0, v19, vcc_lo
	v_cmp_o_f32_e32 vcc_lo, v28, v28
	v_add3_u32 v18, v10, v18, 0x7fff
	s_wait_alu 0xfffd
	v_cndmask_b32_e32 v17, 0x7fc0, v17, vcc_lo
	v_add_co_u32 v15, vcc_lo, v22, v15
	s_wait_alu 0xfffd
	v_add_co_ci_u32_e64 v16, null, v25, v16, vcc_lo
	global_store_b16 v[23:24], v19, off
	global_store_b16 v[13:14], v17, off
	v_lshrrev_b32_e32 v13, 16, v18
	v_add3_u32 v14, v9, v20, 0x7fff
	v_bfe_u32 v17, v2, 16, 1
	v_cmp_o_f32_e32 vcc_lo, v10, v10
	v_bfe_u32 v18, v33, 16, 1
	s_wait_alu 0xfffd
	v_cndmask_b32_e32 v10, 0x7fc0, v13, vcc_lo
	v_lshrrev_b32_e32 v13, 16, v14
	v_add3_u32 v14, v2, v17, 0x7fff
	v_add_co_u32 v3, vcc_lo, v3, s78
	v_add3_u32 v17, v33, v18, 0x7fff
	s_wait_alu 0xfffd
	v_add_co_ci_u32_e64 v4, null, 0, v4, vcc_lo
	v_lshrrev_b32_e32 v14, 16, v14
	v_cmp_o_f32_e32 vcc_lo, v9, v9
	s_wait_alu 0xf1ff
	s_delay_alu instid0(VALU_DEP_2)
	v_cndmask_b32_e64 v2, 0x7fc0, v14, s0
	s_wait_alu 0xfffd
	v_cndmask_b32_e32 v9, 0x7fc0, v13, vcc_lo
	v_lshrrev_b32_e32 v13, 16, v17
	v_cmp_o_f32_e64 s0, v33, v33
	v_cmp_le_i64_e32 vcc_lo, s[6:7], v[3:4]
	s_clause 0x1
	global_store_b16 v[15:16], v10, off
	global_store_b16 v[5:6], v9, off
	s_wait_alu 0xf1ff
	v_cndmask_b32_e64 v13, 0x7fc0, v13, s0
	s_clause 0x1
	global_store_b16 v[7:8], v2, off
	global_store_b16 v[11:12], v13, off
	s_or_b32 s80, vcc_lo, s80
	s_delay_alu instid0(SALU_CYCLE_1)
	s_and_not1_b32 exec_lo, exec_lo, s80
	s_cbranch_execz .LBB15_78
.LBB15_3:                               ; =>This Inner Loop Header: Depth=1
	v_or_b32_e32 v2, s5, v4
	v_ashrrev_i32_e32 v28, 31, v4
                                        ; implicit-def: $vgpr9_vgpr10
	s_mov_b32 s0, exec_lo
	s_delay_alu instid0(VALU_DEP_2)
	v_cmpx_ne_u64_e32 0, v[1:2]
	s_wait_alu 0xfffe
	s_xor_b32 s81, exec_lo, s0
	s_cbranch_execz .LBB15_5
; %bb.4:                                ;   in Loop: Header=BB15_3 Depth=1
	s_ashr_i32 s74, s5, 31
	v_add_co_u32 v2, vcc_lo, v3, v28
	s_wait_alu 0xfffe
	s_mov_b32 s75, s74
	s_wait_alu 0xfffd
	v_add_co_ci_u32_e64 v5, null, v4, v28, vcc_lo
	s_wait_alu 0xfffe
	s_add_nc_u64 s[76:77], s[4:5], s[74:75]
	v_xor_b32_e32 v2, v2, v28
	s_wait_alu 0xfffe
	s_xor_b64 s[76:77], s[76:77], s[74:75]
	v_xor_b32_e32 v11, v5, v28
	s_wait_alu 0xfffe
	s_cvt_f32_u32 s0, s76
	s_cvt_f32_u32 s75, s77
	s_sub_nc_u64 s[84:85], 0, s[76:77]
	s_wait_alu 0xfffe
	s_delay_alu instid0(SALU_CYCLE_1) | instskip(SKIP_1) | instid1(SALU_CYCLE_2)
	s_fmamk_f32 s0, s75, 0x4f800000, s0
	s_wait_alu 0xfffe
	v_s_rcp_f32 s0, s0
	s_delay_alu instid0(TRANS32_DEP_1) | instskip(SKIP_1) | instid1(SALU_CYCLE_2)
	s_mul_f32 s0, s0, 0x5f7ffffc
	s_wait_alu 0xfffe
	s_mul_f32 s75, s0, 0x2f800000
	s_wait_alu 0xfffe
	s_delay_alu instid0(SALU_CYCLE_2) | instskip(SKIP_1) | instid1(SALU_CYCLE_2)
	s_trunc_f32 s75, s75
	s_wait_alu 0xfffe
	s_fmamk_f32 s0, s75, 0xcf800000, s0
	s_cvt_u32_f32 s83, s75
	s_wait_alu 0xfffe
	s_delay_alu instid0(SALU_CYCLE_1) | instskip(NEXT) | instid1(SALU_CYCLE_3)
	s_cvt_u32_f32 s82, s0
	s_mul_u64 s[86:87], s[84:85], s[82:83]
	s_delay_alu instid0(SALU_CYCLE_1)
	s_mul_hi_u32 s89, s82, s87
	s_mul_i32 s88, s82, s87
	s_mul_hi_u32 s0, s82, s86
	s_mul_i32 s90, s83, s86
	s_wait_alu 0xfffe
	s_add_nc_u64 s[88:89], s[0:1], s[88:89]
	s_mul_hi_u32 s75, s83, s86
	s_mul_hi_u32 s91, s83, s87
	s_add_co_u32 s0, s88, s90
	s_wait_alu 0xfffe
	s_add_co_ci_u32 s0, s89, s75
	s_mul_i32 s86, s83, s87
	s_add_co_ci_u32 s87, s91, 0
	s_wait_alu 0xfffe
	s_add_nc_u64 s[86:87], s[0:1], s[86:87]
	s_delay_alu instid0(SALU_CYCLE_1) | instskip(SKIP_4) | instid1(SALU_CYCLE_1)
	s_add_co_u32 s82, s82, s86
	s_cselect_b32 s0, -1, 0
	s_wait_alu 0xfffe
	s_cmp_lg_u32 s0, 0
	s_add_co_ci_u32 s83, s83, s87
	s_mul_u64 s[84:85], s[84:85], s[82:83]
	s_delay_alu instid0(SALU_CYCLE_1)
	s_mul_hi_u32 s87, s82, s85
	s_mul_i32 s86, s82, s85
	s_mul_hi_u32 s0, s82, s84
	s_mul_i32 s88, s83, s84
	s_wait_alu 0xfffe
	s_add_nc_u64 s[86:87], s[0:1], s[86:87]
	s_mul_hi_u32 s75, s83, s84
	s_mul_hi_u32 s89, s83, s85
	s_add_co_u32 s0, s86, s88
	s_wait_alu 0xfffe
	s_add_co_ci_u32 s0, s87, s75
	s_mul_i32 s84, s83, s85
	s_add_co_ci_u32 s85, s89, 0
	s_wait_alu 0xfffe
	s_add_nc_u64 s[84:85], s[0:1], s[84:85]
	s_delay_alu instid0(SALU_CYCLE_1)
	s_add_co_u32 s0, s82, s84
	s_cselect_b32 s75, -1, 0
	s_wait_alu 0xfffe
	v_mul_hi_u32 v12, v2, s0
	s_cmp_lg_u32 s75, 0
	v_mad_co_u64_u32 v[7:8], null, v11, s0, 0
	s_add_co_ci_u32 s75, s83, s85
	s_wait_alu 0xfffe
	v_mad_co_u64_u32 v[5:6], null, v2, s75, 0
	v_mad_co_u64_u32 v[9:10], null, v11, s75, 0
	s_delay_alu instid0(VALU_DEP_2) | instskip(SKIP_1) | instid1(VALU_DEP_3)
	v_add_co_u32 v5, vcc_lo, v12, v5
	s_wait_alu 0xfffd
	v_add_co_ci_u32_e64 v6, null, 0, v6, vcc_lo
	s_delay_alu instid0(VALU_DEP_2) | instskip(SKIP_1) | instid1(VALU_DEP_2)
	v_add_co_u32 v5, vcc_lo, v5, v7
	s_wait_alu 0xfffd
	v_add_co_ci_u32_e32 v5, vcc_lo, v6, v8, vcc_lo
	s_wait_alu 0xfffd
	v_add_co_ci_u32_e32 v6, vcc_lo, 0, v10, vcc_lo
	s_delay_alu instid0(VALU_DEP_2) | instskip(SKIP_1) | instid1(VALU_DEP_2)
	v_add_co_u32 v7, vcc_lo, v5, v9
	s_wait_alu 0xfffd
	v_add_co_ci_u32_e64 v8, null, 0, v6, vcc_lo
	s_delay_alu instid0(VALU_DEP_2) | instskip(SKIP_1) | instid1(VALU_DEP_3)
	v_mul_lo_u32 v9, s77, v7
	v_mad_co_u64_u32 v[5:6], null, s76, v7, 0
	v_mul_lo_u32 v10, s76, v8
	s_delay_alu instid0(VALU_DEP_2) | instskip(NEXT) | instid1(VALU_DEP_2)
	v_sub_co_u32 v2, vcc_lo, v2, v5
	v_add3_u32 v6, v6, v10, v9
	s_delay_alu instid0(VALU_DEP_1) | instskip(SKIP_2) | instid1(VALU_DEP_2)
	v_sub_nc_u32_e32 v9, v11, v6
	s_wait_alu 0xfffd
	v_sub_co_ci_u32_e64 v6, null, v11, v6, vcc_lo
	v_subrev_co_ci_u32_e64 v5, null, s77, v9, vcc_lo
	v_add_co_u32 v9, s0, v7, 2
	s_wait_alu 0xf1ff
	v_add_co_ci_u32_e64 v10, null, 0, v8, s0
	v_sub_co_u32 v12, s0, v2, s76
	s_wait_alu 0xf1ff
	v_subrev_co_ci_u32_e64 v5, null, 0, v5, s0
	s_delay_alu instid0(VALU_DEP_2) | instskip(SKIP_2) | instid1(VALU_DEP_3)
	v_cmp_le_u32_e32 vcc_lo, s76, v12
	s_wait_alu 0xfffd
	v_cndmask_b32_e64 v11, 0, -1, vcc_lo
	v_cmp_le_u32_e32 vcc_lo, s77, v5
	s_wait_alu 0xfffd
	v_cndmask_b32_e64 v12, 0, -1, vcc_lo
	;; [unrolled: 3-line block ×4, first 2 shown]
	v_cmp_eq_u32_e32 vcc_lo, s77, v5
	s_wait_alu 0xfffd
	v_cndmask_b32_e32 v5, v12, v11, vcc_lo
	v_add_co_u32 v11, vcc_lo, v7, 1
	s_wait_alu 0xfffd
	v_add_co_ci_u32_e64 v12, null, 0, v8, vcc_lo
	v_cmp_eq_u32_e32 vcc_lo, s77, v6
	v_xor_b32_e32 v6, s74, v28
	s_wait_alu 0xfffd
	v_cndmask_b32_e32 v2, v13, v2, vcc_lo
	v_cmp_ne_u32_e32 vcc_lo, 0, v5
	s_delay_alu instid0(VALU_DEP_2) | instskip(SKIP_3) | instid1(VALU_DEP_1)
	v_cmp_ne_u32_e64 s0, 0, v2
	s_wait_alu 0xfffd
	v_dual_cndmask_b32 v5, v12, v10 :: v_dual_cndmask_b32 v2, v11, v9
	s_wait_alu 0xf1ff
	v_cndmask_b32_e64 v5, v8, v5, s0
	s_delay_alu instid0(VALU_DEP_2) | instskip(NEXT) | instid1(VALU_DEP_2)
	v_cndmask_b32_e64 v2, v7, v2, s0
	v_xor_b32_e32 v5, v5, v6
	s_delay_alu instid0(VALU_DEP_2) | instskip(NEXT) | instid1(VALU_DEP_1)
	v_xor_b32_e32 v2, v2, v6
	v_sub_co_u32 v9, vcc_lo, v2, v6
	s_wait_alu 0xfffd
	s_delay_alu instid0(VALU_DEP_3)
	v_sub_co_ci_u32_e64 v10, null, v5, v6, vcc_lo
.LBB15_5:                               ;   in Loop: Header=BB15_3 Depth=1
	s_and_not1_saveexec_b32 s0, s81
	s_cbranch_execz .LBB15_7
; %bb.6:                                ;   in Loop: Header=BB15_3 Depth=1
	s_sub_co_i32 s74, 0, s4
	v_mov_b32_e32 v10, v1
	s_wait_alu 0xfffe
	v_mul_lo_u32 v2, s74, v0
	s_delay_alu instid0(VALU_DEP_1) | instskip(NEXT) | instid1(VALU_DEP_1)
	v_mul_hi_u32 v2, v0, v2
	v_add_nc_u32_e32 v2, v0, v2
	s_delay_alu instid0(VALU_DEP_1) | instskip(NEXT) | instid1(VALU_DEP_1)
	v_mul_hi_u32 v2, v3, v2
	v_mul_lo_u32 v5, v2, s4
	v_add_nc_u32_e32 v6, 1, v2
	s_delay_alu instid0(VALU_DEP_2) | instskip(NEXT) | instid1(VALU_DEP_1)
	v_sub_nc_u32_e32 v5, v3, v5
	v_subrev_nc_u32_e32 v7, s4, v5
	v_cmp_le_u32_e32 vcc_lo, s4, v5
	s_wait_alu 0xfffd
	s_delay_alu instid0(VALU_DEP_2) | instskip(NEXT) | instid1(VALU_DEP_1)
	v_dual_cndmask_b32 v5, v5, v7 :: v_dual_cndmask_b32 v2, v2, v6
	v_cmp_le_u32_e32 vcc_lo, s4, v5
	s_delay_alu instid0(VALU_DEP_2) | instskip(SKIP_1) | instid1(VALU_DEP_1)
	v_add_nc_u32_e32 v6, 1, v2
	s_wait_alu 0xfffd
	v_cndmask_b32_e32 v9, v2, v6, vcc_lo
.LBB15_7:                               ;   in Loop: Header=BB15_3 Depth=1
	s_wait_alu 0xfffe
	s_or_b32 exec_lo, exec_lo, s0
	s_delay_alu instid0(VALU_DEP_1)
	v_mul_lo_u32 v2, s65, v9
	v_mul_lo_u32 v7, s64, v10
	v_mad_co_u64_u32 v[5:6], null, s64, v9, 0
	s_mov_b32 s0, exec_lo
	v_add3_u32 v6, v6, v7, v2
	v_add_co_u32 v18, vcc_lo, v3, v5
                                        ; implicit-def: $vgpr7_vgpr8
	s_wait_alu 0xfffd
	s_delay_alu instid0(VALU_DEP_2) | instskip(NEXT) | instid1(VALU_DEP_1)
	v_add_co_ci_u32_e64 v20, null, v4, v6, vcc_lo
	v_or_b32_e32 v2, s35, v20
	v_ashrrev_i32_e32 v17, 31, v20
	s_delay_alu instid0(VALU_DEP_2)
	v_cmpx_ne_u64_e32 0, v[1:2]
	s_wait_alu 0xfffe
	s_xor_b32 s81, exec_lo, s0
	s_cbranch_execz .LBB15_9
; %bb.8:                                ;   in Loop: Header=BB15_3 Depth=1
	s_ashr_i32 s74, s35, 31
	v_add_co_u32 v2, vcc_lo, v18, v17
	s_wait_alu 0xfffe
	s_mov_b32 s75, s74
	s_wait_alu 0xfffd
	v_add_co_ci_u32_e64 v7, null, v20, v17, vcc_lo
	s_wait_alu 0xfffe
	s_add_nc_u64 s[76:77], s[34:35], s[74:75]
	v_xor_b32_e32 v2, v2, v17
	s_wait_alu 0xfffe
	s_xor_b64 s[76:77], s[76:77], s[74:75]
	v_xor_b32_e32 v15, v7, v17
	s_wait_alu 0xfffe
	s_cvt_f32_u32 s0, s76
	s_cvt_f32_u32 s75, s77
	s_sub_nc_u64 s[84:85], 0, s[76:77]
	s_wait_alu 0xfffe
	s_delay_alu instid0(SALU_CYCLE_1) | instskip(SKIP_1) | instid1(SALU_CYCLE_2)
	s_fmamk_f32 s0, s75, 0x4f800000, s0
	s_wait_alu 0xfffe
	v_s_rcp_f32 s0, s0
	s_delay_alu instid0(TRANS32_DEP_1) | instskip(SKIP_1) | instid1(SALU_CYCLE_2)
	s_mul_f32 s0, s0, 0x5f7ffffc
	s_wait_alu 0xfffe
	s_mul_f32 s75, s0, 0x2f800000
	s_wait_alu 0xfffe
	s_delay_alu instid0(SALU_CYCLE_2) | instskip(SKIP_1) | instid1(SALU_CYCLE_2)
	s_trunc_f32 s75, s75
	s_wait_alu 0xfffe
	s_fmamk_f32 s0, s75, 0xcf800000, s0
	s_cvt_u32_f32 s83, s75
	s_wait_alu 0xfffe
	s_delay_alu instid0(SALU_CYCLE_1) | instskip(NEXT) | instid1(SALU_CYCLE_3)
	s_cvt_u32_f32 s82, s0
	s_mul_u64 s[86:87], s[84:85], s[82:83]
	s_delay_alu instid0(SALU_CYCLE_1)
	s_mul_hi_u32 s89, s82, s87
	s_mul_i32 s88, s82, s87
	s_mul_hi_u32 s0, s82, s86
	s_mul_i32 s90, s83, s86
	s_wait_alu 0xfffe
	s_add_nc_u64 s[88:89], s[0:1], s[88:89]
	s_mul_hi_u32 s75, s83, s86
	s_mul_hi_u32 s91, s83, s87
	s_add_co_u32 s0, s88, s90
	s_wait_alu 0xfffe
	s_add_co_ci_u32 s0, s89, s75
	s_mul_i32 s86, s83, s87
	s_add_co_ci_u32 s87, s91, 0
	s_wait_alu 0xfffe
	s_add_nc_u64 s[86:87], s[0:1], s[86:87]
	s_delay_alu instid0(SALU_CYCLE_1) | instskip(SKIP_4) | instid1(SALU_CYCLE_1)
	s_add_co_u32 s82, s82, s86
	s_cselect_b32 s0, -1, 0
	s_wait_alu 0xfffe
	s_cmp_lg_u32 s0, 0
	s_add_co_ci_u32 s83, s83, s87
	s_mul_u64 s[84:85], s[84:85], s[82:83]
	s_delay_alu instid0(SALU_CYCLE_1)
	s_mul_hi_u32 s87, s82, s85
	s_mul_i32 s86, s82, s85
	s_mul_hi_u32 s0, s82, s84
	s_mul_i32 s88, s83, s84
	s_wait_alu 0xfffe
	s_add_nc_u64 s[86:87], s[0:1], s[86:87]
	s_mul_hi_u32 s75, s83, s84
	s_mul_hi_u32 s89, s83, s85
	s_add_co_u32 s0, s86, s88
	s_wait_alu 0xfffe
	s_add_co_ci_u32 s0, s87, s75
	s_mul_i32 s84, s83, s85
	s_add_co_ci_u32 s85, s89, 0
	s_wait_alu 0xfffe
	s_add_nc_u64 s[84:85], s[0:1], s[84:85]
	s_delay_alu instid0(SALU_CYCLE_1)
	s_add_co_u32 s0, s82, s84
	s_cselect_b32 s75, -1, 0
	s_wait_alu 0xfffe
	v_mul_hi_u32 v16, v2, s0
	s_cmp_lg_u32 s75, 0
	v_mad_co_u64_u32 v[11:12], null, v15, s0, 0
	s_add_co_ci_u32 s75, s83, s85
	s_wait_alu 0xfffe
	v_mad_co_u64_u32 v[7:8], null, v2, s75, 0
	v_mad_co_u64_u32 v[13:14], null, v15, s75, 0
	s_delay_alu instid0(VALU_DEP_2) | instskip(SKIP_1) | instid1(VALU_DEP_3)
	v_add_co_u32 v7, vcc_lo, v16, v7
	s_wait_alu 0xfffd
	v_add_co_ci_u32_e64 v8, null, 0, v8, vcc_lo
	s_delay_alu instid0(VALU_DEP_2) | instskip(SKIP_1) | instid1(VALU_DEP_2)
	v_add_co_u32 v7, vcc_lo, v7, v11
	s_wait_alu 0xfffd
	v_add_co_ci_u32_e32 v7, vcc_lo, v8, v12, vcc_lo
	s_wait_alu 0xfffd
	v_add_co_ci_u32_e32 v8, vcc_lo, 0, v14, vcc_lo
	s_delay_alu instid0(VALU_DEP_2) | instskip(SKIP_1) | instid1(VALU_DEP_2)
	v_add_co_u32 v11, vcc_lo, v7, v13
	s_wait_alu 0xfffd
	v_add_co_ci_u32_e64 v12, null, 0, v8, vcc_lo
	s_delay_alu instid0(VALU_DEP_2) | instskip(SKIP_1) | instid1(VALU_DEP_3)
	v_mul_lo_u32 v13, s77, v11
	v_mad_co_u64_u32 v[7:8], null, s76, v11, 0
	v_mul_lo_u32 v14, s76, v12
	s_delay_alu instid0(VALU_DEP_2) | instskip(NEXT) | instid1(VALU_DEP_2)
	v_sub_co_u32 v2, vcc_lo, v2, v7
	v_add3_u32 v8, v8, v14, v13
	s_delay_alu instid0(VALU_DEP_1) | instskip(SKIP_2) | instid1(VALU_DEP_2)
	v_sub_nc_u32_e32 v13, v15, v8
	s_wait_alu 0xfffd
	v_sub_co_ci_u32_e64 v8, null, v15, v8, vcc_lo
	v_subrev_co_ci_u32_e64 v7, null, s77, v13, vcc_lo
	v_add_co_u32 v13, s0, v11, 2
	s_wait_alu 0xf1ff
	v_add_co_ci_u32_e64 v14, null, 0, v12, s0
	v_sub_co_u32 v16, s0, v2, s76
	s_wait_alu 0xf1ff
	v_subrev_co_ci_u32_e64 v7, null, 0, v7, s0
	s_delay_alu instid0(VALU_DEP_2) | instskip(SKIP_2) | instid1(VALU_DEP_3)
	v_cmp_le_u32_e32 vcc_lo, s76, v16
	s_wait_alu 0xfffd
	v_cndmask_b32_e64 v15, 0, -1, vcc_lo
	v_cmp_le_u32_e32 vcc_lo, s77, v7
	s_wait_alu 0xfffd
	v_cndmask_b32_e64 v16, 0, -1, vcc_lo
	;; [unrolled: 3-line block ×4, first 2 shown]
	v_cmp_eq_u32_e32 vcc_lo, s77, v7
	s_wait_alu 0xfffd
	v_cndmask_b32_e32 v7, v16, v15, vcc_lo
	v_add_co_u32 v15, vcc_lo, v11, 1
	s_wait_alu 0xfffd
	v_add_co_ci_u32_e64 v16, null, 0, v12, vcc_lo
	v_cmp_eq_u32_e32 vcc_lo, s77, v8
	v_xor_b32_e32 v8, s74, v17
	s_wait_alu 0xfffd
	v_cndmask_b32_e32 v2, v19, v2, vcc_lo
	v_cmp_ne_u32_e32 vcc_lo, 0, v7
	s_delay_alu instid0(VALU_DEP_2) | instskip(SKIP_3) | instid1(VALU_DEP_1)
	v_cmp_ne_u32_e64 s0, 0, v2
	s_wait_alu 0xfffd
	v_dual_cndmask_b32 v7, v16, v14 :: v_dual_cndmask_b32 v2, v15, v13
	s_wait_alu 0xf1ff
	v_cndmask_b32_e64 v7, v12, v7, s0
	s_delay_alu instid0(VALU_DEP_2) | instskip(NEXT) | instid1(VALU_DEP_2)
	v_cndmask_b32_e64 v2, v11, v2, s0
	v_xor_b32_e32 v11, v7, v8
	s_delay_alu instid0(VALU_DEP_2) | instskip(NEXT) | instid1(VALU_DEP_1)
	v_xor_b32_e32 v2, v2, v8
	v_sub_co_u32 v7, vcc_lo, v2, v8
	s_wait_alu 0xfffd
	s_delay_alu instid0(VALU_DEP_3)
	v_sub_co_ci_u32_e64 v8, null, v11, v8, vcc_lo
.LBB15_9:                               ;   in Loop: Header=BB15_3 Depth=1
	s_and_not1_saveexec_b32 s0, s81
	s_cbranch_execz .LBB15_11
; %bb.10:                               ;   in Loop: Header=BB15_3 Depth=1
	s_sub_co_i32 s74, 0, s34
	s_wait_alu 0xfffe
	v_mul_lo_u32 v2, s74, v27
	s_delay_alu instid0(VALU_DEP_1) | instskip(NEXT) | instid1(VALU_DEP_1)
	v_mul_hi_u32 v2, v27, v2
	v_add_nc_u32_e32 v2, v27, v2
	s_delay_alu instid0(VALU_DEP_1) | instskip(NEXT) | instid1(VALU_DEP_1)
	v_mul_hi_u32 v2, v18, v2
	v_mul_lo_u32 v7, v2, s34
	s_delay_alu instid0(VALU_DEP_1) | instskip(NEXT) | instid1(VALU_DEP_1)
	v_sub_nc_u32_e32 v7, v18, v7
	v_subrev_nc_u32_e32 v11, s34, v7
	v_cmp_le_u32_e32 vcc_lo, s34, v7
	s_wait_alu 0xfffd
	s_delay_alu instid0(VALU_DEP_2) | instskip(NEXT) | instid1(VALU_DEP_1)
	v_dual_cndmask_b32 v7, v7, v11 :: v_dual_add_nc_u32 v8, 1, v2
	v_cndmask_b32_e32 v2, v2, v8, vcc_lo
	s_delay_alu instid0(VALU_DEP_2) | instskip(NEXT) | instid1(VALU_DEP_2)
	v_cmp_le_u32_e32 vcc_lo, s34, v7
	v_add_nc_u32_e32 v8, 1, v2
	s_wait_alu 0xfffd
	s_delay_alu instid0(VALU_DEP_1)
	v_dual_cndmask_b32 v7, v2, v8 :: v_dual_mov_b32 v8, v1
.LBB15_11:                              ;   in Loop: Header=BB15_3 Depth=1
	s_wait_alu 0xfffe
	s_or_b32 exec_lo, exec_lo, s0
	s_delay_alu instid0(VALU_DEP_1) | instskip(NEXT) | instid1(VALU_DEP_2)
	v_mul_lo_u32 v2, v8, s34
	v_mul_lo_u32 v13, v7, s35
	v_mad_co_u64_u32 v[11:12], null, v7, s34, 0
	v_mul_lo_u32 v14, v7, s9
	s_mov_b32 s0, exec_lo
	s_delay_alu instid0(VALU_DEP_2) | instskip(SKIP_1) | instid1(VALU_DEP_4)
	v_add3_u32 v2, v12, v13, v2
	v_mul_lo_u32 v13, v8, s8
	v_sub_co_u32 v8, vcc_lo, v5, v11
	s_wait_alu 0xfffd
	s_delay_alu instid0(VALU_DEP_3) | instskip(NEXT) | instid1(VALU_DEP_2)
	v_sub_co_ci_u32_e64 v2, null, v6, v2, vcc_lo
	v_add_co_u32 v11, vcc_lo, v3, v8
	v_mad_co_u64_u32 v[7:8], null, v7, s8, 0
	s_wait_alu 0xfffd
	s_delay_alu instid0(VALU_DEP_3) | instskip(NEXT) | instid1(VALU_DEP_3)
	v_add_co_ci_u32_e64 v2, null, v4, v2, vcc_lo
	v_mul_lo_u32 v15, v11, s11
	v_mad_co_u64_u32 v[11:12], null, v11, s10, 0
	s_delay_alu instid0(VALU_DEP_3) | instskip(SKIP_2) | instid1(VALU_DEP_2)
	v_mul_lo_u32 v2, v2, s10
	v_add3_u32 v8, v8, v14, v13
	v_mad_co_u64_u32 v[13:14], null, v9, 3, 0
	v_lshlrev_b64_e32 v[7:8], 1, v[7:8]
	s_delay_alu instid0(VALU_DEP_4) | instskip(NEXT) | instid1(VALU_DEP_2)
	v_add3_u32 v12, v12, v15, v2
	v_add_co_u32 v2, vcc_lo, s2, v7
	s_delay_alu instid0(VALU_DEP_2) | instskip(SKIP_1) | instid1(VALU_DEP_4)
	v_lshlrev_b64_e32 v[11:12], 1, v[11:12]
	s_wait_alu 0xfffd
	v_add_co_ci_u32_e64 v8, null, s3, v8, vcc_lo
	s_delay_alu instid0(VALU_DEP_2) | instskip(SKIP_1) | instid1(VALU_DEP_2)
	v_add_co_u32 v7, vcc_lo, v2, v11
	s_wait_alu 0xfffd
	v_add_co_ci_u32_e64 v8, null, v8, v12, vcc_lo
	v_mov_b32_e32 v2, v14
	global_load_u16 v29, v[7:8], off
	v_mad_co_u64_u32 v[7:8], null, s4, v13, s[4:5]
	v_mad_co_u64_u32 v[14:15], null, v10, 3, v[2:3]
	v_mul_lo_u32 v2, s5, v13
	s_delay_alu instid0(VALU_DEP_3) | instskip(NEXT) | instid1(VALU_DEP_3)
	v_add_co_u32 v22, vcc_lo, v3, v7
	v_mul_lo_u32 v11, s4, v14
	s_delay_alu instid0(VALU_DEP_1) | instskip(SKIP_1) | instid1(VALU_DEP_1)
	v_add3_u32 v8, v2, v8, v11
                                        ; implicit-def: $vgpr11_vgpr12
	s_wait_alu 0xfffd
	v_add_co_ci_u32_e64 v23, null, v4, v8, vcc_lo
	s_delay_alu instid0(VALU_DEP_1) | instskip(SKIP_1) | instid1(VALU_DEP_2)
	v_or_b32_e32 v2, s35, v23
	v_ashrrev_i32_e32 v19, 31, v23
	v_cmpx_ne_u64_e32 0, v[1:2]
	s_wait_alu 0xfffe
	s_xor_b32 s81, exec_lo, s0
	s_cbranch_execz .LBB15_13
; %bb.12:                               ;   in Loop: Header=BB15_3 Depth=1
	s_ashr_i32 s74, s35, 31
	v_add_co_u32 v2, vcc_lo, v22, v19
	s_wait_alu 0xfffe
	s_mov_b32 s75, s74
	s_wait_alu 0xfffd
	v_add_co_ci_u32_e64 v11, null, v23, v19, vcc_lo
	s_wait_alu 0xfffe
	s_add_nc_u64 s[76:77], s[34:35], s[74:75]
	v_xor_b32_e32 v2, v2, v19
	s_wait_alu 0xfffe
	s_xor_b64 s[76:77], s[76:77], s[74:75]
	v_xor_b32_e32 v21, v11, v19
	s_wait_alu 0xfffe
	s_cvt_f32_u32 s0, s76
	s_cvt_f32_u32 s75, s77
	s_sub_nc_u64 s[84:85], 0, s[76:77]
	s_wait_alu 0xfffe
	s_delay_alu instid0(SALU_CYCLE_1) | instskip(SKIP_1) | instid1(SALU_CYCLE_2)
	s_fmamk_f32 s0, s75, 0x4f800000, s0
	s_wait_alu 0xfffe
	v_s_rcp_f32 s0, s0
	s_delay_alu instid0(TRANS32_DEP_1) | instskip(SKIP_1) | instid1(SALU_CYCLE_2)
	s_mul_f32 s0, s0, 0x5f7ffffc
	s_wait_alu 0xfffe
	s_mul_f32 s75, s0, 0x2f800000
	s_wait_alu 0xfffe
	s_delay_alu instid0(SALU_CYCLE_2) | instskip(SKIP_1) | instid1(SALU_CYCLE_2)
	s_trunc_f32 s75, s75
	s_wait_alu 0xfffe
	s_fmamk_f32 s0, s75, 0xcf800000, s0
	s_cvt_u32_f32 s83, s75
	s_wait_alu 0xfffe
	s_delay_alu instid0(SALU_CYCLE_1) | instskip(NEXT) | instid1(SALU_CYCLE_3)
	s_cvt_u32_f32 s82, s0
	s_mul_u64 s[86:87], s[84:85], s[82:83]
	s_delay_alu instid0(SALU_CYCLE_1)
	s_mul_hi_u32 s89, s82, s87
	s_mul_i32 s88, s82, s87
	s_mul_hi_u32 s0, s82, s86
	s_mul_i32 s90, s83, s86
	s_wait_alu 0xfffe
	s_add_nc_u64 s[88:89], s[0:1], s[88:89]
	s_mul_hi_u32 s75, s83, s86
	s_mul_hi_u32 s91, s83, s87
	s_add_co_u32 s0, s88, s90
	s_wait_alu 0xfffe
	s_add_co_ci_u32 s0, s89, s75
	s_mul_i32 s86, s83, s87
	s_add_co_ci_u32 s87, s91, 0
	s_wait_alu 0xfffe
	s_add_nc_u64 s[86:87], s[0:1], s[86:87]
	s_delay_alu instid0(SALU_CYCLE_1) | instskip(SKIP_4) | instid1(SALU_CYCLE_1)
	s_add_co_u32 s82, s82, s86
	s_cselect_b32 s0, -1, 0
	s_wait_alu 0xfffe
	s_cmp_lg_u32 s0, 0
	s_add_co_ci_u32 s83, s83, s87
	s_mul_u64 s[84:85], s[84:85], s[82:83]
	s_delay_alu instid0(SALU_CYCLE_1)
	s_mul_hi_u32 s87, s82, s85
	s_mul_i32 s86, s82, s85
	s_mul_hi_u32 s0, s82, s84
	s_mul_i32 s88, s83, s84
	s_wait_alu 0xfffe
	s_add_nc_u64 s[86:87], s[0:1], s[86:87]
	s_mul_hi_u32 s75, s83, s84
	s_mul_hi_u32 s89, s83, s85
	s_add_co_u32 s0, s86, s88
	s_wait_alu 0xfffe
	s_add_co_ci_u32 s0, s87, s75
	s_mul_i32 s84, s83, s85
	s_add_co_ci_u32 s85, s89, 0
	s_wait_alu 0xfffe
	s_add_nc_u64 s[84:85], s[0:1], s[84:85]
	s_delay_alu instid0(SALU_CYCLE_1)
	s_add_co_u32 s0, s82, s84
	s_cselect_b32 s75, -1, 0
	s_wait_alu 0xfffe
	v_mul_hi_u32 v26, v2, s0
	s_cmp_lg_u32 s75, 0
	v_mad_co_u64_u32 v[15:16], null, v21, s0, 0
	s_add_co_ci_u32 s75, s83, s85
	s_wait_alu 0xfffe
	v_mad_co_u64_u32 v[11:12], null, v2, s75, 0
	v_mad_co_u64_u32 v[24:25], null, v21, s75, 0
	s_delay_alu instid0(VALU_DEP_2) | instskip(SKIP_1) | instid1(VALU_DEP_3)
	v_add_co_u32 v11, vcc_lo, v26, v11
	s_wait_alu 0xfffd
	v_add_co_ci_u32_e64 v12, null, 0, v12, vcc_lo
	s_delay_alu instid0(VALU_DEP_2) | instskip(SKIP_1) | instid1(VALU_DEP_2)
	v_add_co_u32 v11, vcc_lo, v11, v15
	s_wait_alu 0xfffd
	v_add_co_ci_u32_e32 v11, vcc_lo, v12, v16, vcc_lo
	s_wait_alu 0xfffd
	v_add_co_ci_u32_e32 v12, vcc_lo, 0, v25, vcc_lo
	s_delay_alu instid0(VALU_DEP_2) | instskip(SKIP_1) | instid1(VALU_DEP_2)
	v_add_co_u32 v15, vcc_lo, v11, v24
	s_wait_alu 0xfffd
	v_add_co_ci_u32_e64 v16, null, 0, v12, vcc_lo
	s_delay_alu instid0(VALU_DEP_2) | instskip(SKIP_1) | instid1(VALU_DEP_3)
	v_mul_lo_u32 v24, s77, v15
	v_mad_co_u64_u32 v[11:12], null, s76, v15, 0
	v_mul_lo_u32 v25, s76, v16
	s_delay_alu instid0(VALU_DEP_2) | instskip(NEXT) | instid1(VALU_DEP_2)
	v_sub_co_u32 v2, vcc_lo, v2, v11
	v_add3_u32 v12, v12, v25, v24
	s_delay_alu instid0(VALU_DEP_1) | instskip(SKIP_2) | instid1(VALU_DEP_2)
	v_sub_nc_u32_e32 v24, v21, v12
	s_wait_alu 0xfffd
	v_sub_co_ci_u32_e64 v12, null, v21, v12, vcc_lo
	v_subrev_co_ci_u32_e64 v11, null, s77, v24, vcc_lo
	v_add_co_u32 v24, s0, v15, 2
	s_wait_alu 0xf1ff
	v_add_co_ci_u32_e64 v25, null, 0, v16, s0
	v_sub_co_u32 v26, s0, v2, s76
	s_wait_alu 0xf1ff
	v_subrev_co_ci_u32_e64 v11, null, 0, v11, s0
	s_delay_alu instid0(VALU_DEP_2) | instskip(SKIP_2) | instid1(VALU_DEP_3)
	v_cmp_le_u32_e32 vcc_lo, s76, v26
	s_wait_alu 0xfffd
	v_cndmask_b32_e64 v21, 0, -1, vcc_lo
	v_cmp_le_u32_e32 vcc_lo, s77, v11
	s_wait_alu 0xfffd
	v_cndmask_b32_e64 v26, 0, -1, vcc_lo
	;; [unrolled: 3-line block ×4, first 2 shown]
	v_cmp_eq_u32_e32 vcc_lo, s77, v11
	s_wait_alu 0xfffd
	v_cndmask_b32_e32 v11, v26, v21, vcc_lo
	v_add_co_u32 v21, vcc_lo, v15, 1
	s_wait_alu 0xfffd
	v_add_co_ci_u32_e64 v26, null, 0, v16, vcc_lo
	v_cmp_eq_u32_e32 vcc_lo, s77, v12
	v_xor_b32_e32 v12, s74, v19
	s_wait_alu 0xfffd
	v_cndmask_b32_e32 v2, v30, v2, vcc_lo
	v_cmp_ne_u32_e32 vcc_lo, 0, v11
	s_delay_alu instid0(VALU_DEP_2) | instskip(SKIP_3) | instid1(VALU_DEP_1)
	v_cmp_ne_u32_e64 s0, 0, v2
	s_wait_alu 0xfffd
	v_dual_cndmask_b32 v2, v21, v24 :: v_dual_cndmask_b32 v11, v26, v25
	s_wait_alu 0xf1ff
	v_cndmask_b32_e64 v2, v15, v2, s0
	s_delay_alu instid0(VALU_DEP_2) | instskip(NEXT) | instid1(VALU_DEP_2)
	v_cndmask_b32_e64 v11, v16, v11, s0
	v_xor_b32_e32 v2, v2, v12
	s_delay_alu instid0(VALU_DEP_2) | instskip(NEXT) | instid1(VALU_DEP_2)
	v_xor_b32_e32 v15, v11, v12
	v_sub_co_u32 v11, vcc_lo, v2, v12
	s_wait_alu 0xfffd
	s_delay_alu instid0(VALU_DEP_2)
	v_sub_co_ci_u32_e64 v12, null, v15, v12, vcc_lo
.LBB15_13:                              ;   in Loop: Header=BB15_3 Depth=1
	s_and_not1_saveexec_b32 s0, s81
	s_cbranch_execz .LBB15_15
; %bb.14:                               ;   in Loop: Header=BB15_3 Depth=1
	s_sub_co_i32 s74, 0, s34
	s_wait_alu 0xfffe
	v_mul_lo_u32 v2, s74, v27
	s_delay_alu instid0(VALU_DEP_1) | instskip(NEXT) | instid1(VALU_DEP_1)
	v_mul_hi_u32 v2, v27, v2
	v_add_nc_u32_e32 v2, v27, v2
	s_delay_alu instid0(VALU_DEP_1) | instskip(NEXT) | instid1(VALU_DEP_1)
	v_mul_hi_u32 v2, v22, v2
	v_mul_lo_u32 v11, v2, s34
	s_delay_alu instid0(VALU_DEP_1) | instskip(NEXT) | instid1(VALU_DEP_1)
	v_sub_nc_u32_e32 v11, v22, v11
	v_subrev_nc_u32_e32 v15, s34, v11
	v_cmp_le_u32_e32 vcc_lo, s34, v11
	s_wait_alu 0xfffd
	s_delay_alu instid0(VALU_DEP_2) | instskip(NEXT) | instid1(VALU_DEP_1)
	v_dual_cndmask_b32 v11, v11, v15 :: v_dual_add_nc_u32 v12, 1, v2
	v_cndmask_b32_e32 v2, v2, v12, vcc_lo
	s_delay_alu instid0(VALU_DEP_2) | instskip(NEXT) | instid1(VALU_DEP_2)
	v_cmp_le_u32_e32 vcc_lo, s34, v11
	v_add_nc_u32_e32 v12, 1, v2
	s_wait_alu 0xfffd
	s_delay_alu instid0(VALU_DEP_1)
	v_dual_cndmask_b32 v11, v2, v12 :: v_dual_mov_b32 v12, v1
.LBB15_15:                              ;   in Loop: Header=BB15_3 Depth=1
	s_wait_alu 0xfffe
	s_or_b32 exec_lo, exec_lo, s0
	s_delay_alu instid0(VALU_DEP_1) | instskip(NEXT) | instid1(VALU_DEP_2)
	v_mul_lo_u32 v2, v12, s34
	v_mul_lo_u32 v21, v11, s35
	v_mad_co_u64_u32 v[15:16], null, v11, s34, 0
	v_mul_lo_u32 v24, v11, s9
	s_mov_b32 s0, exec_lo
	s_delay_alu instid0(VALU_DEP_2) | instskip(SKIP_1) | instid1(VALU_DEP_4)
	v_add3_u32 v2, v16, v21, v2
	v_mul_lo_u32 v21, v12, s8
	v_sub_co_u32 v12, vcc_lo, v7, v15
	s_wait_alu 0xfffd
	s_delay_alu instid0(VALU_DEP_3) | instskip(NEXT) | instid1(VALU_DEP_2)
	v_sub_co_ci_u32_e64 v2, null, v8, v2, vcc_lo
	v_add_co_u32 v15, vcc_lo, v3, v12
	v_mad_co_u64_u32 v[11:12], null, v11, s8, 0
	s_wait_alu 0xfffd
	s_delay_alu instid0(VALU_DEP_3) | instskip(NEXT) | instid1(VALU_DEP_3)
	v_add_co_ci_u32_e64 v2, null, v4, v2, vcc_lo
	v_mul_lo_u32 v25, v15, s11
	v_mad_co_u64_u32 v[15:16], null, v15, s10, 0
	s_delay_alu instid0(VALU_DEP_3) | instskip(SKIP_1) | instid1(VALU_DEP_1)
	v_mul_lo_u32 v2, v2, s10
	v_add3_u32 v12, v12, v24, v21
	v_lshlrev_b64_e32 v[11:12], 1, v[11:12]
	s_delay_alu instid0(VALU_DEP_3) | instskip(NEXT) | instid1(VALU_DEP_2)
	v_add3_u32 v16, v16, v25, v2
	v_add_co_u32 v2, vcc_lo, s2, v11
	s_delay_alu instid0(VALU_DEP_2) | instskip(SKIP_1) | instid1(VALU_DEP_4)
	v_lshlrev_b64_e32 v[15:16], 1, v[15:16]
	s_wait_alu 0xfffd
	v_add_co_ci_u32_e64 v12, null, s3, v12, vcc_lo
	s_delay_alu instid0(VALU_DEP_2) | instskip(SKIP_1) | instid1(VALU_DEP_2)
	v_add_co_u32 v11, vcc_lo, v2, v15
	s_wait_alu 0xfffd
	v_add_co_ci_u32_e64 v12, null, v12, v16, vcc_lo
	v_add_co_u32 v2, vcc_lo, v13, 2
	global_load_u16 v30, v[11:12], off
	s_wait_alu 0xfffd
	v_add_co_ci_u32_e64 v11, null, 0, v14, vcc_lo
	v_mul_lo_u32 v15, s5, v2
	s_delay_alu instid0(VALU_DEP_2) | instskip(SKIP_1) | instid1(VALU_DEP_1)
	v_mul_lo_u32 v16, s4, v11
	v_mad_co_u64_u32 v[11:12], null, s4, v2, 0
	v_add3_u32 v12, v12, v16, v15
	s_delay_alu instid0(VALU_DEP_2) | instskip(SKIP_1) | instid1(VALU_DEP_2)
	v_add_co_u32 v25, vcc_lo, v3, v11
                                        ; implicit-def: $vgpr15_vgpr16
	s_wait_alu 0xfffd
	v_add_co_ci_u32_e64 v26, null, v4, v12, vcc_lo
	s_delay_alu instid0(VALU_DEP_1) | instskip(SKIP_1) | instid1(VALU_DEP_2)
	v_or_b32_e32 v2, s35, v26
	v_ashrrev_i32_e32 v21, 31, v26
	v_cmpx_ne_u64_e32 0, v[1:2]
	s_wait_alu 0xfffe
	s_xor_b32 s81, exec_lo, s0
	s_cbranch_execz .LBB15_17
; %bb.16:                               ;   in Loop: Header=BB15_3 Depth=1
	s_ashr_i32 s74, s35, 31
	v_add_co_u32 v2, vcc_lo, v25, v21
	s_wait_alu 0xfffe
	s_mov_b32 s75, s74
	s_wait_alu 0xfffd
	v_add_co_ci_u32_e64 v15, null, v26, v21, vcc_lo
	s_wait_alu 0xfffe
	s_add_nc_u64 s[76:77], s[34:35], s[74:75]
	v_xor_b32_e32 v2, v2, v21
	s_wait_alu 0xfffe
	s_xor_b64 s[76:77], s[76:77], s[74:75]
	v_xor_b32_e32 v24, v15, v21
	s_wait_alu 0xfffe
	s_cvt_f32_u32 s0, s76
	s_cvt_f32_u32 s75, s77
	s_sub_nc_u64 s[84:85], 0, s[76:77]
	s_wait_alu 0xfffe
	s_delay_alu instid0(SALU_CYCLE_1) | instskip(SKIP_1) | instid1(SALU_CYCLE_2)
	s_fmamk_f32 s0, s75, 0x4f800000, s0
	s_wait_alu 0xfffe
	v_s_rcp_f32 s0, s0
	s_delay_alu instid0(TRANS32_DEP_1) | instskip(SKIP_1) | instid1(SALU_CYCLE_2)
	s_mul_f32 s0, s0, 0x5f7ffffc
	s_wait_alu 0xfffe
	s_mul_f32 s75, s0, 0x2f800000
	s_wait_alu 0xfffe
	s_delay_alu instid0(SALU_CYCLE_2) | instskip(SKIP_1) | instid1(SALU_CYCLE_2)
	s_trunc_f32 s75, s75
	s_wait_alu 0xfffe
	s_fmamk_f32 s0, s75, 0xcf800000, s0
	s_cvt_u32_f32 s83, s75
	s_wait_alu 0xfffe
	s_delay_alu instid0(SALU_CYCLE_1) | instskip(NEXT) | instid1(SALU_CYCLE_3)
	s_cvt_u32_f32 s82, s0
	s_mul_u64 s[86:87], s[84:85], s[82:83]
	s_delay_alu instid0(SALU_CYCLE_1)
	s_mul_hi_u32 s89, s82, s87
	s_mul_i32 s88, s82, s87
	s_mul_hi_u32 s0, s82, s86
	s_mul_i32 s90, s83, s86
	s_wait_alu 0xfffe
	s_add_nc_u64 s[88:89], s[0:1], s[88:89]
	s_mul_hi_u32 s75, s83, s86
	s_mul_hi_u32 s91, s83, s87
	s_add_co_u32 s0, s88, s90
	s_wait_alu 0xfffe
	s_add_co_ci_u32 s0, s89, s75
	s_mul_i32 s86, s83, s87
	s_add_co_ci_u32 s87, s91, 0
	s_wait_alu 0xfffe
	s_add_nc_u64 s[86:87], s[0:1], s[86:87]
	s_delay_alu instid0(SALU_CYCLE_1) | instskip(SKIP_4) | instid1(SALU_CYCLE_1)
	s_add_co_u32 s82, s82, s86
	s_cselect_b32 s0, -1, 0
	s_wait_alu 0xfffe
	s_cmp_lg_u32 s0, 0
	s_add_co_ci_u32 s83, s83, s87
	s_mul_u64 s[84:85], s[84:85], s[82:83]
	s_delay_alu instid0(SALU_CYCLE_1)
	s_mul_hi_u32 s87, s82, s85
	s_mul_i32 s86, s82, s85
	s_mul_hi_u32 s0, s82, s84
	s_mul_i32 s88, s83, s84
	s_wait_alu 0xfffe
	s_add_nc_u64 s[86:87], s[0:1], s[86:87]
	s_mul_hi_u32 s75, s83, s84
	s_mul_hi_u32 s89, s83, s85
	s_add_co_u32 s0, s86, s88
	s_wait_alu 0xfffe
	s_add_co_ci_u32 s0, s87, s75
	s_mul_i32 s84, s83, s85
	s_add_co_ci_u32 s85, s89, 0
	s_wait_alu 0xfffe
	s_add_nc_u64 s[84:85], s[0:1], s[84:85]
	s_delay_alu instid0(SALU_CYCLE_1)
	s_add_co_u32 s0, s82, s84
	s_cselect_b32 s75, -1, 0
	s_wait_alu 0xfffe
	v_mul_hi_u32 v35, v2, s0
	s_cmp_lg_u32 s75, 0
	v_mad_co_u64_u32 v[31:32], null, v24, s0, 0
	s_add_co_ci_u32 s75, s83, s85
	s_wait_alu 0xfffe
	v_mad_co_u64_u32 v[15:16], null, v2, s75, 0
	v_mad_co_u64_u32 v[33:34], null, v24, s75, 0
	s_delay_alu instid0(VALU_DEP_2) | instskip(SKIP_1) | instid1(VALU_DEP_3)
	v_add_co_u32 v15, vcc_lo, v35, v15
	s_wait_alu 0xfffd
	v_add_co_ci_u32_e64 v16, null, 0, v16, vcc_lo
	s_delay_alu instid0(VALU_DEP_2) | instskip(SKIP_1) | instid1(VALU_DEP_2)
	v_add_co_u32 v15, vcc_lo, v15, v31
	s_wait_alu 0xfffd
	v_add_co_ci_u32_e32 v15, vcc_lo, v16, v32, vcc_lo
	s_wait_alu 0xfffd
	v_add_co_ci_u32_e32 v16, vcc_lo, 0, v34, vcc_lo
	s_delay_alu instid0(VALU_DEP_2) | instskip(SKIP_1) | instid1(VALU_DEP_2)
	v_add_co_u32 v31, vcc_lo, v15, v33
	s_wait_alu 0xfffd
	v_add_co_ci_u32_e64 v32, null, 0, v16, vcc_lo
	s_delay_alu instid0(VALU_DEP_2) | instskip(SKIP_1) | instid1(VALU_DEP_3)
	v_mul_lo_u32 v33, s77, v31
	v_mad_co_u64_u32 v[15:16], null, s76, v31, 0
	v_mul_lo_u32 v34, s76, v32
	s_delay_alu instid0(VALU_DEP_2) | instskip(NEXT) | instid1(VALU_DEP_2)
	v_sub_co_u32 v2, vcc_lo, v2, v15
	v_add3_u32 v16, v16, v34, v33
	s_delay_alu instid0(VALU_DEP_1) | instskip(SKIP_2) | instid1(VALU_DEP_2)
	v_sub_nc_u32_e32 v33, v24, v16
	s_wait_alu 0xfffd
	v_sub_co_ci_u32_e64 v16, null, v24, v16, vcc_lo
	v_subrev_co_ci_u32_e64 v15, null, s77, v33, vcc_lo
	v_add_co_u32 v33, s0, v31, 2
	s_wait_alu 0xf1ff
	v_add_co_ci_u32_e64 v34, null, 0, v32, s0
	v_sub_co_u32 v35, s0, v2, s76
	s_wait_alu 0xf1ff
	v_subrev_co_ci_u32_e64 v15, null, 0, v15, s0
	s_delay_alu instid0(VALU_DEP_2) | instskip(SKIP_2) | instid1(VALU_DEP_3)
	v_cmp_le_u32_e32 vcc_lo, s76, v35
	s_wait_alu 0xfffd
	v_cndmask_b32_e64 v24, 0, -1, vcc_lo
	v_cmp_le_u32_e32 vcc_lo, s77, v15
	s_wait_alu 0xfffd
	v_cndmask_b32_e64 v35, 0, -1, vcc_lo
	;; [unrolled: 3-line block ×4, first 2 shown]
	v_cmp_eq_u32_e32 vcc_lo, s77, v15
	s_wait_alu 0xfffd
	v_cndmask_b32_e32 v15, v35, v24, vcc_lo
	v_add_co_u32 v24, vcc_lo, v31, 1
	s_wait_alu 0xfffd
	v_add_co_ci_u32_e64 v35, null, 0, v32, vcc_lo
	v_cmp_eq_u32_e32 vcc_lo, s77, v16
	v_xor_b32_e32 v16, s74, v21
	s_wait_alu 0xfffd
	v_cndmask_b32_e32 v2, v36, v2, vcc_lo
	v_cmp_ne_u32_e32 vcc_lo, 0, v15
	s_delay_alu instid0(VALU_DEP_2) | instskip(SKIP_3) | instid1(VALU_DEP_1)
	v_cmp_ne_u32_e64 s0, 0, v2
	s_wait_alu 0xfffd
	v_dual_cndmask_b32 v15, v35, v34 :: v_dual_cndmask_b32 v2, v24, v33
	s_wait_alu 0xf1ff
	v_cndmask_b32_e64 v15, v32, v15, s0
	s_delay_alu instid0(VALU_DEP_2) | instskip(NEXT) | instid1(VALU_DEP_2)
	v_cndmask_b32_e64 v2, v31, v2, s0
	v_xor_b32_e32 v24, v15, v16
	s_delay_alu instid0(VALU_DEP_2) | instskip(NEXT) | instid1(VALU_DEP_1)
	v_xor_b32_e32 v2, v2, v16
	v_sub_co_u32 v15, vcc_lo, v2, v16
	s_wait_alu 0xfffd
	s_delay_alu instid0(VALU_DEP_3)
	v_sub_co_ci_u32_e64 v16, null, v24, v16, vcc_lo
.LBB15_17:                              ;   in Loop: Header=BB15_3 Depth=1
	s_and_not1_saveexec_b32 s0, s81
	s_cbranch_execz .LBB15_19
; %bb.18:                               ;   in Loop: Header=BB15_3 Depth=1
	s_sub_co_i32 s74, 0, s34
	s_wait_alu 0xfffe
	v_mul_lo_u32 v2, s74, v27
	s_delay_alu instid0(VALU_DEP_1) | instskip(NEXT) | instid1(VALU_DEP_1)
	v_mul_hi_u32 v2, v27, v2
	v_add_nc_u32_e32 v2, v27, v2
	s_delay_alu instid0(VALU_DEP_1) | instskip(NEXT) | instid1(VALU_DEP_1)
	v_mul_hi_u32 v2, v25, v2
	v_mul_lo_u32 v15, v2, s34
	s_delay_alu instid0(VALU_DEP_1) | instskip(NEXT) | instid1(VALU_DEP_1)
	v_sub_nc_u32_e32 v15, v25, v15
	v_subrev_nc_u32_e32 v24, s34, v15
	v_cmp_le_u32_e32 vcc_lo, s34, v15
	s_wait_alu 0xfffd
	s_delay_alu instid0(VALU_DEP_2) | instskip(NEXT) | instid1(VALU_DEP_1)
	v_dual_cndmask_b32 v15, v15, v24 :: v_dual_add_nc_u32 v16, 1, v2
	v_cndmask_b32_e32 v2, v2, v16, vcc_lo
	s_delay_alu instid0(VALU_DEP_2) | instskip(NEXT) | instid1(VALU_DEP_2)
	v_cmp_le_u32_e32 vcc_lo, s34, v15
	v_add_nc_u32_e32 v16, 1, v2
	s_wait_alu 0xfffd
	s_delay_alu instid0(VALU_DEP_1)
	v_dual_cndmask_b32 v15, v2, v16 :: v_dual_mov_b32 v16, v1
.LBB15_19:                              ;   in Loop: Header=BB15_3 Depth=1
	s_wait_alu 0xfffe
	s_or_b32 exec_lo, exec_lo, s0
	s_delay_alu instid0(VALU_DEP_1) | instskip(NEXT) | instid1(VALU_DEP_2)
	v_mul_lo_u32 v2, v16, s34
	v_mul_lo_u32 v24, v15, s35
	v_mad_co_u64_u32 v[31:32], null, v15, s34, 0
	v_mul_lo_u32 v33, v15, s9
	s_mov_b32 s0, exec_lo
	s_delay_alu instid0(VALU_DEP_2) | instskip(SKIP_1) | instid1(VALU_DEP_4)
	v_add3_u32 v2, v32, v24, v2
	v_mul_lo_u32 v24, v16, s8
	v_sub_co_u32 v16, vcc_lo, v11, v31
	s_wait_alu 0xfffd
	s_delay_alu instid0(VALU_DEP_3) | instskip(NEXT) | instid1(VALU_DEP_2)
	v_sub_co_ci_u32_e64 v2, null, v12, v2, vcc_lo
	v_add_co_u32 v31, vcc_lo, v3, v16
	v_mad_co_u64_u32 v[15:16], null, v15, s8, 0
	s_wait_alu 0xfffd
	s_delay_alu instid0(VALU_DEP_3) | instskip(NEXT) | instid1(VALU_DEP_3)
	v_add_co_ci_u32_e64 v2, null, v4, v2, vcc_lo
	v_mul_lo_u32 v34, v31, s11
	v_mad_co_u64_u32 v[31:32], null, v31, s10, 0
	s_delay_alu instid0(VALU_DEP_3) | instskip(SKIP_1) | instid1(VALU_DEP_1)
	v_mul_lo_u32 v2, v2, s10
	v_add3_u32 v16, v16, v33, v24
	v_lshlrev_b64_e32 v[15:16], 1, v[15:16]
	s_delay_alu instid0(VALU_DEP_3) | instskip(NEXT) | instid1(VALU_DEP_2)
	v_add3_u32 v32, v32, v34, v2
	v_add_co_u32 v2, vcc_lo, s2, v15
	s_delay_alu instid0(VALU_DEP_2) | instskip(SKIP_1) | instid1(VALU_DEP_4)
	v_lshlrev_b64_e32 v[31:32], 1, v[31:32]
	s_wait_alu 0xfffd
	v_add_co_ci_u32_e64 v16, null, s3, v16, vcc_lo
	s_delay_alu instid0(VALU_DEP_2) | instskip(SKIP_1) | instid1(VALU_DEP_2)
	v_add_co_u32 v15, vcc_lo, v2, v31
	s_wait_alu 0xfffd
	v_add_co_ci_u32_e64 v16, null, v16, v32, vcc_lo
	v_add_co_u32 v2, vcc_lo, v13, 3
	s_wait_alu 0xfffd
	v_add_co_ci_u32_e64 v13, null, 0, v14, vcc_lo
	global_load_u16 v31, v[15:16], off
	v_mul_lo_u32 v15, s5, v2
	v_mul_lo_u32 v16, s4, v13
	v_mad_co_u64_u32 v[13:14], null, s4, v2, 0
	s_delay_alu instid0(VALU_DEP_1) | instskip(NEXT) | instid1(VALU_DEP_2)
	v_add3_u32 v14, v14, v16, v15
	v_add_co_u32 v35, vcc_lo, v3, v13
                                        ; implicit-def: $vgpr15_vgpr16
	s_wait_alu 0xfffd
	s_delay_alu instid0(VALU_DEP_2) | instskip(NEXT) | instid1(VALU_DEP_1)
	v_add_co_ci_u32_e64 v36, null, v4, v14, vcc_lo
	v_or_b32_e32 v2, s35, v36
	v_ashrrev_i32_e32 v24, 31, v36
	s_delay_alu instid0(VALU_DEP_2)
	v_cmpx_ne_u64_e32 0, v[1:2]
	s_wait_alu 0xfffe
	s_xor_b32 s81, exec_lo, s0
	s_cbranch_execz .LBB15_21
; %bb.20:                               ;   in Loop: Header=BB15_3 Depth=1
	s_ashr_i32 s74, s35, 31
	v_add_co_u32 v2, vcc_lo, v35, v24
	s_wait_alu 0xfffe
	s_mov_b32 s75, s74
	s_wait_alu 0xfffd
	v_add_co_ci_u32_e64 v15, null, v36, v24, vcc_lo
	s_wait_alu 0xfffe
	s_add_nc_u64 s[76:77], s[34:35], s[74:75]
	v_xor_b32_e32 v2, v2, v24
	s_wait_alu 0xfffe
	s_xor_b64 s[76:77], s[76:77], s[74:75]
	v_xor_b32_e32 v34, v15, v24
	s_wait_alu 0xfffe
	s_cvt_f32_u32 s0, s76
	s_cvt_f32_u32 s75, s77
	s_sub_nc_u64 s[84:85], 0, s[76:77]
	s_wait_alu 0xfffe
	s_delay_alu instid0(SALU_CYCLE_1) | instskip(SKIP_1) | instid1(SALU_CYCLE_2)
	s_fmamk_f32 s0, s75, 0x4f800000, s0
	s_wait_alu 0xfffe
	v_s_rcp_f32 s0, s0
	s_delay_alu instid0(TRANS32_DEP_1) | instskip(SKIP_1) | instid1(SALU_CYCLE_2)
	s_mul_f32 s0, s0, 0x5f7ffffc
	s_wait_alu 0xfffe
	s_mul_f32 s75, s0, 0x2f800000
	s_wait_alu 0xfffe
	s_delay_alu instid0(SALU_CYCLE_2) | instskip(SKIP_1) | instid1(SALU_CYCLE_2)
	s_trunc_f32 s75, s75
	s_wait_alu 0xfffe
	s_fmamk_f32 s0, s75, 0xcf800000, s0
	s_cvt_u32_f32 s83, s75
	s_wait_alu 0xfffe
	s_delay_alu instid0(SALU_CYCLE_1) | instskip(NEXT) | instid1(SALU_CYCLE_3)
	s_cvt_u32_f32 s82, s0
	s_mul_u64 s[86:87], s[84:85], s[82:83]
	s_delay_alu instid0(SALU_CYCLE_1)
	s_mul_hi_u32 s89, s82, s87
	s_mul_i32 s88, s82, s87
	s_mul_hi_u32 s0, s82, s86
	s_mul_i32 s90, s83, s86
	s_wait_alu 0xfffe
	s_add_nc_u64 s[88:89], s[0:1], s[88:89]
	s_mul_hi_u32 s75, s83, s86
	s_mul_hi_u32 s91, s83, s87
	s_add_co_u32 s0, s88, s90
	s_wait_alu 0xfffe
	s_add_co_ci_u32 s0, s89, s75
	s_mul_i32 s86, s83, s87
	s_add_co_ci_u32 s87, s91, 0
	s_wait_alu 0xfffe
	s_add_nc_u64 s[86:87], s[0:1], s[86:87]
	s_delay_alu instid0(SALU_CYCLE_1) | instskip(SKIP_4) | instid1(SALU_CYCLE_1)
	s_add_co_u32 s82, s82, s86
	s_cselect_b32 s0, -1, 0
	s_wait_alu 0xfffe
	s_cmp_lg_u32 s0, 0
	s_add_co_ci_u32 s83, s83, s87
	s_mul_u64 s[84:85], s[84:85], s[82:83]
	s_delay_alu instid0(SALU_CYCLE_1)
	s_mul_hi_u32 s87, s82, s85
	s_mul_i32 s86, s82, s85
	s_mul_hi_u32 s0, s82, s84
	s_mul_i32 s88, s83, s84
	s_wait_alu 0xfffe
	s_add_nc_u64 s[86:87], s[0:1], s[86:87]
	s_mul_hi_u32 s75, s83, s84
	s_mul_hi_u32 s89, s83, s85
	s_add_co_u32 s0, s86, s88
	s_wait_alu 0xfffe
	s_add_co_ci_u32 s0, s87, s75
	s_mul_i32 s84, s83, s85
	s_add_co_ci_u32 s85, s89, 0
	s_wait_alu 0xfffe
	s_add_nc_u64 s[84:85], s[0:1], s[84:85]
	s_delay_alu instid0(SALU_CYCLE_1)
	s_add_co_u32 s0, s82, s84
	s_cselect_b32 s75, -1, 0
	s_wait_alu 0xfffe
	v_mul_hi_u32 v39, v2, s0
	s_cmp_lg_u32 s75, 0
	v_mad_co_u64_u32 v[32:33], null, v34, s0, 0
	s_add_co_ci_u32 s75, s83, s85
	s_wait_alu 0xfffe
	v_mad_co_u64_u32 v[15:16], null, v2, s75, 0
	v_mad_co_u64_u32 v[37:38], null, v34, s75, 0
	s_delay_alu instid0(VALU_DEP_2) | instskip(SKIP_1) | instid1(VALU_DEP_3)
	v_add_co_u32 v15, vcc_lo, v39, v15
	s_wait_alu 0xfffd
	v_add_co_ci_u32_e64 v16, null, 0, v16, vcc_lo
	s_delay_alu instid0(VALU_DEP_2) | instskip(SKIP_1) | instid1(VALU_DEP_2)
	v_add_co_u32 v15, vcc_lo, v15, v32
	s_wait_alu 0xfffd
	v_add_co_ci_u32_e32 v15, vcc_lo, v16, v33, vcc_lo
	s_wait_alu 0xfffd
	v_add_co_ci_u32_e32 v16, vcc_lo, 0, v38, vcc_lo
	s_delay_alu instid0(VALU_DEP_2) | instskip(SKIP_1) | instid1(VALU_DEP_2)
	v_add_co_u32 v32, vcc_lo, v15, v37
	s_wait_alu 0xfffd
	v_add_co_ci_u32_e64 v33, null, 0, v16, vcc_lo
	s_delay_alu instid0(VALU_DEP_2) | instskip(SKIP_1) | instid1(VALU_DEP_3)
	v_mul_lo_u32 v37, s77, v32
	v_mad_co_u64_u32 v[15:16], null, s76, v32, 0
	v_mul_lo_u32 v38, s76, v33
	s_delay_alu instid0(VALU_DEP_2) | instskip(NEXT) | instid1(VALU_DEP_2)
	v_sub_co_u32 v2, vcc_lo, v2, v15
	v_add3_u32 v16, v16, v38, v37
	s_delay_alu instid0(VALU_DEP_1) | instskip(SKIP_2) | instid1(VALU_DEP_2)
	v_sub_nc_u32_e32 v37, v34, v16
	s_wait_alu 0xfffd
	v_sub_co_ci_u32_e64 v16, null, v34, v16, vcc_lo
	v_subrev_co_ci_u32_e64 v15, null, s77, v37, vcc_lo
	v_add_co_u32 v37, s0, v32, 2
	s_wait_alu 0xf1ff
	v_add_co_ci_u32_e64 v38, null, 0, v33, s0
	v_sub_co_u32 v39, s0, v2, s76
	s_wait_alu 0xf1ff
	v_subrev_co_ci_u32_e64 v15, null, 0, v15, s0
	s_delay_alu instid0(VALU_DEP_2) | instskip(SKIP_2) | instid1(VALU_DEP_3)
	v_cmp_le_u32_e32 vcc_lo, s76, v39
	s_wait_alu 0xfffd
	v_cndmask_b32_e64 v34, 0, -1, vcc_lo
	v_cmp_le_u32_e32 vcc_lo, s77, v15
	s_wait_alu 0xfffd
	v_cndmask_b32_e64 v39, 0, -1, vcc_lo
	v_cmp_le_u32_e32 vcc_lo, s76, v2
	s_wait_alu 0xfffd
	v_cndmask_b32_e64 v2, 0, -1, vcc_lo
	v_cmp_le_u32_e32 vcc_lo, s77, v16
	s_wait_alu 0xfffd
	v_cndmask_b32_e64 v40, 0, -1, vcc_lo
	v_cmp_eq_u32_e32 vcc_lo, s77, v15
	s_wait_alu 0xfffd
	v_cndmask_b32_e32 v15, v39, v34, vcc_lo
	v_add_co_u32 v34, vcc_lo, v32, 1
	s_wait_alu 0xfffd
	v_add_co_ci_u32_e64 v39, null, 0, v33, vcc_lo
	v_cmp_eq_u32_e32 vcc_lo, s77, v16
	v_xor_b32_e32 v16, s74, v24
	s_wait_alu 0xfffd
	v_cndmask_b32_e32 v2, v40, v2, vcc_lo
	v_cmp_ne_u32_e32 vcc_lo, 0, v15
	s_delay_alu instid0(VALU_DEP_2) | instskip(SKIP_3) | instid1(VALU_DEP_1)
	v_cmp_ne_u32_e64 s0, 0, v2
	s_wait_alu 0xfffd
	v_dual_cndmask_b32 v2, v34, v37 :: v_dual_cndmask_b32 v15, v39, v38
	s_wait_alu 0xf1ff
	v_cndmask_b32_e64 v2, v32, v2, s0
	s_delay_alu instid0(VALU_DEP_2) | instskip(NEXT) | instid1(VALU_DEP_2)
	v_cndmask_b32_e64 v15, v33, v15, s0
	v_xor_b32_e32 v2, v2, v16
	s_delay_alu instid0(VALU_DEP_2) | instskip(NEXT) | instid1(VALU_DEP_2)
	v_xor_b32_e32 v32, v15, v16
	v_sub_co_u32 v15, vcc_lo, v2, v16
	s_wait_alu 0xfffd
	s_delay_alu instid0(VALU_DEP_2)
	v_sub_co_ci_u32_e64 v16, null, v32, v16, vcc_lo
.LBB15_21:                              ;   in Loop: Header=BB15_3 Depth=1
	s_and_not1_saveexec_b32 s0, s81
	s_cbranch_execz .LBB15_23
; %bb.22:                               ;   in Loop: Header=BB15_3 Depth=1
	s_sub_co_i32 s74, 0, s34
	s_wait_alu 0xfffe
	v_mul_lo_u32 v2, s74, v27
	s_delay_alu instid0(VALU_DEP_1) | instskip(NEXT) | instid1(VALU_DEP_1)
	v_mul_hi_u32 v2, v27, v2
	v_add_nc_u32_e32 v2, v27, v2
	s_delay_alu instid0(VALU_DEP_1) | instskip(NEXT) | instid1(VALU_DEP_1)
	v_mul_hi_u32 v2, v35, v2
	v_mul_lo_u32 v15, v2, s34
	s_delay_alu instid0(VALU_DEP_1) | instskip(NEXT) | instid1(VALU_DEP_1)
	v_sub_nc_u32_e32 v15, v35, v15
	v_subrev_nc_u32_e32 v32, s34, v15
	v_cmp_le_u32_e32 vcc_lo, s34, v15
	s_wait_alu 0xfffd
	s_delay_alu instid0(VALU_DEP_2) | instskip(NEXT) | instid1(VALU_DEP_1)
	v_dual_cndmask_b32 v15, v15, v32 :: v_dual_add_nc_u32 v16, 1, v2
	v_cndmask_b32_e32 v2, v2, v16, vcc_lo
	s_delay_alu instid0(VALU_DEP_2) | instskip(NEXT) | instid1(VALU_DEP_2)
	v_cmp_le_u32_e32 vcc_lo, s34, v15
	v_add_nc_u32_e32 v16, 1, v2
	s_wait_alu 0xfffd
	s_delay_alu instid0(VALU_DEP_1)
	v_dual_cndmask_b32 v15, v2, v16 :: v_dual_mov_b32 v16, v1
.LBB15_23:                              ;   in Loop: Header=BB15_3 Depth=1
	s_wait_alu 0xfffe
	s_or_b32 exec_lo, exec_lo, s0
	s_delay_alu instid0(VALU_DEP_1) | instskip(NEXT) | instid1(VALU_DEP_2)
	v_mul_lo_u32 v2, v16, s34
	v_mul_lo_u32 v34, v15, s35
	v_mad_co_u64_u32 v[32:33], null, v15, s34, 0
	v_mul_lo_u32 v37, v15, s9
	s_mov_b32 s0, exec_lo
	s_delay_alu instid0(VALU_DEP_2) | instskip(SKIP_1) | instid1(VALU_DEP_4)
	v_add3_u32 v2, v33, v34, v2
	v_mul_lo_u32 v34, v16, s8
	v_sub_co_u32 v16, vcc_lo, v13, v32
	s_wait_alu 0xfffd
	s_delay_alu instid0(VALU_DEP_3) | instskip(NEXT) | instid1(VALU_DEP_2)
	v_sub_co_ci_u32_e64 v2, null, v14, v2, vcc_lo
	v_add_co_u32 v32, vcc_lo, v3, v16
	v_mad_co_u64_u32 v[15:16], null, v15, s8, 0
	s_wait_alu 0xfffd
	s_delay_alu instid0(VALU_DEP_3) | instskip(NEXT) | instid1(VALU_DEP_3)
	v_add_co_ci_u32_e64 v2, null, v4, v2, vcc_lo
	v_mul_lo_u32 v38, v32, s11
	v_mad_co_u64_u32 v[32:33], null, v32, s10, 0
	s_delay_alu instid0(VALU_DEP_3) | instskip(SKIP_1) | instid1(VALU_DEP_1)
	v_mul_lo_u32 v2, v2, s10
	v_add3_u32 v16, v16, v37, v34
	v_lshlrev_b64_e32 v[15:16], 1, v[15:16]
	s_delay_alu instid0(VALU_DEP_3) | instskip(NEXT) | instid1(VALU_DEP_2)
	v_add3_u32 v33, v33, v38, v2
	v_add_co_u32 v2, vcc_lo, s2, v15
	s_delay_alu instid0(VALU_DEP_2) | instskip(SKIP_1) | instid1(VALU_DEP_4)
	v_lshlrev_b64_e32 v[32:33], 1, v[32:33]
	s_wait_alu 0xfffd
	v_add_co_ci_u32_e64 v16, null, s3, v16, vcc_lo
	s_delay_alu instid0(VALU_DEP_2) | instskip(SKIP_1) | instid1(VALU_DEP_2)
	v_add_co_u32 v15, vcc_lo, v2, v32
	s_wait_alu 0xfffd
	v_add_co_ci_u32_e64 v16, null, v16, v33, vcc_lo
	v_or_b32_e32 v2, s39, v20
	global_load_u16 v32, v[15:16], off
                                        ; implicit-def: $vgpr15_vgpr16
	v_cmpx_ne_u64_e32 0, v[1:2]
	s_wait_alu 0xfffe
	s_xor_b32 s81, exec_lo, s0
	s_cbranch_execz .LBB15_25
; %bb.24:                               ;   in Loop: Header=BB15_3 Depth=1
	s_ashr_i32 s74, s39, 31
	v_add_co_u32 v2, vcc_lo, v18, v17
	s_wait_alu 0xfffe
	s_mov_b32 s75, s74
	s_wait_alu 0xfffd
	v_add_co_ci_u32_e64 v15, null, v20, v17, vcc_lo
	s_wait_alu 0xfffe
	s_add_nc_u64 s[76:77], s[38:39], s[74:75]
	v_xor_b32_e32 v2, v2, v17
	s_wait_alu 0xfffe
	s_xor_b64 s[76:77], s[76:77], s[74:75]
	v_xor_b32_e32 v39, v15, v17
	s_wait_alu 0xfffe
	s_cvt_f32_u32 s0, s76
	s_cvt_f32_u32 s75, s77
	s_sub_nc_u64 s[84:85], 0, s[76:77]
	s_wait_alu 0xfffe
	s_delay_alu instid0(SALU_CYCLE_1) | instskip(SKIP_1) | instid1(SALU_CYCLE_2)
	s_fmamk_f32 s0, s75, 0x4f800000, s0
	s_wait_alu 0xfffe
	v_s_rcp_f32 s0, s0
	s_delay_alu instid0(TRANS32_DEP_1) | instskip(SKIP_1) | instid1(SALU_CYCLE_2)
	s_mul_f32 s0, s0, 0x5f7ffffc
	s_wait_alu 0xfffe
	s_mul_f32 s75, s0, 0x2f800000
	s_wait_alu 0xfffe
	s_delay_alu instid0(SALU_CYCLE_2) | instskip(SKIP_1) | instid1(SALU_CYCLE_2)
	s_trunc_f32 s75, s75
	s_wait_alu 0xfffe
	s_fmamk_f32 s0, s75, 0xcf800000, s0
	s_cvt_u32_f32 s83, s75
	s_wait_alu 0xfffe
	s_delay_alu instid0(SALU_CYCLE_1) | instskip(NEXT) | instid1(SALU_CYCLE_3)
	s_cvt_u32_f32 s82, s0
	s_mul_u64 s[86:87], s[84:85], s[82:83]
	s_delay_alu instid0(SALU_CYCLE_1)
	s_mul_hi_u32 s89, s82, s87
	s_mul_i32 s88, s82, s87
	s_mul_hi_u32 s0, s82, s86
	s_mul_i32 s90, s83, s86
	s_wait_alu 0xfffe
	s_add_nc_u64 s[88:89], s[0:1], s[88:89]
	s_mul_hi_u32 s75, s83, s86
	s_mul_hi_u32 s91, s83, s87
	s_add_co_u32 s0, s88, s90
	s_wait_alu 0xfffe
	s_add_co_ci_u32 s0, s89, s75
	s_mul_i32 s86, s83, s87
	s_add_co_ci_u32 s87, s91, 0
	s_wait_alu 0xfffe
	s_add_nc_u64 s[86:87], s[0:1], s[86:87]
	s_delay_alu instid0(SALU_CYCLE_1) | instskip(SKIP_4) | instid1(SALU_CYCLE_1)
	s_add_co_u32 s82, s82, s86
	s_cselect_b32 s0, -1, 0
	s_wait_alu 0xfffe
	s_cmp_lg_u32 s0, 0
	s_add_co_ci_u32 s83, s83, s87
	s_mul_u64 s[84:85], s[84:85], s[82:83]
	s_delay_alu instid0(SALU_CYCLE_1)
	s_mul_hi_u32 s87, s82, s85
	s_mul_i32 s86, s82, s85
	s_mul_hi_u32 s0, s82, s84
	s_mul_i32 s88, s83, s84
	s_wait_alu 0xfffe
	s_add_nc_u64 s[86:87], s[0:1], s[86:87]
	s_mul_hi_u32 s75, s83, s84
	s_mul_hi_u32 s89, s83, s85
	s_add_co_u32 s0, s86, s88
	s_wait_alu 0xfffe
	s_add_co_ci_u32 s0, s87, s75
	s_mul_i32 s84, s83, s85
	s_add_co_ci_u32 s85, s89, 0
	s_wait_alu 0xfffe
	s_add_nc_u64 s[84:85], s[0:1], s[84:85]
	s_delay_alu instid0(SALU_CYCLE_1)
	s_add_co_u32 s0, s82, s84
	s_cselect_b32 s75, -1, 0
	s_wait_alu 0xfffe
	v_mul_hi_u32 v40, v2, s0
	s_cmp_lg_u32 s75, 0
	v_mad_co_u64_u32 v[33:34], null, v39, s0, 0
	s_add_co_ci_u32 s75, s83, s85
	s_wait_alu 0xfffe
	v_mad_co_u64_u32 v[15:16], null, v2, s75, 0
	v_mad_co_u64_u32 v[37:38], null, v39, s75, 0
	s_delay_alu instid0(VALU_DEP_2) | instskip(SKIP_1) | instid1(VALU_DEP_3)
	v_add_co_u32 v15, vcc_lo, v40, v15
	s_wait_alu 0xfffd
	v_add_co_ci_u32_e64 v16, null, 0, v16, vcc_lo
	s_delay_alu instid0(VALU_DEP_2) | instskip(SKIP_1) | instid1(VALU_DEP_2)
	v_add_co_u32 v15, vcc_lo, v15, v33
	s_wait_alu 0xfffd
	v_add_co_ci_u32_e32 v15, vcc_lo, v16, v34, vcc_lo
	s_wait_alu 0xfffd
	v_add_co_ci_u32_e32 v16, vcc_lo, 0, v38, vcc_lo
	s_delay_alu instid0(VALU_DEP_2) | instskip(SKIP_1) | instid1(VALU_DEP_2)
	v_add_co_u32 v33, vcc_lo, v15, v37
	s_wait_alu 0xfffd
	v_add_co_ci_u32_e64 v34, null, 0, v16, vcc_lo
	s_delay_alu instid0(VALU_DEP_2) | instskip(SKIP_1) | instid1(VALU_DEP_3)
	v_mul_lo_u32 v37, s77, v33
	v_mad_co_u64_u32 v[15:16], null, s76, v33, 0
	v_mul_lo_u32 v38, s76, v34
	s_delay_alu instid0(VALU_DEP_2) | instskip(NEXT) | instid1(VALU_DEP_2)
	v_sub_co_u32 v2, vcc_lo, v2, v15
	v_add3_u32 v16, v16, v38, v37
	s_delay_alu instid0(VALU_DEP_1) | instskip(SKIP_2) | instid1(VALU_DEP_2)
	v_sub_nc_u32_e32 v37, v39, v16
	s_wait_alu 0xfffd
	v_sub_co_ci_u32_e64 v16, null, v39, v16, vcc_lo
	v_subrev_co_ci_u32_e64 v15, null, s77, v37, vcc_lo
	v_add_co_u32 v37, s0, v33, 2
	s_wait_alu 0xf1ff
	v_add_co_ci_u32_e64 v38, null, 0, v34, s0
	v_sub_co_u32 v40, s0, v2, s76
	s_wait_alu 0xf1ff
	v_subrev_co_ci_u32_e64 v15, null, 0, v15, s0
	s_delay_alu instid0(VALU_DEP_2) | instskip(SKIP_2) | instid1(VALU_DEP_3)
	v_cmp_le_u32_e32 vcc_lo, s76, v40
	s_wait_alu 0xfffd
	v_cndmask_b32_e64 v39, 0, -1, vcc_lo
	v_cmp_le_u32_e32 vcc_lo, s77, v15
	s_wait_alu 0xfffd
	v_cndmask_b32_e64 v40, 0, -1, vcc_lo
	;; [unrolled: 3-line block ×4, first 2 shown]
	v_cmp_eq_u32_e32 vcc_lo, s77, v15
	s_wait_alu 0xfffd
	v_cndmask_b32_e32 v15, v40, v39, vcc_lo
	v_add_co_u32 v39, vcc_lo, v33, 1
	s_wait_alu 0xfffd
	v_add_co_ci_u32_e64 v40, null, 0, v34, vcc_lo
	v_cmp_eq_u32_e32 vcc_lo, s77, v16
	v_xor_b32_e32 v16, s74, v17
	s_wait_alu 0xfffd
	v_cndmask_b32_e32 v2, v41, v2, vcc_lo
	v_cmp_ne_u32_e32 vcc_lo, 0, v15
	s_delay_alu instid0(VALU_DEP_2) | instskip(SKIP_3) | instid1(VALU_DEP_1)
	v_cmp_ne_u32_e64 s0, 0, v2
	s_wait_alu 0xfffd
	v_dual_cndmask_b32 v15, v40, v38 :: v_dual_cndmask_b32 v2, v39, v37
	s_wait_alu 0xf1ff
	v_cndmask_b32_e64 v15, v34, v15, s0
	s_delay_alu instid0(VALU_DEP_2) | instskip(NEXT) | instid1(VALU_DEP_2)
	v_cndmask_b32_e64 v2, v33, v2, s0
	v_xor_b32_e32 v33, v15, v16
	s_delay_alu instid0(VALU_DEP_2) | instskip(NEXT) | instid1(VALU_DEP_1)
	v_xor_b32_e32 v2, v2, v16
	v_sub_co_u32 v15, vcc_lo, v2, v16
	s_wait_alu 0xfffd
	s_delay_alu instid0(VALU_DEP_3)
	v_sub_co_ci_u32_e64 v16, null, v33, v16, vcc_lo
.LBB15_25:                              ;   in Loop: Header=BB15_3 Depth=1
	s_or_saveexec_b32 s0, s81
	v_cvt_f32_u32_e32 v38, s38
	s_wait_alu 0xfffe
	s_xor_b32 exec_lo, exec_lo, s0
	s_cbranch_execz .LBB15_27
; %bb.26:                               ;   in Loop: Header=BB15_3 Depth=1
	s_delay_alu instid0(VALU_DEP_1) | instskip(SKIP_1) | instid1(TRANS32_DEP_1)
	v_rcp_iflag_f32_e32 v2, v38
	s_sub_co_i32 s74, 0, s38
	v_mul_f32_e32 v2, 0x4f7ffffe, v2
	s_delay_alu instid0(VALU_DEP_1) | instskip(SKIP_1) | instid1(VALU_DEP_1)
	v_cvt_u32_f32_e32 v2, v2
	s_wait_alu 0xfffe
	v_mul_lo_u32 v15, s74, v2
	s_delay_alu instid0(VALU_DEP_1) | instskip(NEXT) | instid1(VALU_DEP_1)
	v_mul_hi_u32 v15, v2, v15
	v_add_nc_u32_e32 v2, v2, v15
	s_delay_alu instid0(VALU_DEP_1) | instskip(NEXT) | instid1(VALU_DEP_1)
	v_mul_hi_u32 v2, v18, v2
	v_mul_lo_u32 v15, v2, s38
	v_add_nc_u32_e32 v16, 1, v2
	s_delay_alu instid0(VALU_DEP_2) | instskip(NEXT) | instid1(VALU_DEP_1)
	v_sub_nc_u32_e32 v15, v18, v15
	v_subrev_nc_u32_e32 v33, s38, v15
	v_cmp_le_u32_e32 vcc_lo, s38, v15
	s_wait_alu 0xfffd
	s_delay_alu instid0(VALU_DEP_2) | instskip(NEXT) | instid1(VALU_DEP_1)
	v_dual_cndmask_b32 v15, v15, v33 :: v_dual_cndmask_b32 v2, v2, v16
	v_cmp_le_u32_e32 vcc_lo, s38, v15
	s_delay_alu instid0(VALU_DEP_2) | instskip(SKIP_1) | instid1(VALU_DEP_1)
	v_add_nc_u32_e32 v16, 1, v2
	s_wait_alu 0xfffd
	v_dual_cndmask_b32 v15, v2, v16 :: v_dual_mov_b32 v16, v1
.LBB15_27:                              ;   in Loop: Header=BB15_3 Depth=1
	s_or_b32 exec_lo, exec_lo, s0
	s_delay_alu instid0(VALU_DEP_1) | instskip(NEXT) | instid1(VALU_DEP_2)
	v_mul_lo_u32 v2, v16, s38
	v_mul_lo_u32 v37, v15, s39
	v_mad_co_u64_u32 v[33:34], null, v15, s38, 0
	v_mul_lo_u32 v39, v15, s13
	s_mov_b32 s0, exec_lo
	s_delay_alu instid0(VALU_DEP_2) | instskip(SKIP_1) | instid1(VALU_DEP_4)
	v_add3_u32 v2, v34, v37, v2
	v_mul_lo_u32 v37, v16, s12
	v_sub_co_u32 v16, vcc_lo, v5, v33
	s_wait_alu 0xfffd
	s_delay_alu instid0(VALU_DEP_3) | instskip(NEXT) | instid1(VALU_DEP_2)
	v_sub_co_ci_u32_e64 v2, null, v6, v2, vcc_lo
	v_add_co_u32 v33, vcc_lo, v3, v16
	v_mad_co_u64_u32 v[15:16], null, v15, s12, 0
	s_wait_alu 0xfffd
	s_delay_alu instid0(VALU_DEP_3) | instskip(NEXT) | instid1(VALU_DEP_3)
	v_add_co_ci_u32_e64 v2, null, v4, v2, vcc_lo
	v_mul_lo_u32 v40, v33, s15
	v_mad_co_u64_u32 v[33:34], null, v33, s14, 0
	s_delay_alu instid0(VALU_DEP_3) | instskip(SKIP_1) | instid1(VALU_DEP_1)
	v_mul_lo_u32 v2, v2, s14
	v_add3_u32 v16, v16, v39, v37
	v_lshlrev_b64_e32 v[15:16], 1, v[15:16]
	s_delay_alu instid0(VALU_DEP_3) | instskip(NEXT) | instid1(VALU_DEP_2)
	v_add3_u32 v34, v34, v40, v2
	v_add_co_u32 v2, vcc_lo, s36, v15
	s_delay_alu instid0(VALU_DEP_2) | instskip(SKIP_1) | instid1(VALU_DEP_4)
	v_lshlrev_b64_e32 v[33:34], 1, v[33:34]
	s_wait_alu 0xfffd
	v_add_co_ci_u32_e64 v16, null, s37, v16, vcc_lo
	s_delay_alu instid0(VALU_DEP_2) | instskip(SKIP_1) | instid1(VALU_DEP_2)
	v_add_co_u32 v15, vcc_lo, v2, v33
	s_wait_alu 0xfffd
	v_add_co_ci_u32_e64 v16, null, v16, v34, vcc_lo
	v_or_b32_e32 v2, s39, v23
	global_load_u16 v33, v[15:16], off
                                        ; implicit-def: $vgpr15_vgpr16
	v_cmpx_ne_u64_e32 0, v[1:2]
	s_wait_alu 0xfffe
	s_xor_b32 s81, exec_lo, s0
	s_cbranch_execz .LBB15_29
; %bb.28:                               ;   in Loop: Header=BB15_3 Depth=1
	s_ashr_i32 s74, s39, 31
	v_add_co_u32 v2, vcc_lo, v22, v19
	s_wait_alu 0xfffe
	s_mov_b32 s75, s74
	s_wait_alu 0xfffd
	v_add_co_ci_u32_e64 v15, null, v23, v19, vcc_lo
	s_wait_alu 0xfffe
	s_add_nc_u64 s[76:77], s[38:39], s[74:75]
	v_xor_b32_e32 v2, v2, v19
	s_wait_alu 0xfffe
	s_xor_b64 s[76:77], s[76:77], s[74:75]
	v_xor_b32_e32 v34, v15, v19
	s_wait_alu 0xfffe
	s_cvt_f32_u32 s0, s76
	s_cvt_f32_u32 s75, s77
	s_sub_nc_u64 s[84:85], 0, s[76:77]
	s_wait_alu 0xfffe
	s_delay_alu instid0(SALU_CYCLE_1) | instskip(SKIP_1) | instid1(SALU_CYCLE_2)
	s_fmamk_f32 s0, s75, 0x4f800000, s0
	s_wait_alu 0xfffe
	v_s_rcp_f32 s0, s0
	s_delay_alu instid0(TRANS32_DEP_1) | instskip(SKIP_1) | instid1(SALU_CYCLE_2)
	s_mul_f32 s0, s0, 0x5f7ffffc
	s_wait_alu 0xfffe
	s_mul_f32 s75, s0, 0x2f800000
	s_wait_alu 0xfffe
	s_delay_alu instid0(SALU_CYCLE_2) | instskip(SKIP_1) | instid1(SALU_CYCLE_2)
	s_trunc_f32 s75, s75
	s_wait_alu 0xfffe
	s_fmamk_f32 s0, s75, 0xcf800000, s0
	s_cvt_u32_f32 s83, s75
	s_wait_alu 0xfffe
	s_delay_alu instid0(SALU_CYCLE_1) | instskip(NEXT) | instid1(SALU_CYCLE_3)
	s_cvt_u32_f32 s82, s0
	s_mul_u64 s[86:87], s[84:85], s[82:83]
	s_delay_alu instid0(SALU_CYCLE_1)
	s_mul_hi_u32 s89, s82, s87
	s_mul_i32 s88, s82, s87
	s_mul_hi_u32 s0, s82, s86
	s_mul_i32 s90, s83, s86
	s_wait_alu 0xfffe
	s_add_nc_u64 s[88:89], s[0:1], s[88:89]
	s_mul_hi_u32 s75, s83, s86
	s_mul_hi_u32 s91, s83, s87
	s_add_co_u32 s0, s88, s90
	s_wait_alu 0xfffe
	s_add_co_ci_u32 s0, s89, s75
	s_mul_i32 s86, s83, s87
	s_add_co_ci_u32 s87, s91, 0
	s_wait_alu 0xfffe
	s_add_nc_u64 s[86:87], s[0:1], s[86:87]
	s_delay_alu instid0(SALU_CYCLE_1) | instskip(SKIP_4) | instid1(SALU_CYCLE_1)
	s_add_co_u32 s82, s82, s86
	s_cselect_b32 s0, -1, 0
	s_wait_alu 0xfffe
	s_cmp_lg_u32 s0, 0
	s_add_co_ci_u32 s83, s83, s87
	s_mul_u64 s[84:85], s[84:85], s[82:83]
	s_delay_alu instid0(SALU_CYCLE_1)
	s_mul_hi_u32 s87, s82, s85
	s_mul_i32 s86, s82, s85
	s_mul_hi_u32 s0, s82, s84
	s_mul_i32 s88, s83, s84
	s_wait_alu 0xfffe
	s_add_nc_u64 s[86:87], s[0:1], s[86:87]
	s_mul_hi_u32 s75, s83, s84
	s_mul_hi_u32 s89, s83, s85
	s_add_co_u32 s0, s86, s88
	s_wait_alu 0xfffe
	s_add_co_ci_u32 s0, s87, s75
	s_mul_i32 s84, s83, s85
	s_add_co_ci_u32 s85, s89, 0
	s_wait_alu 0xfffe
	s_add_nc_u64 s[84:85], s[0:1], s[84:85]
	s_delay_alu instid0(SALU_CYCLE_1)
	s_add_co_u32 s0, s82, s84
	s_cselect_b32 s75, -1, 0
	s_wait_alu 0xfffe
	v_mul_hi_u32 v37, v2, s0
	s_cmp_lg_u32 s75, 0
	v_mad_co_u64_u32 v[39:40], null, v34, s0, 0
	s_add_co_ci_u32 s75, s83, s85
	s_wait_alu 0xfffe
	v_mad_co_u64_u32 v[15:16], null, v2, s75, 0
	v_mad_co_u64_u32 v[41:42], null, v34, s75, 0
	s_delay_alu instid0(VALU_DEP_2) | instskip(SKIP_1) | instid1(VALU_DEP_3)
	v_add_co_u32 v15, vcc_lo, v37, v15
	s_wait_alu 0xfffd
	v_add_co_ci_u32_e64 v16, null, 0, v16, vcc_lo
	s_delay_alu instid0(VALU_DEP_2) | instskip(SKIP_1) | instid1(VALU_DEP_2)
	v_add_co_u32 v15, vcc_lo, v15, v39
	s_wait_alu 0xfffd
	v_add_co_ci_u32_e32 v15, vcc_lo, v16, v40, vcc_lo
	s_wait_alu 0xfffd
	v_add_co_ci_u32_e32 v16, vcc_lo, 0, v42, vcc_lo
	s_delay_alu instid0(VALU_DEP_2) | instskip(SKIP_1) | instid1(VALU_DEP_2)
	v_add_co_u32 v37, vcc_lo, v15, v41
	s_wait_alu 0xfffd
	v_add_co_ci_u32_e64 v39, null, 0, v16, vcc_lo
	s_delay_alu instid0(VALU_DEP_2) | instskip(SKIP_1) | instid1(VALU_DEP_3)
	v_mul_lo_u32 v40, s77, v37
	v_mad_co_u64_u32 v[15:16], null, s76, v37, 0
	v_mul_lo_u32 v41, s76, v39
	s_delay_alu instid0(VALU_DEP_2) | instskip(NEXT) | instid1(VALU_DEP_2)
	v_sub_co_u32 v2, vcc_lo, v2, v15
	v_add3_u32 v16, v16, v41, v40
	s_delay_alu instid0(VALU_DEP_1) | instskip(SKIP_2) | instid1(VALU_DEP_2)
	v_sub_nc_u32_e32 v40, v34, v16
	s_wait_alu 0xfffd
	v_sub_co_ci_u32_e64 v16, null, v34, v16, vcc_lo
	v_subrev_co_ci_u32_e64 v15, null, s77, v40, vcc_lo
	v_add_co_u32 v40, s0, v37, 2
	s_wait_alu 0xf1ff
	v_add_co_ci_u32_e64 v41, null, 0, v39, s0
	v_sub_co_u32 v42, s0, v2, s76
	s_wait_alu 0xf1ff
	v_subrev_co_ci_u32_e64 v15, null, 0, v15, s0
	s_delay_alu instid0(VALU_DEP_2) | instskip(SKIP_2) | instid1(VALU_DEP_3)
	v_cmp_le_u32_e32 vcc_lo, s76, v42
	s_wait_alu 0xfffd
	v_cndmask_b32_e64 v34, 0, -1, vcc_lo
	v_cmp_le_u32_e32 vcc_lo, s77, v15
	s_wait_alu 0xfffd
	v_cndmask_b32_e64 v42, 0, -1, vcc_lo
	;; [unrolled: 3-line block ×4, first 2 shown]
	v_cmp_eq_u32_e32 vcc_lo, s77, v15
	s_wait_alu 0xfffd
	v_cndmask_b32_e32 v15, v42, v34, vcc_lo
	v_add_co_u32 v34, vcc_lo, v37, 1
	s_wait_alu 0xfffd
	v_add_co_ci_u32_e64 v42, null, 0, v39, vcc_lo
	v_cmp_eq_u32_e32 vcc_lo, s77, v16
	v_xor_b32_e32 v16, s74, v19
	s_wait_alu 0xfffd
	v_cndmask_b32_e32 v2, v43, v2, vcc_lo
	v_cmp_ne_u32_e32 vcc_lo, 0, v15
	s_wait_alu 0xfffd
	v_cndmask_b32_e32 v15, v42, v41, vcc_lo
	s_delay_alu instid0(VALU_DEP_3) | instskip(SKIP_2) | instid1(VALU_DEP_2)
	v_cmp_ne_u32_e64 s0, 0, v2
	v_cndmask_b32_e32 v2, v34, v40, vcc_lo
	s_wait_alu 0xf1ff
	v_cndmask_b32_e64 v15, v39, v15, s0
	s_delay_alu instid0(VALU_DEP_2) | instskip(NEXT) | instid1(VALU_DEP_2)
	v_cndmask_b32_e64 v2, v37, v2, s0
	v_xor_b32_e32 v34, v15, v16
	s_delay_alu instid0(VALU_DEP_2) | instskip(NEXT) | instid1(VALU_DEP_1)
	v_xor_b32_e32 v2, v2, v16
	v_sub_co_u32 v15, vcc_lo, v2, v16
	s_wait_alu 0xfffd
	s_delay_alu instid0(VALU_DEP_3)
	v_sub_co_ci_u32_e64 v16, null, v34, v16, vcc_lo
.LBB15_29:                              ;   in Loop: Header=BB15_3 Depth=1
	s_and_not1_saveexec_b32 s0, s81
	s_cbranch_execz .LBB15_31
; %bb.30:                               ;   in Loop: Header=BB15_3 Depth=1
	v_rcp_iflag_f32_e32 v2, v38
	s_sub_co_i32 s74, 0, s38
	s_delay_alu instid0(TRANS32_DEP_1) | instskip(NEXT) | instid1(VALU_DEP_1)
	v_mul_f32_e32 v2, 0x4f7ffffe, v2
	v_cvt_u32_f32_e32 v2, v2
	s_wait_alu 0xfffe
	s_delay_alu instid0(VALU_DEP_1) | instskip(NEXT) | instid1(VALU_DEP_1)
	v_mul_lo_u32 v15, s74, v2
	v_mul_hi_u32 v15, v2, v15
	s_delay_alu instid0(VALU_DEP_1) | instskip(NEXT) | instid1(VALU_DEP_1)
	v_add_nc_u32_e32 v2, v2, v15
	v_mul_hi_u32 v2, v22, v2
	s_delay_alu instid0(VALU_DEP_1) | instskip(SKIP_1) | instid1(VALU_DEP_2)
	v_mul_lo_u32 v15, v2, s38
	v_add_nc_u32_e32 v16, 1, v2
	v_sub_nc_u32_e32 v15, v22, v15
	s_delay_alu instid0(VALU_DEP_1) | instskip(SKIP_2) | instid1(VALU_DEP_2)
	v_subrev_nc_u32_e32 v34, s38, v15
	v_cmp_le_u32_e32 vcc_lo, s38, v15
	s_wait_alu 0xfffd
	v_dual_cndmask_b32 v15, v15, v34 :: v_dual_cndmask_b32 v2, v2, v16
	s_delay_alu instid0(VALU_DEP_1) | instskip(NEXT) | instid1(VALU_DEP_2)
	v_cmp_le_u32_e32 vcc_lo, s38, v15
	v_add_nc_u32_e32 v16, 1, v2
	s_wait_alu 0xfffd
	s_delay_alu instid0(VALU_DEP_1)
	v_dual_cndmask_b32 v15, v2, v16 :: v_dual_mov_b32 v16, v1
.LBB15_31:                              ;   in Loop: Header=BB15_3 Depth=1
	s_wait_alu 0xfffe
	s_or_b32 exec_lo, exec_lo, s0
	s_delay_alu instid0(VALU_DEP_1) | instskip(NEXT) | instid1(VALU_DEP_2)
	v_mul_lo_u32 v2, v16, s38
	v_mul_lo_u32 v34, v15, s39
	v_mad_co_u64_u32 v[39:40], null, v15, s38, 0
	v_mul_lo_u32 v37, v15, s13
	s_mov_b32 s0, exec_lo
	s_delay_alu instid0(VALU_DEP_2) | instskip(SKIP_1) | instid1(VALU_DEP_4)
	v_add3_u32 v2, v40, v34, v2
	v_mul_lo_u32 v34, v16, s12
	v_sub_co_u32 v16, vcc_lo, v7, v39
	s_wait_alu 0xfffd
	s_delay_alu instid0(VALU_DEP_3) | instskip(NEXT) | instid1(VALU_DEP_2)
	v_sub_co_ci_u32_e64 v2, null, v8, v2, vcc_lo
	v_add_co_u32 v39, vcc_lo, v3, v16
	v_mad_co_u64_u32 v[15:16], null, v15, s12, 0
	s_wait_alu 0xfffd
	s_delay_alu instid0(VALU_DEP_3) | instskip(NEXT) | instid1(VALU_DEP_3)
	v_add_co_ci_u32_e64 v2, null, v4, v2, vcc_lo
	v_mul_lo_u32 v41, v39, s15
	v_mad_co_u64_u32 v[39:40], null, v39, s14, 0
	s_delay_alu instid0(VALU_DEP_3) | instskip(SKIP_1) | instid1(VALU_DEP_1)
	v_mul_lo_u32 v2, v2, s14
	v_add3_u32 v16, v16, v37, v34
	v_lshlrev_b64_e32 v[15:16], 1, v[15:16]
	s_delay_alu instid0(VALU_DEP_3) | instskip(NEXT) | instid1(VALU_DEP_2)
	v_add3_u32 v40, v40, v41, v2
	v_add_co_u32 v2, vcc_lo, s36, v15
	s_delay_alu instid0(VALU_DEP_2) | instskip(SKIP_1) | instid1(VALU_DEP_4)
	v_lshlrev_b64_e32 v[39:40], 1, v[39:40]
	s_wait_alu 0xfffd
	v_add_co_ci_u32_e64 v16, null, s37, v16, vcc_lo
	s_delay_alu instid0(VALU_DEP_2) | instskip(SKIP_1) | instid1(VALU_DEP_2)
	v_add_co_u32 v15, vcc_lo, v2, v39
	s_wait_alu 0xfffd
	v_add_co_ci_u32_e64 v16, null, v16, v40, vcc_lo
	v_or_b32_e32 v2, s39, v26
	global_load_u16 v34, v[15:16], off
                                        ; implicit-def: $vgpr15_vgpr16
	v_cmpx_ne_u64_e32 0, v[1:2]
	s_wait_alu 0xfffe
	s_xor_b32 s81, exec_lo, s0
	s_cbranch_execz .LBB15_33
; %bb.32:                               ;   in Loop: Header=BB15_3 Depth=1
	s_ashr_i32 s74, s39, 31
	v_add_co_u32 v2, vcc_lo, v25, v21
	s_wait_alu 0xfffe
	s_mov_b32 s75, s74
	s_wait_alu 0xfffd
	v_add_co_ci_u32_e64 v15, null, v26, v21, vcc_lo
	s_wait_alu 0xfffe
	s_add_nc_u64 s[76:77], s[38:39], s[74:75]
	v_xor_b32_e32 v2, v2, v21
	s_wait_alu 0xfffe
	s_xor_b64 s[76:77], s[76:77], s[74:75]
	v_xor_b32_e32 v37, v15, v21
	s_wait_alu 0xfffe
	s_cvt_f32_u32 s0, s76
	s_cvt_f32_u32 s75, s77
	s_sub_nc_u64 s[84:85], 0, s[76:77]
	s_wait_alu 0xfffe
	s_delay_alu instid0(SALU_CYCLE_1) | instskip(SKIP_1) | instid1(SALU_CYCLE_2)
	s_fmamk_f32 s0, s75, 0x4f800000, s0
	s_wait_alu 0xfffe
	v_s_rcp_f32 s0, s0
	s_delay_alu instid0(TRANS32_DEP_1) | instskip(SKIP_1) | instid1(SALU_CYCLE_2)
	s_mul_f32 s0, s0, 0x5f7ffffc
	s_wait_alu 0xfffe
	s_mul_f32 s75, s0, 0x2f800000
	s_wait_alu 0xfffe
	s_delay_alu instid0(SALU_CYCLE_2) | instskip(SKIP_1) | instid1(SALU_CYCLE_2)
	s_trunc_f32 s75, s75
	s_wait_alu 0xfffe
	s_fmamk_f32 s0, s75, 0xcf800000, s0
	s_cvt_u32_f32 s83, s75
	s_wait_alu 0xfffe
	s_delay_alu instid0(SALU_CYCLE_1) | instskip(NEXT) | instid1(SALU_CYCLE_3)
	s_cvt_u32_f32 s82, s0
	s_mul_u64 s[86:87], s[84:85], s[82:83]
	s_delay_alu instid0(SALU_CYCLE_1)
	s_mul_hi_u32 s89, s82, s87
	s_mul_i32 s88, s82, s87
	s_mul_hi_u32 s0, s82, s86
	s_mul_i32 s90, s83, s86
	s_wait_alu 0xfffe
	s_add_nc_u64 s[88:89], s[0:1], s[88:89]
	s_mul_hi_u32 s75, s83, s86
	s_mul_hi_u32 s91, s83, s87
	s_add_co_u32 s0, s88, s90
	s_wait_alu 0xfffe
	s_add_co_ci_u32 s0, s89, s75
	s_mul_i32 s86, s83, s87
	s_add_co_ci_u32 s87, s91, 0
	s_wait_alu 0xfffe
	s_add_nc_u64 s[86:87], s[0:1], s[86:87]
	s_delay_alu instid0(SALU_CYCLE_1) | instskip(SKIP_4) | instid1(SALU_CYCLE_1)
	s_add_co_u32 s82, s82, s86
	s_cselect_b32 s0, -1, 0
	s_wait_alu 0xfffe
	s_cmp_lg_u32 s0, 0
	s_add_co_ci_u32 s83, s83, s87
	s_mul_u64 s[84:85], s[84:85], s[82:83]
	s_delay_alu instid0(SALU_CYCLE_1)
	s_mul_hi_u32 s87, s82, s85
	s_mul_i32 s86, s82, s85
	s_mul_hi_u32 s0, s82, s84
	s_mul_i32 s88, s83, s84
	s_wait_alu 0xfffe
	s_add_nc_u64 s[86:87], s[0:1], s[86:87]
	s_mul_hi_u32 s75, s83, s84
	s_mul_hi_u32 s89, s83, s85
	s_add_co_u32 s0, s86, s88
	s_wait_alu 0xfffe
	s_add_co_ci_u32 s0, s87, s75
	s_mul_i32 s84, s83, s85
	s_add_co_ci_u32 s85, s89, 0
	s_wait_alu 0xfffe
	s_add_nc_u64 s[84:85], s[0:1], s[84:85]
	s_delay_alu instid0(SALU_CYCLE_1)
	s_add_co_u32 s0, s82, s84
	s_cselect_b32 s75, -1, 0
	s_wait_alu 0xfffe
	v_mul_hi_u32 v43, v2, s0
	s_cmp_lg_u32 s75, 0
	v_mad_co_u64_u32 v[39:40], null, v37, s0, 0
	s_add_co_ci_u32 s75, s83, s85
	s_wait_alu 0xfffe
	v_mad_co_u64_u32 v[15:16], null, v2, s75, 0
	v_mad_co_u64_u32 v[41:42], null, v37, s75, 0
	s_delay_alu instid0(VALU_DEP_2) | instskip(SKIP_1) | instid1(VALU_DEP_3)
	v_add_co_u32 v15, vcc_lo, v43, v15
	s_wait_alu 0xfffd
	v_add_co_ci_u32_e64 v16, null, 0, v16, vcc_lo
	s_delay_alu instid0(VALU_DEP_2) | instskip(SKIP_1) | instid1(VALU_DEP_2)
	v_add_co_u32 v15, vcc_lo, v15, v39
	s_wait_alu 0xfffd
	v_add_co_ci_u32_e32 v15, vcc_lo, v16, v40, vcc_lo
	s_wait_alu 0xfffd
	v_add_co_ci_u32_e32 v16, vcc_lo, 0, v42, vcc_lo
	s_delay_alu instid0(VALU_DEP_2) | instskip(SKIP_1) | instid1(VALU_DEP_2)
	v_add_co_u32 v39, vcc_lo, v15, v41
	s_wait_alu 0xfffd
	v_add_co_ci_u32_e64 v40, null, 0, v16, vcc_lo
	s_delay_alu instid0(VALU_DEP_2) | instskip(SKIP_1) | instid1(VALU_DEP_3)
	v_mul_lo_u32 v41, s77, v39
	v_mad_co_u64_u32 v[15:16], null, s76, v39, 0
	v_mul_lo_u32 v42, s76, v40
	s_delay_alu instid0(VALU_DEP_2) | instskip(NEXT) | instid1(VALU_DEP_2)
	v_sub_co_u32 v2, vcc_lo, v2, v15
	v_add3_u32 v16, v16, v42, v41
	s_delay_alu instid0(VALU_DEP_1) | instskip(SKIP_2) | instid1(VALU_DEP_2)
	v_sub_nc_u32_e32 v41, v37, v16
	s_wait_alu 0xfffd
	v_sub_co_ci_u32_e64 v16, null, v37, v16, vcc_lo
	v_subrev_co_ci_u32_e64 v15, null, s77, v41, vcc_lo
	v_add_co_u32 v41, s0, v39, 2
	s_wait_alu 0xf1ff
	v_add_co_ci_u32_e64 v42, null, 0, v40, s0
	v_sub_co_u32 v43, s0, v2, s76
	s_wait_alu 0xf1ff
	v_subrev_co_ci_u32_e64 v15, null, 0, v15, s0
	s_delay_alu instid0(VALU_DEP_2) | instskip(SKIP_2) | instid1(VALU_DEP_3)
	v_cmp_le_u32_e32 vcc_lo, s76, v43
	s_wait_alu 0xfffd
	v_cndmask_b32_e64 v37, 0, -1, vcc_lo
	v_cmp_le_u32_e32 vcc_lo, s77, v15
	s_wait_alu 0xfffd
	v_cndmask_b32_e64 v43, 0, -1, vcc_lo
	;; [unrolled: 3-line block ×4, first 2 shown]
	v_cmp_eq_u32_e32 vcc_lo, s77, v15
	s_wait_alu 0xfffd
	v_cndmask_b32_e32 v15, v43, v37, vcc_lo
	v_add_co_u32 v37, vcc_lo, v39, 1
	s_wait_alu 0xfffd
	v_add_co_ci_u32_e64 v43, null, 0, v40, vcc_lo
	v_cmp_eq_u32_e32 vcc_lo, s77, v16
	v_xor_b32_e32 v16, s74, v21
	s_wait_alu 0xfffd
	v_cndmask_b32_e32 v2, v44, v2, vcc_lo
	v_cmp_ne_u32_e32 vcc_lo, 0, v15
	s_delay_alu instid0(VALU_DEP_2) | instskip(SKIP_3) | instid1(VALU_DEP_1)
	v_cmp_ne_u32_e64 s0, 0, v2
	s_wait_alu 0xfffd
	v_dual_cndmask_b32 v15, v43, v42 :: v_dual_cndmask_b32 v2, v37, v41
	s_wait_alu 0xf1ff
	v_cndmask_b32_e64 v15, v40, v15, s0
	s_delay_alu instid0(VALU_DEP_2) | instskip(NEXT) | instid1(VALU_DEP_2)
	v_cndmask_b32_e64 v2, v39, v2, s0
	v_xor_b32_e32 v37, v15, v16
	s_delay_alu instid0(VALU_DEP_2) | instskip(NEXT) | instid1(VALU_DEP_1)
	v_xor_b32_e32 v2, v2, v16
	v_sub_co_u32 v15, vcc_lo, v2, v16
	s_wait_alu 0xfffd
	s_delay_alu instid0(VALU_DEP_3)
	v_sub_co_ci_u32_e64 v16, null, v37, v16, vcc_lo
.LBB15_33:                              ;   in Loop: Header=BB15_3 Depth=1
	s_and_not1_saveexec_b32 s0, s81
	s_cbranch_execz .LBB15_35
; %bb.34:                               ;   in Loop: Header=BB15_3 Depth=1
	v_rcp_iflag_f32_e32 v2, v38
	s_sub_co_i32 s74, 0, s38
	s_delay_alu instid0(TRANS32_DEP_1) | instskip(NEXT) | instid1(VALU_DEP_1)
	v_mul_f32_e32 v2, 0x4f7ffffe, v2
	v_cvt_u32_f32_e32 v2, v2
	s_wait_alu 0xfffe
	s_delay_alu instid0(VALU_DEP_1) | instskip(NEXT) | instid1(VALU_DEP_1)
	v_mul_lo_u32 v15, s74, v2
	v_mul_hi_u32 v15, v2, v15
	s_delay_alu instid0(VALU_DEP_1) | instskip(NEXT) | instid1(VALU_DEP_1)
	v_add_nc_u32_e32 v2, v2, v15
	v_mul_hi_u32 v2, v25, v2
	s_delay_alu instid0(VALU_DEP_1) | instskip(SKIP_1) | instid1(VALU_DEP_2)
	v_mul_lo_u32 v15, v2, s38
	v_add_nc_u32_e32 v16, 1, v2
	v_sub_nc_u32_e32 v15, v25, v15
	s_delay_alu instid0(VALU_DEP_1) | instskip(SKIP_2) | instid1(VALU_DEP_2)
	v_subrev_nc_u32_e32 v37, s38, v15
	v_cmp_le_u32_e32 vcc_lo, s38, v15
	s_wait_alu 0xfffd
	v_dual_cndmask_b32 v15, v15, v37 :: v_dual_cndmask_b32 v2, v2, v16
	s_delay_alu instid0(VALU_DEP_1) | instskip(NEXT) | instid1(VALU_DEP_2)
	v_cmp_le_u32_e32 vcc_lo, s38, v15
	v_add_nc_u32_e32 v16, 1, v2
	s_wait_alu 0xfffd
	s_delay_alu instid0(VALU_DEP_1)
	v_dual_cndmask_b32 v15, v2, v16 :: v_dual_mov_b32 v16, v1
.LBB15_35:                              ;   in Loop: Header=BB15_3 Depth=1
	s_wait_alu 0xfffe
	s_or_b32 exec_lo, exec_lo, s0
	s_delay_alu instid0(VALU_DEP_1) | instskip(NEXT) | instid1(VALU_DEP_2)
	v_mul_lo_u32 v2, v16, s38
	v_mul_lo_u32 v37, v15, s39
	v_mad_co_u64_u32 v[39:40], null, v15, s38, 0
	v_mul_lo_u32 v41, v15, s13
	s_mov_b32 s0, exec_lo
	s_delay_alu instid0(VALU_DEP_2) | instskip(SKIP_1) | instid1(VALU_DEP_4)
	v_add3_u32 v2, v40, v37, v2
	v_mul_lo_u32 v37, v16, s12
	v_sub_co_u32 v16, vcc_lo, v11, v39
	s_wait_alu 0xfffd
	s_delay_alu instid0(VALU_DEP_3) | instskip(NEXT) | instid1(VALU_DEP_2)
	v_sub_co_ci_u32_e64 v2, null, v12, v2, vcc_lo
	v_add_co_u32 v39, vcc_lo, v3, v16
	v_mad_co_u64_u32 v[15:16], null, v15, s12, 0
	s_wait_alu 0xfffd
	s_delay_alu instid0(VALU_DEP_3) | instskip(NEXT) | instid1(VALU_DEP_3)
	v_add_co_ci_u32_e64 v2, null, v4, v2, vcc_lo
	v_mul_lo_u32 v42, v39, s15
	v_mad_co_u64_u32 v[39:40], null, v39, s14, 0
	s_delay_alu instid0(VALU_DEP_3) | instskip(SKIP_1) | instid1(VALU_DEP_1)
	v_mul_lo_u32 v2, v2, s14
	v_add3_u32 v16, v16, v41, v37
	v_lshlrev_b64_e32 v[15:16], 1, v[15:16]
	s_delay_alu instid0(VALU_DEP_3) | instskip(NEXT) | instid1(VALU_DEP_2)
	v_add3_u32 v40, v40, v42, v2
	v_add_co_u32 v2, vcc_lo, s36, v15
	s_delay_alu instid0(VALU_DEP_2) | instskip(SKIP_1) | instid1(VALU_DEP_4)
	v_lshlrev_b64_e32 v[39:40], 1, v[39:40]
	s_wait_alu 0xfffd
	v_add_co_ci_u32_e64 v16, null, s37, v16, vcc_lo
	s_delay_alu instid0(VALU_DEP_2) | instskip(SKIP_1) | instid1(VALU_DEP_2)
	v_add_co_u32 v15, vcc_lo, v2, v39
	s_wait_alu 0xfffd
	v_add_co_ci_u32_e64 v16, null, v16, v40, vcc_lo
	v_or_b32_e32 v2, s39, v36
	global_load_u16 v37, v[15:16], off
                                        ; implicit-def: $vgpr15_vgpr16
	v_cmpx_ne_u64_e32 0, v[1:2]
	s_wait_alu 0xfffe
	s_xor_b32 s81, exec_lo, s0
	s_cbranch_execz .LBB15_37
; %bb.36:                               ;   in Loop: Header=BB15_3 Depth=1
	s_ashr_i32 s74, s39, 31
	v_add_co_u32 v2, vcc_lo, v35, v24
	s_wait_alu 0xfffe
	s_mov_b32 s75, s74
	s_wait_alu 0xfffd
	v_add_co_ci_u32_e64 v15, null, v36, v24, vcc_lo
	s_wait_alu 0xfffe
	s_add_nc_u64 s[76:77], s[38:39], s[74:75]
	v_xor_b32_e32 v2, v2, v24
	s_wait_alu 0xfffe
	s_xor_b64 s[76:77], s[76:77], s[74:75]
	v_xor_b32_e32 v42, v15, v24
	s_wait_alu 0xfffe
	s_cvt_f32_u32 s0, s76
	s_cvt_f32_u32 s75, s77
	s_sub_nc_u64 s[84:85], 0, s[76:77]
	s_wait_alu 0xfffe
	s_delay_alu instid0(SALU_CYCLE_1) | instskip(SKIP_1) | instid1(SALU_CYCLE_2)
	s_fmamk_f32 s0, s75, 0x4f800000, s0
	s_wait_alu 0xfffe
	v_s_rcp_f32 s0, s0
	s_delay_alu instid0(TRANS32_DEP_1) | instskip(SKIP_1) | instid1(SALU_CYCLE_2)
	s_mul_f32 s0, s0, 0x5f7ffffc
	s_wait_alu 0xfffe
	s_mul_f32 s75, s0, 0x2f800000
	s_wait_alu 0xfffe
	s_delay_alu instid0(SALU_CYCLE_2) | instskip(SKIP_1) | instid1(SALU_CYCLE_2)
	s_trunc_f32 s75, s75
	s_wait_alu 0xfffe
	s_fmamk_f32 s0, s75, 0xcf800000, s0
	s_cvt_u32_f32 s83, s75
	s_wait_alu 0xfffe
	s_delay_alu instid0(SALU_CYCLE_1) | instskip(NEXT) | instid1(SALU_CYCLE_3)
	s_cvt_u32_f32 s82, s0
	s_mul_u64 s[86:87], s[84:85], s[82:83]
	s_delay_alu instid0(SALU_CYCLE_1)
	s_mul_hi_u32 s89, s82, s87
	s_mul_i32 s88, s82, s87
	s_mul_hi_u32 s0, s82, s86
	s_mul_i32 s90, s83, s86
	s_wait_alu 0xfffe
	s_add_nc_u64 s[88:89], s[0:1], s[88:89]
	s_mul_hi_u32 s75, s83, s86
	s_mul_hi_u32 s91, s83, s87
	s_add_co_u32 s0, s88, s90
	s_wait_alu 0xfffe
	s_add_co_ci_u32 s0, s89, s75
	s_mul_i32 s86, s83, s87
	s_add_co_ci_u32 s87, s91, 0
	s_wait_alu 0xfffe
	s_add_nc_u64 s[86:87], s[0:1], s[86:87]
	s_delay_alu instid0(SALU_CYCLE_1) | instskip(SKIP_4) | instid1(SALU_CYCLE_1)
	s_add_co_u32 s82, s82, s86
	s_cselect_b32 s0, -1, 0
	s_wait_alu 0xfffe
	s_cmp_lg_u32 s0, 0
	s_add_co_ci_u32 s83, s83, s87
	s_mul_u64 s[84:85], s[84:85], s[82:83]
	s_delay_alu instid0(SALU_CYCLE_1)
	s_mul_hi_u32 s87, s82, s85
	s_mul_i32 s86, s82, s85
	s_mul_hi_u32 s0, s82, s84
	s_mul_i32 s88, s83, s84
	s_wait_alu 0xfffe
	s_add_nc_u64 s[86:87], s[0:1], s[86:87]
	s_mul_hi_u32 s75, s83, s84
	s_mul_hi_u32 s89, s83, s85
	s_add_co_u32 s0, s86, s88
	s_wait_alu 0xfffe
	s_add_co_ci_u32 s0, s87, s75
	s_mul_i32 s84, s83, s85
	s_add_co_ci_u32 s85, s89, 0
	s_wait_alu 0xfffe
	s_add_nc_u64 s[84:85], s[0:1], s[84:85]
	s_delay_alu instid0(SALU_CYCLE_1)
	s_add_co_u32 s0, s82, s84
	s_cselect_b32 s75, -1, 0
	s_wait_alu 0xfffe
	v_mul_hi_u32 v43, v2, s0
	s_cmp_lg_u32 s75, 0
	v_mad_co_u64_u32 v[38:39], null, v42, s0, 0
	s_add_co_ci_u32 s75, s83, s85
	s_wait_alu 0xfffe
	v_mad_co_u64_u32 v[15:16], null, v2, s75, 0
	v_mad_co_u64_u32 v[40:41], null, v42, s75, 0
	s_delay_alu instid0(VALU_DEP_2) | instskip(SKIP_1) | instid1(VALU_DEP_3)
	v_add_co_u32 v15, vcc_lo, v43, v15
	s_wait_alu 0xfffd
	v_add_co_ci_u32_e64 v16, null, 0, v16, vcc_lo
	s_delay_alu instid0(VALU_DEP_2) | instskip(SKIP_1) | instid1(VALU_DEP_2)
	v_add_co_u32 v15, vcc_lo, v15, v38
	s_wait_alu 0xfffd
	v_add_co_ci_u32_e32 v15, vcc_lo, v16, v39, vcc_lo
	s_wait_alu 0xfffd
	v_add_co_ci_u32_e32 v16, vcc_lo, 0, v41, vcc_lo
	s_delay_alu instid0(VALU_DEP_2) | instskip(SKIP_1) | instid1(VALU_DEP_2)
	v_add_co_u32 v38, vcc_lo, v15, v40
	s_wait_alu 0xfffd
	v_add_co_ci_u32_e64 v39, null, 0, v16, vcc_lo
	s_delay_alu instid0(VALU_DEP_2) | instskip(SKIP_1) | instid1(VALU_DEP_3)
	v_mul_lo_u32 v40, s77, v38
	v_mad_co_u64_u32 v[15:16], null, s76, v38, 0
	v_mul_lo_u32 v41, s76, v39
	s_delay_alu instid0(VALU_DEP_2) | instskip(NEXT) | instid1(VALU_DEP_2)
	v_sub_co_u32 v2, vcc_lo, v2, v15
	v_add3_u32 v16, v16, v41, v40
	s_delay_alu instid0(VALU_DEP_1) | instskip(SKIP_2) | instid1(VALU_DEP_2)
	v_sub_nc_u32_e32 v40, v42, v16
	s_wait_alu 0xfffd
	v_sub_co_ci_u32_e64 v16, null, v42, v16, vcc_lo
	v_subrev_co_ci_u32_e64 v15, null, s77, v40, vcc_lo
	v_add_co_u32 v40, s0, v38, 2
	s_wait_alu 0xf1ff
	v_add_co_ci_u32_e64 v41, null, 0, v39, s0
	v_sub_co_u32 v43, s0, v2, s76
	s_wait_alu 0xf1ff
	v_subrev_co_ci_u32_e64 v15, null, 0, v15, s0
	s_delay_alu instid0(VALU_DEP_2) | instskip(SKIP_2) | instid1(VALU_DEP_3)
	v_cmp_le_u32_e32 vcc_lo, s76, v43
	s_wait_alu 0xfffd
	v_cndmask_b32_e64 v42, 0, -1, vcc_lo
	v_cmp_le_u32_e32 vcc_lo, s77, v15
	s_wait_alu 0xfffd
	v_cndmask_b32_e64 v43, 0, -1, vcc_lo
	;; [unrolled: 3-line block ×4, first 2 shown]
	v_cmp_eq_u32_e32 vcc_lo, s77, v15
	s_wait_alu 0xfffd
	v_cndmask_b32_e32 v15, v43, v42, vcc_lo
	v_add_co_u32 v42, vcc_lo, v38, 1
	s_wait_alu 0xfffd
	v_add_co_ci_u32_e64 v43, null, 0, v39, vcc_lo
	v_cmp_eq_u32_e32 vcc_lo, s77, v16
	v_xor_b32_e32 v16, s74, v24
	s_wait_alu 0xfffd
	v_cndmask_b32_e32 v2, v44, v2, vcc_lo
	v_cmp_ne_u32_e32 vcc_lo, 0, v15
	s_wait_alu 0xfffd
	v_cndmask_b32_e32 v15, v43, v41, vcc_lo
	s_delay_alu instid0(VALU_DEP_3) | instskip(SKIP_2) | instid1(VALU_DEP_2)
	v_cmp_ne_u32_e64 s0, 0, v2
	v_cndmask_b32_e32 v2, v42, v40, vcc_lo
	s_wait_alu 0xf1ff
	v_cndmask_b32_e64 v15, v39, v15, s0
	s_delay_alu instid0(VALU_DEP_2) | instskip(NEXT) | instid1(VALU_DEP_2)
	v_cndmask_b32_e64 v2, v38, v2, s0
	v_xor_b32_e32 v38, v15, v16
	s_delay_alu instid0(VALU_DEP_2) | instskip(NEXT) | instid1(VALU_DEP_1)
	v_xor_b32_e32 v2, v2, v16
	v_sub_co_u32 v15, vcc_lo, v2, v16
	s_wait_alu 0xfffd
	s_delay_alu instid0(VALU_DEP_3)
	v_sub_co_ci_u32_e64 v16, null, v38, v16, vcc_lo
                                        ; implicit-def: $vgpr38
.LBB15_37:                              ;   in Loop: Header=BB15_3 Depth=1
	s_and_not1_saveexec_b32 s0, s81
	s_cbranch_execz .LBB15_39
; %bb.38:                               ;   in Loop: Header=BB15_3 Depth=1
	v_rcp_iflag_f32_e32 v2, v38
	s_sub_co_i32 s74, 0, s38
	s_delay_alu instid0(TRANS32_DEP_1) | instskip(NEXT) | instid1(VALU_DEP_1)
	v_mul_f32_e32 v2, 0x4f7ffffe, v2
	v_cvt_u32_f32_e32 v2, v2
	s_wait_alu 0xfffe
	s_delay_alu instid0(VALU_DEP_1) | instskip(NEXT) | instid1(VALU_DEP_1)
	v_mul_lo_u32 v15, s74, v2
	v_mul_hi_u32 v15, v2, v15
	s_delay_alu instid0(VALU_DEP_1) | instskip(NEXT) | instid1(VALU_DEP_1)
	v_add_nc_u32_e32 v2, v2, v15
	v_mul_hi_u32 v2, v35, v2
	s_delay_alu instid0(VALU_DEP_1) | instskip(SKIP_1) | instid1(VALU_DEP_2)
	v_mul_lo_u32 v15, v2, s38
	v_add_nc_u32_e32 v16, 1, v2
	v_sub_nc_u32_e32 v15, v35, v15
	s_delay_alu instid0(VALU_DEP_1) | instskip(SKIP_2) | instid1(VALU_DEP_2)
	v_subrev_nc_u32_e32 v38, s38, v15
	v_cmp_le_u32_e32 vcc_lo, s38, v15
	s_wait_alu 0xfffd
	v_dual_cndmask_b32 v15, v15, v38 :: v_dual_cndmask_b32 v2, v2, v16
	s_delay_alu instid0(VALU_DEP_1) | instskip(NEXT) | instid1(VALU_DEP_2)
	v_cmp_le_u32_e32 vcc_lo, s38, v15
	v_add_nc_u32_e32 v16, 1, v2
	s_wait_alu 0xfffd
	s_delay_alu instid0(VALU_DEP_1)
	v_dual_cndmask_b32 v15, v2, v16 :: v_dual_mov_b32 v16, v1
.LBB15_39:                              ;   in Loop: Header=BB15_3 Depth=1
	s_wait_alu 0xfffe
	s_or_b32 exec_lo, exec_lo, s0
	s_delay_alu instid0(VALU_DEP_1) | instskip(NEXT) | instid1(VALU_DEP_2)
	v_mul_lo_u32 v2, v16, s38
	v_mul_lo_u32 v40, v15, s39
	v_mad_co_u64_u32 v[38:39], null, v15, s38, 0
	v_mul_lo_u32 v41, v15, s13
	s_mov_b32 s0, exec_lo
	s_delay_alu instid0(VALU_DEP_2) | instskip(SKIP_1) | instid1(VALU_DEP_4)
	v_add3_u32 v2, v39, v40, v2
	v_mul_lo_u32 v40, v16, s12
	v_sub_co_u32 v16, vcc_lo, v13, v38
	s_wait_alu 0xfffd
	s_delay_alu instid0(VALU_DEP_3) | instskip(NEXT) | instid1(VALU_DEP_2)
	v_sub_co_ci_u32_e64 v2, null, v14, v2, vcc_lo
	v_add_co_u32 v38, vcc_lo, v3, v16
	v_mad_co_u64_u32 v[15:16], null, v15, s12, 0
	s_wait_alu 0xfffd
	s_delay_alu instid0(VALU_DEP_3) | instskip(NEXT) | instid1(VALU_DEP_3)
	v_add_co_ci_u32_e64 v2, null, v4, v2, vcc_lo
	v_mul_lo_u32 v42, v38, s15
	v_mad_co_u64_u32 v[38:39], null, v38, s14, 0
	s_delay_alu instid0(VALU_DEP_3) | instskip(SKIP_1) | instid1(VALU_DEP_1)
	v_mul_lo_u32 v2, v2, s14
	v_add3_u32 v16, v16, v41, v40
	v_lshlrev_b64_e32 v[15:16], 1, v[15:16]
	s_delay_alu instid0(VALU_DEP_3) | instskip(NEXT) | instid1(VALU_DEP_2)
	v_add3_u32 v39, v39, v42, v2
	v_add_co_u32 v2, vcc_lo, s36, v15
	s_delay_alu instid0(VALU_DEP_2) | instskip(SKIP_1) | instid1(VALU_DEP_4)
	v_lshlrev_b64_e32 v[38:39], 1, v[38:39]
	s_wait_alu 0xfffd
	v_add_co_ci_u32_e64 v16, null, s37, v16, vcc_lo
	s_delay_alu instid0(VALU_DEP_2) | instskip(SKIP_1) | instid1(VALU_DEP_2)
	v_add_co_u32 v15, vcc_lo, v2, v38
	s_wait_alu 0xfffd
	v_add_co_ci_u32_e64 v16, null, v16, v39, vcc_lo
	v_or_b32_e32 v2, s63, v20
	global_load_u16 v38, v[15:16], off
                                        ; implicit-def: $vgpr15_vgpr16
	v_cmpx_ne_u64_e32 0, v[1:2]
	s_wait_alu 0xfffe
	s_xor_b32 s81, exec_lo, s0
	s_cbranch_execz .LBB15_41
; %bb.40:                               ;   in Loop: Header=BB15_3 Depth=1
	s_ashr_i32 s74, s63, 31
	v_add_co_u32 v2, vcc_lo, v18, v17
	s_wait_alu 0xfffe
	s_mov_b32 s75, s74
	s_wait_alu 0xfffd
	v_add_co_ci_u32_e64 v15, null, v20, v17, vcc_lo
	s_wait_alu 0xfffe
	s_add_nc_u64 s[76:77], s[62:63], s[74:75]
	v_xor_b32_e32 v2, v2, v17
	s_wait_alu 0xfffe
	s_xor_b64 s[76:77], s[76:77], s[74:75]
	v_xor_b32_e32 v18, v15, v17
	s_wait_alu 0xfffe
	s_cvt_f32_u32 s0, s76
	s_cvt_f32_u32 s75, s77
	s_sub_nc_u64 s[84:85], 0, s[76:77]
	s_wait_alu 0xfffe
	s_delay_alu instid0(SALU_CYCLE_1) | instskip(SKIP_1) | instid1(SALU_CYCLE_2)
	s_fmamk_f32 s0, s75, 0x4f800000, s0
	s_wait_alu 0xfffe
	v_s_rcp_f32 s0, s0
	s_delay_alu instid0(TRANS32_DEP_1) | instskip(SKIP_1) | instid1(SALU_CYCLE_2)
	s_mul_f32 s0, s0, 0x5f7ffffc
	s_wait_alu 0xfffe
	s_mul_f32 s75, s0, 0x2f800000
	s_wait_alu 0xfffe
	s_delay_alu instid0(SALU_CYCLE_2) | instskip(SKIP_1) | instid1(SALU_CYCLE_2)
	s_trunc_f32 s75, s75
	s_wait_alu 0xfffe
	s_fmamk_f32 s0, s75, 0xcf800000, s0
	s_cvt_u32_f32 s83, s75
	s_wait_alu 0xfffe
	s_delay_alu instid0(SALU_CYCLE_1) | instskip(NEXT) | instid1(SALU_CYCLE_3)
	s_cvt_u32_f32 s82, s0
	s_mul_u64 s[86:87], s[84:85], s[82:83]
	s_delay_alu instid0(SALU_CYCLE_1)
	s_mul_hi_u32 s89, s82, s87
	s_mul_i32 s88, s82, s87
	s_mul_hi_u32 s0, s82, s86
	s_mul_i32 s90, s83, s86
	s_wait_alu 0xfffe
	s_add_nc_u64 s[88:89], s[0:1], s[88:89]
	s_mul_hi_u32 s75, s83, s86
	s_mul_hi_u32 s91, s83, s87
	s_add_co_u32 s0, s88, s90
	s_wait_alu 0xfffe
	s_add_co_ci_u32 s0, s89, s75
	s_mul_i32 s86, s83, s87
	s_add_co_ci_u32 s87, s91, 0
	s_wait_alu 0xfffe
	s_add_nc_u64 s[86:87], s[0:1], s[86:87]
	s_delay_alu instid0(SALU_CYCLE_1) | instskip(SKIP_4) | instid1(SALU_CYCLE_1)
	s_add_co_u32 s82, s82, s86
	s_cselect_b32 s0, -1, 0
	s_wait_alu 0xfffe
	s_cmp_lg_u32 s0, 0
	s_add_co_ci_u32 s83, s83, s87
	s_mul_u64 s[84:85], s[84:85], s[82:83]
	s_delay_alu instid0(SALU_CYCLE_1)
	s_mul_hi_u32 s87, s82, s85
	s_mul_i32 s86, s82, s85
	s_mul_hi_u32 s0, s82, s84
	s_mul_i32 s88, s83, s84
	s_wait_alu 0xfffe
	s_add_nc_u64 s[86:87], s[0:1], s[86:87]
	s_mul_hi_u32 s75, s83, s84
	s_mul_hi_u32 s89, s83, s85
	s_add_co_u32 s0, s86, s88
	s_wait_alu 0xfffe
	s_add_co_ci_u32 s0, s87, s75
	s_mul_i32 s84, s83, s85
	s_add_co_ci_u32 s85, s89, 0
	s_wait_alu 0xfffe
	s_add_nc_u64 s[84:85], s[0:1], s[84:85]
	s_delay_alu instid0(SALU_CYCLE_1)
	s_add_co_u32 s0, s82, s84
	s_cselect_b32 s75, -1, 0
	s_wait_alu 0xfffe
	v_mul_hi_u32 v20, v2, s0
	s_cmp_lg_u32 s75, 0
	v_mad_co_u64_u32 v[39:40], null, v18, s0, 0
	s_add_co_ci_u32 s75, s83, s85
	s_wait_alu 0xfffe
	v_mad_co_u64_u32 v[15:16], null, v2, s75, 0
	v_mad_co_u64_u32 v[41:42], null, v18, s75, 0
	s_delay_alu instid0(VALU_DEP_2) | instskip(SKIP_1) | instid1(VALU_DEP_3)
	v_add_co_u32 v15, vcc_lo, v20, v15
	s_wait_alu 0xfffd
	v_add_co_ci_u32_e64 v16, null, 0, v16, vcc_lo
	s_delay_alu instid0(VALU_DEP_2) | instskip(SKIP_1) | instid1(VALU_DEP_2)
	v_add_co_u32 v15, vcc_lo, v15, v39
	s_wait_alu 0xfffd
	v_add_co_ci_u32_e32 v15, vcc_lo, v16, v40, vcc_lo
	s_wait_alu 0xfffd
	v_add_co_ci_u32_e32 v16, vcc_lo, 0, v42, vcc_lo
	s_delay_alu instid0(VALU_DEP_2) | instskip(SKIP_1) | instid1(VALU_DEP_2)
	v_add_co_u32 v20, vcc_lo, v15, v41
	s_wait_alu 0xfffd
	v_add_co_ci_u32_e64 v39, null, 0, v16, vcc_lo
	s_delay_alu instid0(VALU_DEP_2) | instskip(SKIP_1) | instid1(VALU_DEP_3)
	v_mul_lo_u32 v40, s77, v20
	v_mad_co_u64_u32 v[15:16], null, s76, v20, 0
	v_mul_lo_u32 v41, s76, v39
	s_delay_alu instid0(VALU_DEP_2) | instskip(NEXT) | instid1(VALU_DEP_2)
	v_sub_co_u32 v2, vcc_lo, v2, v15
	v_add3_u32 v16, v16, v41, v40
	s_delay_alu instid0(VALU_DEP_1) | instskip(SKIP_2) | instid1(VALU_DEP_2)
	v_sub_nc_u32_e32 v40, v18, v16
	s_wait_alu 0xfffd
	v_sub_co_ci_u32_e64 v16, null, v18, v16, vcc_lo
	v_subrev_co_ci_u32_e64 v15, null, s77, v40, vcc_lo
	v_add_co_u32 v40, s0, v20, 2
	s_wait_alu 0xf1ff
	v_add_co_ci_u32_e64 v41, null, 0, v39, s0
	v_sub_co_u32 v42, s0, v2, s76
	s_wait_alu 0xf1ff
	v_subrev_co_ci_u32_e64 v15, null, 0, v15, s0
	s_delay_alu instid0(VALU_DEP_2) | instskip(SKIP_2) | instid1(VALU_DEP_3)
	v_cmp_le_u32_e32 vcc_lo, s76, v42
	s_wait_alu 0xfffd
	v_cndmask_b32_e64 v18, 0, -1, vcc_lo
	v_cmp_le_u32_e32 vcc_lo, s77, v15
	s_wait_alu 0xfffd
	v_cndmask_b32_e64 v42, 0, -1, vcc_lo
	;; [unrolled: 3-line block ×4, first 2 shown]
	v_cmp_eq_u32_e32 vcc_lo, s77, v15
	s_wait_alu 0xfffd
	v_cndmask_b32_e32 v15, v42, v18, vcc_lo
	v_add_co_u32 v18, vcc_lo, v20, 1
	s_wait_alu 0xfffd
	v_add_co_ci_u32_e64 v42, null, 0, v39, vcc_lo
	v_cmp_eq_u32_e32 vcc_lo, s77, v16
	v_xor_b32_e32 v16, s74, v17
	s_wait_alu 0xfffd
	v_cndmask_b32_e32 v2, v43, v2, vcc_lo
	v_cmp_ne_u32_e32 vcc_lo, 0, v15
	s_wait_alu 0xfffd
	v_cndmask_b32_e32 v15, v42, v41, vcc_lo
	s_delay_alu instid0(VALU_DEP_3) | instskip(SKIP_2) | instid1(VALU_DEP_2)
	v_cmp_ne_u32_e64 s0, 0, v2
	v_cndmask_b32_e32 v2, v18, v40, vcc_lo
                                        ; implicit-def: $vgpr18
	s_wait_alu 0xf1ff
	v_cndmask_b32_e64 v15, v39, v15, s0
	s_delay_alu instid0(VALU_DEP_2) | instskip(NEXT) | instid1(VALU_DEP_2)
	v_cndmask_b32_e64 v2, v20, v2, s0
	v_xor_b32_e32 v17, v15, v16
	s_delay_alu instid0(VALU_DEP_2) | instskip(NEXT) | instid1(VALU_DEP_1)
	v_xor_b32_e32 v2, v2, v16
	v_sub_co_u32 v15, vcc_lo, v2, v16
	s_wait_alu 0xfffd
	s_delay_alu instid0(VALU_DEP_3)
	v_sub_co_ci_u32_e64 v16, null, v17, v16, vcc_lo
.LBB15_41:                              ;   in Loop: Header=BB15_3 Depth=1
	s_or_saveexec_b32 s0, s81
	v_cvt_f32_u32_e32 v39, s62
	s_wait_alu 0xfffe
	s_xor_b32 exec_lo, exec_lo, s0
	s_cbranch_execz .LBB15_43
; %bb.42:                               ;   in Loop: Header=BB15_3 Depth=1
	s_delay_alu instid0(VALU_DEP_1) | instskip(SKIP_1) | instid1(TRANS32_DEP_1)
	v_rcp_iflag_f32_e32 v2, v39
	s_sub_co_i32 s74, 0, s62
	v_mul_f32_e32 v2, 0x4f7ffffe, v2
	s_delay_alu instid0(VALU_DEP_1) | instskip(SKIP_1) | instid1(VALU_DEP_1)
	v_cvt_u32_f32_e32 v2, v2
	s_wait_alu 0xfffe
	v_mul_lo_u32 v15, s74, v2
	s_delay_alu instid0(VALU_DEP_1) | instskip(NEXT) | instid1(VALU_DEP_1)
	v_mul_hi_u32 v15, v2, v15
	v_add_nc_u32_e32 v2, v2, v15
	s_delay_alu instid0(VALU_DEP_1) | instskip(NEXT) | instid1(VALU_DEP_1)
	v_mul_hi_u32 v2, v18, v2
	v_mul_lo_u32 v15, v2, s62
	v_add_nc_u32_e32 v16, 1, v2
	s_delay_alu instid0(VALU_DEP_2) | instskip(NEXT) | instid1(VALU_DEP_1)
	v_sub_nc_u32_e32 v15, v18, v15
	v_subrev_nc_u32_e32 v17, s62, v15
	v_cmp_le_u32_e32 vcc_lo, s62, v15
	s_wait_alu 0xfffd
	s_delay_alu instid0(VALU_DEP_2) | instskip(NEXT) | instid1(VALU_DEP_1)
	v_dual_cndmask_b32 v15, v15, v17 :: v_dual_cndmask_b32 v2, v2, v16
	v_cmp_le_u32_e32 vcc_lo, s62, v15
	s_delay_alu instid0(VALU_DEP_2) | instskip(SKIP_1) | instid1(VALU_DEP_1)
	v_add_nc_u32_e32 v16, 1, v2
	s_wait_alu 0xfffd
	v_dual_cndmask_b32 v15, v2, v16 :: v_dual_mov_b32 v16, v1
.LBB15_43:                              ;   in Loop: Header=BB15_3 Depth=1
	s_or_b32 exec_lo, exec_lo, s0
	v_or_b32_e32 v2, s63, v23
                                        ; implicit-def: $vgpr17_vgpr18
	s_mov_b32 s0, exec_lo
	s_delay_alu instid0(VALU_DEP_1)
	v_cmpx_ne_u64_e32 0, v[1:2]
	s_wait_alu 0xfffe
	s_xor_b32 s81, exec_lo, s0
	s_cbranch_execz .LBB15_45
; %bb.44:                               ;   in Loop: Header=BB15_3 Depth=1
	s_ashr_i32 s74, s63, 31
	v_add_co_u32 v2, vcc_lo, v22, v19
	s_wait_alu 0xfffe
	s_mov_b32 s75, s74
	s_wait_alu 0xfffd
	v_add_co_ci_u32_e64 v17, null, v23, v19, vcc_lo
	s_wait_alu 0xfffe
	s_add_nc_u64 s[76:77], s[62:63], s[74:75]
	v_xor_b32_e32 v2, v2, v19
	s_wait_alu 0xfffe
	s_xor_b64 s[76:77], s[76:77], s[74:75]
	v_xor_b32_e32 v20, v17, v19
	s_wait_alu 0xfffe
	s_cvt_f32_u32 s0, s76
	s_cvt_f32_u32 s75, s77
	s_sub_nc_u64 s[84:85], 0, s[76:77]
	s_wait_alu 0xfffe
	s_delay_alu instid0(SALU_CYCLE_1) | instskip(SKIP_1) | instid1(SALU_CYCLE_2)
	s_fmamk_f32 s0, s75, 0x4f800000, s0
	s_wait_alu 0xfffe
	v_s_rcp_f32 s0, s0
	s_delay_alu instid0(TRANS32_DEP_1) | instskip(SKIP_1) | instid1(SALU_CYCLE_2)
	s_mul_f32 s0, s0, 0x5f7ffffc
	s_wait_alu 0xfffe
	s_mul_f32 s75, s0, 0x2f800000
	s_wait_alu 0xfffe
	s_delay_alu instid0(SALU_CYCLE_2) | instskip(SKIP_1) | instid1(SALU_CYCLE_2)
	s_trunc_f32 s75, s75
	s_wait_alu 0xfffe
	s_fmamk_f32 s0, s75, 0xcf800000, s0
	s_cvt_u32_f32 s83, s75
	s_wait_alu 0xfffe
	s_delay_alu instid0(SALU_CYCLE_1) | instskip(NEXT) | instid1(SALU_CYCLE_3)
	s_cvt_u32_f32 s82, s0
	s_mul_u64 s[86:87], s[84:85], s[82:83]
	s_delay_alu instid0(SALU_CYCLE_1)
	s_mul_hi_u32 s89, s82, s87
	s_mul_i32 s88, s82, s87
	s_mul_hi_u32 s0, s82, s86
	s_mul_i32 s90, s83, s86
	s_wait_alu 0xfffe
	s_add_nc_u64 s[88:89], s[0:1], s[88:89]
	s_mul_hi_u32 s75, s83, s86
	s_mul_hi_u32 s91, s83, s87
	s_add_co_u32 s0, s88, s90
	s_wait_alu 0xfffe
	s_add_co_ci_u32 s0, s89, s75
	s_mul_i32 s86, s83, s87
	s_add_co_ci_u32 s87, s91, 0
	s_wait_alu 0xfffe
	s_add_nc_u64 s[86:87], s[0:1], s[86:87]
	s_delay_alu instid0(SALU_CYCLE_1) | instskip(SKIP_4) | instid1(SALU_CYCLE_1)
	s_add_co_u32 s82, s82, s86
	s_cselect_b32 s0, -1, 0
	s_wait_alu 0xfffe
	s_cmp_lg_u32 s0, 0
	s_add_co_ci_u32 s83, s83, s87
	s_mul_u64 s[84:85], s[84:85], s[82:83]
	s_delay_alu instid0(SALU_CYCLE_1)
	s_mul_hi_u32 s87, s82, s85
	s_mul_i32 s86, s82, s85
	s_mul_hi_u32 s0, s82, s84
	s_mul_i32 s88, s83, s84
	s_wait_alu 0xfffe
	s_add_nc_u64 s[86:87], s[0:1], s[86:87]
	s_mul_hi_u32 s75, s83, s84
	s_mul_hi_u32 s89, s83, s85
	s_add_co_u32 s0, s86, s88
	s_wait_alu 0xfffe
	s_add_co_ci_u32 s0, s87, s75
	s_mul_i32 s84, s83, s85
	s_add_co_ci_u32 s85, s89, 0
	s_wait_alu 0xfffe
	s_add_nc_u64 s[84:85], s[0:1], s[84:85]
	s_delay_alu instid0(SALU_CYCLE_1)
	s_add_co_u32 s0, s82, s84
	s_cselect_b32 s75, -1, 0
	s_wait_alu 0xfffe
	v_mul_hi_u32 v42, v2, s0
	s_cmp_lg_u32 s75, 0
	v_mad_co_u64_u32 v[22:23], null, v20, s0, 0
	s_add_co_ci_u32 s75, s83, s85
	s_wait_alu 0xfffe
	v_mad_co_u64_u32 v[17:18], null, v2, s75, 0
	v_mad_co_u64_u32 v[40:41], null, v20, s75, 0
	s_delay_alu instid0(VALU_DEP_2) | instskip(SKIP_1) | instid1(VALU_DEP_3)
	v_add_co_u32 v17, vcc_lo, v42, v17
	s_wait_alu 0xfffd
	v_add_co_ci_u32_e64 v18, null, 0, v18, vcc_lo
	s_delay_alu instid0(VALU_DEP_2) | instskip(SKIP_1) | instid1(VALU_DEP_2)
	v_add_co_u32 v17, vcc_lo, v17, v22
	s_wait_alu 0xfffd
	v_add_co_ci_u32_e32 v17, vcc_lo, v18, v23, vcc_lo
	s_wait_alu 0xfffd
	v_add_co_ci_u32_e32 v18, vcc_lo, 0, v41, vcc_lo
	s_delay_alu instid0(VALU_DEP_2) | instskip(SKIP_1) | instid1(VALU_DEP_2)
	v_add_co_u32 v22, vcc_lo, v17, v40
	s_wait_alu 0xfffd
	v_add_co_ci_u32_e64 v23, null, 0, v18, vcc_lo
	s_delay_alu instid0(VALU_DEP_2) | instskip(SKIP_1) | instid1(VALU_DEP_3)
	v_mul_lo_u32 v40, s77, v22
	v_mad_co_u64_u32 v[17:18], null, s76, v22, 0
	v_mul_lo_u32 v41, s76, v23
	s_delay_alu instid0(VALU_DEP_2) | instskip(NEXT) | instid1(VALU_DEP_2)
	v_sub_co_u32 v2, vcc_lo, v2, v17
	v_add3_u32 v18, v18, v41, v40
	s_delay_alu instid0(VALU_DEP_1) | instskip(SKIP_2) | instid1(VALU_DEP_2)
	v_sub_nc_u32_e32 v40, v20, v18
	s_wait_alu 0xfffd
	v_sub_co_ci_u32_e64 v18, null, v20, v18, vcc_lo
	v_subrev_co_ci_u32_e64 v17, null, s77, v40, vcc_lo
	v_add_co_u32 v40, s0, v22, 2
	s_wait_alu 0xf1ff
	v_add_co_ci_u32_e64 v41, null, 0, v23, s0
	v_sub_co_u32 v42, s0, v2, s76
	s_wait_alu 0xf1ff
	v_subrev_co_ci_u32_e64 v17, null, 0, v17, s0
	s_delay_alu instid0(VALU_DEP_2) | instskip(SKIP_2) | instid1(VALU_DEP_3)
	v_cmp_le_u32_e32 vcc_lo, s76, v42
	s_wait_alu 0xfffd
	v_cndmask_b32_e64 v20, 0, -1, vcc_lo
	v_cmp_le_u32_e32 vcc_lo, s77, v17
	s_wait_alu 0xfffd
	v_cndmask_b32_e64 v42, 0, -1, vcc_lo
	;; [unrolled: 3-line block ×4, first 2 shown]
	v_cmp_eq_u32_e32 vcc_lo, s77, v17
	s_wait_alu 0xfffd
	v_cndmask_b32_e32 v17, v42, v20, vcc_lo
	v_add_co_u32 v20, vcc_lo, v22, 1
	s_wait_alu 0xfffd
	v_add_co_ci_u32_e64 v42, null, 0, v23, vcc_lo
	v_cmp_eq_u32_e32 vcc_lo, s77, v18
	v_xor_b32_e32 v18, s74, v19
	s_wait_alu 0xfffd
	v_cndmask_b32_e32 v2, v43, v2, vcc_lo
	v_cmp_ne_u32_e32 vcc_lo, 0, v17
	s_delay_alu instid0(VALU_DEP_2) | instskip(SKIP_3) | instid1(VALU_DEP_1)
	v_cmp_ne_u32_e64 s0, 0, v2
	s_wait_alu 0xfffd
	v_dual_cndmask_b32 v17, v42, v41 :: v_dual_cndmask_b32 v2, v20, v40
	s_wait_alu 0xf1ff
	v_cndmask_b32_e64 v17, v23, v17, s0
	s_delay_alu instid0(VALU_DEP_2) | instskip(NEXT) | instid1(VALU_DEP_2)
	v_cndmask_b32_e64 v2, v22, v2, s0
                                        ; implicit-def: $vgpr22
	v_xor_b32_e32 v19, v17, v18
	s_delay_alu instid0(VALU_DEP_2) | instskip(NEXT) | instid1(VALU_DEP_1)
	v_xor_b32_e32 v2, v2, v18
	v_sub_co_u32 v17, vcc_lo, v2, v18
	s_wait_alu 0xfffd
	s_delay_alu instid0(VALU_DEP_3)
	v_sub_co_ci_u32_e64 v18, null, v19, v18, vcc_lo
.LBB15_45:                              ;   in Loop: Header=BB15_3 Depth=1
	s_and_not1_saveexec_b32 s0, s81
	s_cbranch_execz .LBB15_47
; %bb.46:                               ;   in Loop: Header=BB15_3 Depth=1
	v_rcp_iflag_f32_e32 v2, v39
	s_sub_co_i32 s74, 0, s62
	s_delay_alu instid0(TRANS32_DEP_1) | instskip(NEXT) | instid1(VALU_DEP_1)
	v_mul_f32_e32 v2, 0x4f7ffffe, v2
	v_cvt_u32_f32_e32 v2, v2
	s_wait_alu 0xfffe
	s_delay_alu instid0(VALU_DEP_1) | instskip(NEXT) | instid1(VALU_DEP_1)
	v_mul_lo_u32 v17, s74, v2
	v_mul_hi_u32 v17, v2, v17
	s_delay_alu instid0(VALU_DEP_1) | instskip(NEXT) | instid1(VALU_DEP_1)
	v_add_nc_u32_e32 v2, v2, v17
	v_mul_hi_u32 v2, v22, v2
	s_delay_alu instid0(VALU_DEP_1) | instskip(SKIP_1) | instid1(VALU_DEP_2)
	v_mul_lo_u32 v17, v2, s62
	v_add_nc_u32_e32 v18, 1, v2
	v_sub_nc_u32_e32 v17, v22, v17
	s_delay_alu instid0(VALU_DEP_1) | instskip(SKIP_2) | instid1(VALU_DEP_2)
	v_subrev_nc_u32_e32 v19, s62, v17
	v_cmp_le_u32_e32 vcc_lo, s62, v17
	s_wait_alu 0xfffd
	v_dual_cndmask_b32 v17, v17, v19 :: v_dual_cndmask_b32 v2, v2, v18
	s_delay_alu instid0(VALU_DEP_1) | instskip(NEXT) | instid1(VALU_DEP_2)
	v_cmp_le_u32_e32 vcc_lo, s62, v17
	v_add_nc_u32_e32 v18, 1, v2
	s_wait_alu 0xfffd
	s_delay_alu instid0(VALU_DEP_1)
	v_dual_cndmask_b32 v17, v2, v18 :: v_dual_mov_b32 v18, v1
.LBB15_47:                              ;   in Loop: Header=BB15_3 Depth=1
	s_wait_alu 0xfffe
	s_or_b32 exec_lo, exec_lo, s0
	v_or_b32_e32 v2, s63, v26
                                        ; implicit-def: $vgpr19_vgpr20
	s_mov_b32 s0, exec_lo
	s_delay_alu instid0(VALU_DEP_1)
	v_cmpx_ne_u64_e32 0, v[1:2]
	s_wait_alu 0xfffe
	s_xor_b32 s81, exec_lo, s0
	s_cbranch_execz .LBB15_49
; %bb.48:                               ;   in Loop: Header=BB15_3 Depth=1
	s_ashr_i32 s74, s63, 31
	v_add_co_u32 v2, vcc_lo, v25, v21
	s_wait_alu 0xfffe
	s_mov_b32 s75, s74
	s_wait_alu 0xfffd
	v_add_co_ci_u32_e64 v19, null, v26, v21, vcc_lo
	s_wait_alu 0xfffe
	s_add_nc_u64 s[76:77], s[62:63], s[74:75]
	v_xor_b32_e32 v2, v2, v21
	s_wait_alu 0xfffe
	s_xor_b64 s[76:77], s[76:77], s[74:75]
	v_xor_b32_e32 v40, v19, v21
	s_wait_alu 0xfffe
	s_cvt_f32_u32 s0, s76
	s_cvt_f32_u32 s75, s77
	s_sub_nc_u64 s[84:85], 0, s[76:77]
	s_wait_alu 0xfffe
	s_delay_alu instid0(SALU_CYCLE_1) | instskip(SKIP_1) | instid1(SALU_CYCLE_2)
	s_fmamk_f32 s0, s75, 0x4f800000, s0
	s_wait_alu 0xfffe
	v_s_rcp_f32 s0, s0
	s_delay_alu instid0(TRANS32_DEP_1) | instskip(SKIP_1) | instid1(SALU_CYCLE_2)
	s_mul_f32 s0, s0, 0x5f7ffffc
	s_wait_alu 0xfffe
	s_mul_f32 s75, s0, 0x2f800000
	s_wait_alu 0xfffe
	s_delay_alu instid0(SALU_CYCLE_2) | instskip(SKIP_1) | instid1(SALU_CYCLE_2)
	s_trunc_f32 s75, s75
	s_wait_alu 0xfffe
	s_fmamk_f32 s0, s75, 0xcf800000, s0
	s_cvt_u32_f32 s83, s75
	s_wait_alu 0xfffe
	s_delay_alu instid0(SALU_CYCLE_1) | instskip(NEXT) | instid1(SALU_CYCLE_3)
	s_cvt_u32_f32 s82, s0
	s_mul_u64 s[86:87], s[84:85], s[82:83]
	s_delay_alu instid0(SALU_CYCLE_1)
	s_mul_hi_u32 s89, s82, s87
	s_mul_i32 s88, s82, s87
	s_mul_hi_u32 s0, s82, s86
	s_mul_i32 s90, s83, s86
	s_wait_alu 0xfffe
	s_add_nc_u64 s[88:89], s[0:1], s[88:89]
	s_mul_hi_u32 s75, s83, s86
	s_mul_hi_u32 s91, s83, s87
	s_add_co_u32 s0, s88, s90
	s_wait_alu 0xfffe
	s_add_co_ci_u32 s0, s89, s75
	s_mul_i32 s86, s83, s87
	s_add_co_ci_u32 s87, s91, 0
	s_wait_alu 0xfffe
	s_add_nc_u64 s[86:87], s[0:1], s[86:87]
	s_delay_alu instid0(SALU_CYCLE_1) | instskip(SKIP_4) | instid1(SALU_CYCLE_1)
	s_add_co_u32 s82, s82, s86
	s_cselect_b32 s0, -1, 0
	s_wait_alu 0xfffe
	s_cmp_lg_u32 s0, 0
	s_add_co_ci_u32 s83, s83, s87
	s_mul_u64 s[84:85], s[84:85], s[82:83]
	s_delay_alu instid0(SALU_CYCLE_1)
	s_mul_hi_u32 s87, s82, s85
	s_mul_i32 s86, s82, s85
	s_mul_hi_u32 s0, s82, s84
	s_mul_i32 s88, s83, s84
	s_wait_alu 0xfffe
	s_add_nc_u64 s[86:87], s[0:1], s[86:87]
	s_mul_hi_u32 s75, s83, s84
	s_mul_hi_u32 s89, s83, s85
	s_add_co_u32 s0, s86, s88
	s_wait_alu 0xfffe
	s_add_co_ci_u32 s0, s87, s75
	s_mul_i32 s84, s83, s85
	s_add_co_ci_u32 s85, s89, 0
	s_wait_alu 0xfffe
	s_add_nc_u64 s[84:85], s[0:1], s[84:85]
	s_delay_alu instid0(SALU_CYCLE_1)
	s_add_co_u32 s0, s82, s84
	s_cselect_b32 s75, -1, 0
	s_wait_alu 0xfffe
	v_mul_hi_u32 v41, v2, s0
	s_cmp_lg_u32 s75, 0
	v_mad_co_u64_u32 v[22:23], null, v40, s0, 0
	s_add_co_ci_u32 s75, s83, s85
	s_wait_alu 0xfffe
	v_mad_co_u64_u32 v[19:20], null, v2, s75, 0
	v_mad_co_u64_u32 v[25:26], null, v40, s75, 0
	s_delay_alu instid0(VALU_DEP_2) | instskip(SKIP_1) | instid1(VALU_DEP_3)
	v_add_co_u32 v19, vcc_lo, v41, v19
	s_wait_alu 0xfffd
	v_add_co_ci_u32_e64 v20, null, 0, v20, vcc_lo
	s_delay_alu instid0(VALU_DEP_2) | instskip(SKIP_1) | instid1(VALU_DEP_2)
	v_add_co_u32 v19, vcc_lo, v19, v22
	s_wait_alu 0xfffd
	v_add_co_ci_u32_e32 v19, vcc_lo, v20, v23, vcc_lo
	s_wait_alu 0xfffd
	v_add_co_ci_u32_e32 v20, vcc_lo, 0, v26, vcc_lo
	s_delay_alu instid0(VALU_DEP_2) | instskip(SKIP_1) | instid1(VALU_DEP_2)
	v_add_co_u32 v22, vcc_lo, v19, v25
	s_wait_alu 0xfffd
	v_add_co_ci_u32_e64 v23, null, 0, v20, vcc_lo
	s_delay_alu instid0(VALU_DEP_2) | instskip(SKIP_1) | instid1(VALU_DEP_3)
	v_mul_lo_u32 v25, s77, v22
	v_mad_co_u64_u32 v[19:20], null, s76, v22, 0
	v_mul_lo_u32 v26, s76, v23
	s_delay_alu instid0(VALU_DEP_2) | instskip(NEXT) | instid1(VALU_DEP_2)
	v_sub_co_u32 v2, vcc_lo, v2, v19
	v_add3_u32 v20, v20, v26, v25
	s_delay_alu instid0(VALU_DEP_1) | instskip(SKIP_2) | instid1(VALU_DEP_2)
	v_sub_nc_u32_e32 v25, v40, v20
	s_wait_alu 0xfffd
	v_sub_co_ci_u32_e64 v20, null, v40, v20, vcc_lo
	v_subrev_co_ci_u32_e64 v19, null, s77, v25, vcc_lo
	v_add_co_u32 v25, s0, v22, 2
	s_wait_alu 0xf1ff
	v_add_co_ci_u32_e64 v26, null, 0, v23, s0
	v_sub_co_u32 v41, s0, v2, s76
	s_wait_alu 0xf1ff
	v_subrev_co_ci_u32_e64 v19, null, 0, v19, s0
	s_delay_alu instid0(VALU_DEP_2) | instskip(SKIP_2) | instid1(VALU_DEP_3)
	v_cmp_le_u32_e32 vcc_lo, s76, v41
	s_wait_alu 0xfffd
	v_cndmask_b32_e64 v40, 0, -1, vcc_lo
	v_cmp_le_u32_e32 vcc_lo, s77, v19
	s_wait_alu 0xfffd
	v_cndmask_b32_e64 v41, 0, -1, vcc_lo
	;; [unrolled: 3-line block ×4, first 2 shown]
	v_cmp_eq_u32_e32 vcc_lo, s77, v19
	s_wait_alu 0xfffd
	v_cndmask_b32_e32 v19, v41, v40, vcc_lo
	v_add_co_u32 v40, vcc_lo, v22, 1
	s_wait_alu 0xfffd
	v_add_co_ci_u32_e64 v41, null, 0, v23, vcc_lo
	v_cmp_eq_u32_e32 vcc_lo, s77, v20
	v_xor_b32_e32 v20, s74, v21
	s_wait_alu 0xfffd
	v_cndmask_b32_e32 v2, v42, v2, vcc_lo
	v_cmp_ne_u32_e32 vcc_lo, 0, v19
	s_delay_alu instid0(VALU_DEP_2) | instskip(SKIP_3) | instid1(VALU_DEP_1)
	v_cmp_ne_u32_e64 s0, 0, v2
	s_wait_alu 0xfffd
	v_dual_cndmask_b32 v19, v41, v26 :: v_dual_cndmask_b32 v2, v40, v25
                                        ; implicit-def: $vgpr25
	s_wait_alu 0xf1ff
	v_cndmask_b32_e64 v19, v23, v19, s0
	s_delay_alu instid0(VALU_DEP_2) | instskip(NEXT) | instid1(VALU_DEP_2)
	v_cndmask_b32_e64 v2, v22, v2, s0
	v_xor_b32_e32 v21, v19, v20
	s_delay_alu instid0(VALU_DEP_2) | instskip(NEXT) | instid1(VALU_DEP_1)
	v_xor_b32_e32 v2, v2, v20
	v_sub_co_u32 v19, vcc_lo, v2, v20
	s_wait_alu 0xfffd
	s_delay_alu instid0(VALU_DEP_3)
	v_sub_co_ci_u32_e64 v20, null, v21, v20, vcc_lo
.LBB15_49:                              ;   in Loop: Header=BB15_3 Depth=1
	s_and_not1_saveexec_b32 s0, s81
	s_cbranch_execz .LBB15_51
; %bb.50:                               ;   in Loop: Header=BB15_3 Depth=1
	v_rcp_iflag_f32_e32 v2, v39
	s_sub_co_i32 s74, 0, s62
	s_delay_alu instid0(TRANS32_DEP_1) | instskip(NEXT) | instid1(VALU_DEP_1)
	v_mul_f32_e32 v2, 0x4f7ffffe, v2
	v_cvt_u32_f32_e32 v2, v2
	s_wait_alu 0xfffe
	s_delay_alu instid0(VALU_DEP_1) | instskip(NEXT) | instid1(VALU_DEP_1)
	v_mul_lo_u32 v19, s74, v2
	v_mul_hi_u32 v19, v2, v19
	s_delay_alu instid0(VALU_DEP_1) | instskip(NEXT) | instid1(VALU_DEP_1)
	v_add_nc_u32_e32 v2, v2, v19
	v_mul_hi_u32 v2, v25, v2
	s_delay_alu instid0(VALU_DEP_1) | instskip(SKIP_1) | instid1(VALU_DEP_2)
	v_mul_lo_u32 v19, v2, s62
	v_add_nc_u32_e32 v20, 1, v2
	v_sub_nc_u32_e32 v19, v25, v19
	s_delay_alu instid0(VALU_DEP_1) | instskip(SKIP_2) | instid1(VALU_DEP_2)
	v_subrev_nc_u32_e32 v21, s62, v19
	v_cmp_le_u32_e32 vcc_lo, s62, v19
	s_wait_alu 0xfffd
	v_dual_cndmask_b32 v19, v19, v21 :: v_dual_cndmask_b32 v2, v2, v20
	s_delay_alu instid0(VALU_DEP_1) | instskip(NEXT) | instid1(VALU_DEP_2)
	v_cmp_le_u32_e32 vcc_lo, s62, v19
	v_add_nc_u32_e32 v20, 1, v2
	s_wait_alu 0xfffd
	s_delay_alu instid0(VALU_DEP_1)
	v_dual_cndmask_b32 v19, v2, v20 :: v_dual_mov_b32 v20, v1
.LBB15_51:                              ;   in Loop: Header=BB15_3 Depth=1
	s_wait_alu 0xfffe
	s_or_b32 exec_lo, exec_lo, s0
	v_or_b32_e32 v2, s63, v36
                                        ; implicit-def: $vgpr21_vgpr22
	s_mov_b32 s0, exec_lo
	s_delay_alu instid0(VALU_DEP_1)
	v_cmpx_ne_u64_e32 0, v[1:2]
	s_wait_alu 0xfffe
	s_xor_b32 s81, exec_lo, s0
	s_cbranch_execz .LBB15_53
; %bb.52:                               ;   in Loop: Header=BB15_3 Depth=1
	s_ashr_i32 s74, s63, 31
	v_add_co_u32 v2, vcc_lo, v35, v24
	s_wait_alu 0xfffe
	s_mov_b32 s75, s74
	s_wait_alu 0xfffd
	v_add_co_ci_u32_e64 v21, null, v36, v24, vcc_lo
	s_wait_alu 0xfffe
	s_add_nc_u64 s[76:77], s[62:63], s[74:75]
	v_xor_b32_e32 v2, v2, v24
	s_wait_alu 0xfffe
	s_xor_b64 s[76:77], s[76:77], s[74:75]
	v_xor_b32_e32 v23, v21, v24
	s_wait_alu 0xfffe
	s_cvt_f32_u32 s0, s76
	s_cvt_f32_u32 s75, s77
	s_sub_nc_u64 s[84:85], 0, s[76:77]
	s_wait_alu 0xfffe
	s_delay_alu instid0(SALU_CYCLE_1) | instskip(SKIP_1) | instid1(SALU_CYCLE_2)
	s_fmamk_f32 s0, s75, 0x4f800000, s0
	s_wait_alu 0xfffe
	v_s_rcp_f32 s0, s0
	s_delay_alu instid0(TRANS32_DEP_1) | instskip(SKIP_1) | instid1(SALU_CYCLE_2)
	s_mul_f32 s0, s0, 0x5f7ffffc
	s_wait_alu 0xfffe
	s_mul_f32 s75, s0, 0x2f800000
	s_wait_alu 0xfffe
	s_delay_alu instid0(SALU_CYCLE_2) | instskip(SKIP_1) | instid1(SALU_CYCLE_2)
	s_trunc_f32 s75, s75
	s_wait_alu 0xfffe
	s_fmamk_f32 s0, s75, 0xcf800000, s0
	s_cvt_u32_f32 s83, s75
	s_wait_alu 0xfffe
	s_delay_alu instid0(SALU_CYCLE_1) | instskip(NEXT) | instid1(SALU_CYCLE_3)
	s_cvt_u32_f32 s82, s0
	s_mul_u64 s[86:87], s[84:85], s[82:83]
	s_delay_alu instid0(SALU_CYCLE_1)
	s_mul_hi_u32 s89, s82, s87
	s_mul_i32 s88, s82, s87
	s_mul_hi_u32 s0, s82, s86
	s_mul_i32 s90, s83, s86
	s_wait_alu 0xfffe
	s_add_nc_u64 s[88:89], s[0:1], s[88:89]
	s_mul_hi_u32 s75, s83, s86
	s_mul_hi_u32 s91, s83, s87
	s_add_co_u32 s0, s88, s90
	s_wait_alu 0xfffe
	s_add_co_ci_u32 s0, s89, s75
	s_mul_i32 s86, s83, s87
	s_add_co_ci_u32 s87, s91, 0
	s_wait_alu 0xfffe
	s_add_nc_u64 s[86:87], s[0:1], s[86:87]
	s_delay_alu instid0(SALU_CYCLE_1) | instskip(SKIP_4) | instid1(SALU_CYCLE_1)
	s_add_co_u32 s82, s82, s86
	s_cselect_b32 s0, -1, 0
	s_wait_alu 0xfffe
	s_cmp_lg_u32 s0, 0
	s_add_co_ci_u32 s83, s83, s87
	s_mul_u64 s[84:85], s[84:85], s[82:83]
	s_delay_alu instid0(SALU_CYCLE_1)
	s_mul_hi_u32 s87, s82, s85
	s_mul_i32 s86, s82, s85
	s_mul_hi_u32 s0, s82, s84
	s_mul_i32 s88, s83, s84
	s_wait_alu 0xfffe
	s_add_nc_u64 s[86:87], s[0:1], s[86:87]
	s_mul_hi_u32 s75, s83, s84
	s_mul_hi_u32 s89, s83, s85
	s_add_co_u32 s0, s86, s88
	s_wait_alu 0xfffe
	s_add_co_ci_u32 s0, s87, s75
	s_mul_i32 s84, s83, s85
	s_add_co_ci_u32 s85, s89, 0
	s_wait_alu 0xfffe
	s_add_nc_u64 s[84:85], s[0:1], s[84:85]
	s_delay_alu instid0(SALU_CYCLE_1)
	s_add_co_u32 s0, s82, s84
	s_cselect_b32 s75, -1, 0
	s_wait_alu 0xfffe
	v_mul_hi_u32 v39, v2, s0
	s_cmp_lg_u32 s75, 0
	v_mad_co_u64_u32 v[25:26], null, v23, s0, 0
	s_add_co_ci_u32 s75, s83, s85
	s_wait_alu 0xfffe
	v_mad_co_u64_u32 v[21:22], null, v2, s75, 0
	v_mad_co_u64_u32 v[35:36], null, v23, s75, 0
	s_delay_alu instid0(VALU_DEP_2) | instskip(SKIP_1) | instid1(VALU_DEP_3)
	v_add_co_u32 v21, vcc_lo, v39, v21
	s_wait_alu 0xfffd
	v_add_co_ci_u32_e64 v22, null, 0, v22, vcc_lo
	s_delay_alu instid0(VALU_DEP_2) | instskip(SKIP_1) | instid1(VALU_DEP_2)
	v_add_co_u32 v21, vcc_lo, v21, v25
	s_wait_alu 0xfffd
	v_add_co_ci_u32_e32 v21, vcc_lo, v22, v26, vcc_lo
	s_wait_alu 0xfffd
	v_add_co_ci_u32_e32 v22, vcc_lo, 0, v36, vcc_lo
	s_delay_alu instid0(VALU_DEP_2) | instskip(SKIP_1) | instid1(VALU_DEP_2)
	v_add_co_u32 v25, vcc_lo, v21, v35
	s_wait_alu 0xfffd
	v_add_co_ci_u32_e64 v26, null, 0, v22, vcc_lo
	s_delay_alu instid0(VALU_DEP_2) | instskip(SKIP_1) | instid1(VALU_DEP_3)
	v_mul_lo_u32 v35, s77, v25
	v_mad_co_u64_u32 v[21:22], null, s76, v25, 0
	v_mul_lo_u32 v36, s76, v26
	s_delay_alu instid0(VALU_DEP_2) | instskip(NEXT) | instid1(VALU_DEP_2)
	v_sub_co_u32 v2, vcc_lo, v2, v21
	v_add3_u32 v22, v22, v36, v35
	s_delay_alu instid0(VALU_DEP_1) | instskip(SKIP_2) | instid1(VALU_DEP_2)
	v_sub_nc_u32_e32 v35, v23, v22
	s_wait_alu 0xfffd
	v_sub_co_ci_u32_e64 v22, null, v23, v22, vcc_lo
	v_subrev_co_ci_u32_e64 v21, null, s77, v35, vcc_lo
	v_add_co_u32 v35, s0, v25, 2
	s_wait_alu 0xf1ff
	v_add_co_ci_u32_e64 v36, null, 0, v26, s0
	v_sub_co_u32 v39, s0, v2, s76
	s_wait_alu 0xf1ff
	v_subrev_co_ci_u32_e64 v21, null, 0, v21, s0
	s_delay_alu instid0(VALU_DEP_2) | instskip(SKIP_2) | instid1(VALU_DEP_3)
	v_cmp_le_u32_e32 vcc_lo, s76, v39
	s_wait_alu 0xfffd
	v_cndmask_b32_e64 v23, 0, -1, vcc_lo
	v_cmp_le_u32_e32 vcc_lo, s77, v21
	s_wait_alu 0xfffd
	v_cndmask_b32_e64 v39, 0, -1, vcc_lo
	;; [unrolled: 3-line block ×4, first 2 shown]
	v_cmp_eq_u32_e32 vcc_lo, s77, v21
	s_wait_alu 0xfffd
	v_cndmask_b32_e32 v21, v39, v23, vcc_lo
	v_add_co_u32 v23, vcc_lo, v25, 1
	s_wait_alu 0xfffd
	v_add_co_ci_u32_e64 v39, null, 0, v26, vcc_lo
	v_cmp_eq_u32_e32 vcc_lo, s77, v22
	v_xor_b32_e32 v22, s74, v24
	s_wait_alu 0xfffd
	v_cndmask_b32_e32 v2, v40, v2, vcc_lo
	v_cmp_ne_u32_e32 vcc_lo, 0, v21
	s_delay_alu instid0(VALU_DEP_2) | instskip(SKIP_4) | instid1(VALU_DEP_2)
	v_cmp_ne_u32_e64 s0, 0, v2
	s_wait_alu 0xfffd
	v_cndmask_b32_e32 v2, v23, v35, vcc_lo
	v_cndmask_b32_e32 v21, v39, v36, vcc_lo
                                        ; implicit-def: $vgpr39
                                        ; implicit-def: $vgpr35
	s_wait_alu 0xf1ff
	v_cndmask_b32_e64 v2, v25, v2, s0
	s_delay_alu instid0(VALU_DEP_2) | instskip(NEXT) | instid1(VALU_DEP_2)
	v_cndmask_b32_e64 v21, v26, v21, s0
	v_xor_b32_e32 v2, v2, v22
	s_delay_alu instid0(VALU_DEP_2) | instskip(NEXT) | instid1(VALU_DEP_2)
	v_xor_b32_e32 v23, v21, v22
	v_sub_co_u32 v21, vcc_lo, v2, v22
	s_wait_alu 0xfffd
	s_delay_alu instid0(VALU_DEP_2)
	v_sub_co_ci_u32_e64 v22, null, v23, v22, vcc_lo
.LBB15_53:                              ;   in Loop: Header=BB15_3 Depth=1
	s_and_not1_saveexec_b32 s0, s81
	s_cbranch_execz .LBB15_55
; %bb.54:                               ;   in Loop: Header=BB15_3 Depth=1
	v_rcp_iflag_f32_e32 v2, v39
	s_sub_co_i32 s74, 0, s62
	s_delay_alu instid0(TRANS32_DEP_1) | instskip(NEXT) | instid1(VALU_DEP_1)
	v_mul_f32_e32 v2, 0x4f7ffffe, v2
	v_cvt_u32_f32_e32 v2, v2
	s_wait_alu 0xfffe
	s_delay_alu instid0(VALU_DEP_1) | instskip(NEXT) | instid1(VALU_DEP_1)
	v_mul_lo_u32 v21, s74, v2
	v_mul_hi_u32 v21, v2, v21
	s_delay_alu instid0(VALU_DEP_1) | instskip(NEXT) | instid1(VALU_DEP_1)
	v_add_nc_u32_e32 v2, v2, v21
	v_mul_hi_u32 v2, v35, v2
	s_delay_alu instid0(VALU_DEP_1) | instskip(SKIP_1) | instid1(VALU_DEP_2)
	v_mul_lo_u32 v21, v2, s62
	v_add_nc_u32_e32 v22, 1, v2
	v_sub_nc_u32_e32 v21, v35, v21
	s_delay_alu instid0(VALU_DEP_1) | instskip(SKIP_2) | instid1(VALU_DEP_2)
	v_subrev_nc_u32_e32 v23, s62, v21
	v_cmp_le_u32_e32 vcc_lo, s62, v21
	s_wait_alu 0xfffd
	v_dual_cndmask_b32 v21, v21, v23 :: v_dual_cndmask_b32 v2, v2, v22
	s_delay_alu instid0(VALU_DEP_1) | instskip(NEXT) | instid1(VALU_DEP_2)
	v_cmp_le_u32_e32 vcc_lo, s62, v21
	v_add_nc_u32_e32 v22, 1, v2
	s_wait_alu 0xfffd
	s_delay_alu instid0(VALU_DEP_1)
	v_dual_cndmask_b32 v21, v2, v22 :: v_dual_mov_b32 v22, v1
.LBB15_55:                              ;   in Loop: Header=BB15_3 Depth=1
	s_wait_alu 0xfffe
	s_or_b32 exec_lo, exec_lo, s0
	v_or_b32_e32 v2, s51, v4
                                        ; implicit-def: $vgpr23_vgpr24
	s_mov_b32 s0, exec_lo
	s_delay_alu instid0(VALU_DEP_1)
	v_cmpx_ne_u64_e32 0, v[1:2]
	s_wait_alu 0xfffe
	s_xor_b32 s81, exec_lo, s0
	s_cbranch_execz .LBB15_57
; %bb.56:                               ;   in Loop: Header=BB15_3 Depth=1
	s_ashr_i32 s74, s51, 31
	v_add_co_u32 v2, vcc_lo, v3, v28
	s_wait_alu 0xfffe
	s_mov_b32 s75, s74
	s_wait_alu 0xfffd
	v_add_co_ci_u32_e64 v23, null, v4, v28, vcc_lo
	s_wait_alu 0xfffe
	s_add_nc_u64 s[76:77], s[50:51], s[74:75]
	v_xor_b32_e32 v2, v2, v28
	s_wait_alu 0xfffe
	s_xor_b64 s[76:77], s[76:77], s[74:75]
	v_xor_b32_e32 v39, v23, v28
	s_wait_alu 0xfffe
	s_cvt_f32_u32 s0, s76
	s_cvt_f32_u32 s75, s77
	s_sub_nc_u64 s[84:85], 0, s[76:77]
	s_wait_alu 0xfffe
	s_delay_alu instid0(SALU_CYCLE_1) | instskip(SKIP_1) | instid1(SALU_CYCLE_2)
	s_fmamk_f32 s0, s75, 0x4f800000, s0
	s_wait_alu 0xfffe
	v_s_rcp_f32 s0, s0
	s_delay_alu instid0(TRANS32_DEP_1) | instskip(SKIP_1) | instid1(SALU_CYCLE_2)
	s_mul_f32 s0, s0, 0x5f7ffffc
	s_wait_alu 0xfffe
	s_mul_f32 s75, s0, 0x2f800000
	s_wait_alu 0xfffe
	s_delay_alu instid0(SALU_CYCLE_2) | instskip(SKIP_1) | instid1(SALU_CYCLE_2)
	s_trunc_f32 s75, s75
	s_wait_alu 0xfffe
	s_fmamk_f32 s0, s75, 0xcf800000, s0
	s_cvt_u32_f32 s83, s75
	s_wait_alu 0xfffe
	s_delay_alu instid0(SALU_CYCLE_1) | instskip(NEXT) | instid1(SALU_CYCLE_3)
	s_cvt_u32_f32 s82, s0
	s_mul_u64 s[86:87], s[84:85], s[82:83]
	s_delay_alu instid0(SALU_CYCLE_1)
	s_mul_hi_u32 s89, s82, s87
	s_mul_i32 s88, s82, s87
	s_mul_hi_u32 s0, s82, s86
	s_mul_i32 s90, s83, s86
	s_wait_alu 0xfffe
	s_add_nc_u64 s[88:89], s[0:1], s[88:89]
	s_mul_hi_u32 s75, s83, s86
	s_mul_hi_u32 s91, s83, s87
	s_add_co_u32 s0, s88, s90
	s_wait_alu 0xfffe
	s_add_co_ci_u32 s0, s89, s75
	s_mul_i32 s86, s83, s87
	s_add_co_ci_u32 s87, s91, 0
	s_wait_alu 0xfffe
	s_add_nc_u64 s[86:87], s[0:1], s[86:87]
	s_delay_alu instid0(SALU_CYCLE_1) | instskip(SKIP_4) | instid1(SALU_CYCLE_1)
	s_add_co_u32 s82, s82, s86
	s_cselect_b32 s0, -1, 0
	s_wait_alu 0xfffe
	s_cmp_lg_u32 s0, 0
	s_add_co_ci_u32 s83, s83, s87
	s_mul_u64 s[84:85], s[84:85], s[82:83]
	s_delay_alu instid0(SALU_CYCLE_1)
	s_mul_hi_u32 s87, s82, s85
	s_mul_i32 s86, s82, s85
	s_mul_hi_u32 s0, s82, s84
	s_mul_i32 s88, s83, s84
	s_wait_alu 0xfffe
	s_add_nc_u64 s[86:87], s[0:1], s[86:87]
	s_mul_hi_u32 s75, s83, s84
	s_mul_hi_u32 s89, s83, s85
	s_add_co_u32 s0, s86, s88
	s_wait_alu 0xfffe
	s_add_co_ci_u32 s0, s87, s75
	s_mul_i32 s84, s83, s85
	s_add_co_ci_u32 s85, s89, 0
	s_wait_alu 0xfffe
	s_add_nc_u64 s[84:85], s[0:1], s[84:85]
	s_delay_alu instid0(SALU_CYCLE_1)
	s_add_co_u32 s0, s82, s84
	s_cselect_b32 s75, -1, 0
	s_wait_alu 0xfffe
	v_mul_hi_u32 v40, v2, s0
	s_cmp_lg_u32 s75, 0
	v_mad_co_u64_u32 v[25:26], null, v39, s0, 0
	s_add_co_ci_u32 s75, s83, s85
	s_wait_alu 0xfffe
	v_mad_co_u64_u32 v[23:24], null, v2, s75, 0
	v_mad_co_u64_u32 v[35:36], null, v39, s75, 0
	s_delay_alu instid0(VALU_DEP_2) | instskip(SKIP_1) | instid1(VALU_DEP_3)
	v_add_co_u32 v23, vcc_lo, v40, v23
	s_wait_alu 0xfffd
	v_add_co_ci_u32_e64 v24, null, 0, v24, vcc_lo
	s_delay_alu instid0(VALU_DEP_2) | instskip(SKIP_1) | instid1(VALU_DEP_2)
	v_add_co_u32 v23, vcc_lo, v23, v25
	s_wait_alu 0xfffd
	v_add_co_ci_u32_e32 v23, vcc_lo, v24, v26, vcc_lo
	s_wait_alu 0xfffd
	v_add_co_ci_u32_e32 v24, vcc_lo, 0, v36, vcc_lo
	s_delay_alu instid0(VALU_DEP_2) | instskip(SKIP_1) | instid1(VALU_DEP_2)
	v_add_co_u32 v25, vcc_lo, v23, v35
	s_wait_alu 0xfffd
	v_add_co_ci_u32_e64 v26, null, 0, v24, vcc_lo
	s_delay_alu instid0(VALU_DEP_2) | instskip(SKIP_1) | instid1(VALU_DEP_3)
	v_mul_lo_u32 v35, s77, v25
	v_mad_co_u64_u32 v[23:24], null, s76, v25, 0
	v_mul_lo_u32 v36, s76, v26
	s_delay_alu instid0(VALU_DEP_2) | instskip(NEXT) | instid1(VALU_DEP_2)
	v_sub_co_u32 v2, vcc_lo, v2, v23
	v_add3_u32 v24, v24, v36, v35
	s_delay_alu instid0(VALU_DEP_1) | instskip(SKIP_2) | instid1(VALU_DEP_2)
	v_sub_nc_u32_e32 v35, v39, v24
	s_wait_alu 0xfffd
	v_sub_co_ci_u32_e64 v24, null, v39, v24, vcc_lo
	v_subrev_co_ci_u32_e64 v23, null, s77, v35, vcc_lo
	v_add_co_u32 v35, s0, v25, 2
	s_wait_alu 0xf1ff
	v_add_co_ci_u32_e64 v36, null, 0, v26, s0
	v_sub_co_u32 v40, s0, v2, s76
	s_wait_alu 0xf1ff
	v_subrev_co_ci_u32_e64 v23, null, 0, v23, s0
	s_delay_alu instid0(VALU_DEP_2) | instskip(SKIP_2) | instid1(VALU_DEP_3)
	v_cmp_le_u32_e32 vcc_lo, s76, v40
	s_wait_alu 0xfffd
	v_cndmask_b32_e64 v39, 0, -1, vcc_lo
	v_cmp_le_u32_e32 vcc_lo, s77, v23
	s_wait_alu 0xfffd
	v_cndmask_b32_e64 v40, 0, -1, vcc_lo
	;; [unrolled: 3-line block ×4, first 2 shown]
	v_cmp_eq_u32_e32 vcc_lo, s77, v23
	s_wait_alu 0xfffd
	v_cndmask_b32_e32 v23, v40, v39, vcc_lo
	v_add_co_u32 v39, vcc_lo, v25, 1
	s_wait_alu 0xfffd
	v_add_co_ci_u32_e64 v40, null, 0, v26, vcc_lo
	v_cmp_eq_u32_e32 vcc_lo, s77, v24
	v_xor_b32_e32 v24, s74, v28
	s_wait_alu 0xfffd
	v_cndmask_b32_e32 v2, v41, v2, vcc_lo
	v_cmp_ne_u32_e32 vcc_lo, 0, v23
	s_delay_alu instid0(VALU_DEP_2) | instskip(SKIP_3) | instid1(VALU_DEP_1)
	v_cmp_ne_u32_e64 s0, 0, v2
	s_wait_alu 0xfffd
	v_dual_cndmask_b32 v23, v40, v36 :: v_dual_cndmask_b32 v2, v39, v35
	s_wait_alu 0xf1ff
	v_cndmask_b32_e64 v23, v26, v23, s0
	s_delay_alu instid0(VALU_DEP_2) | instskip(NEXT) | instid1(VALU_DEP_2)
	v_cndmask_b32_e64 v2, v25, v2, s0
	v_xor_b32_e32 v25, v23, v24
	s_delay_alu instid0(VALU_DEP_2) | instskip(NEXT) | instid1(VALU_DEP_1)
	v_xor_b32_e32 v2, v2, v24
	v_sub_co_u32 v23, vcc_lo, v2, v24
	s_wait_alu 0xfffd
	s_delay_alu instid0(VALU_DEP_3)
	v_sub_co_ci_u32_e64 v24, null, v25, v24, vcc_lo
.LBB15_57:                              ;   in Loop: Header=BB15_3 Depth=1
	s_and_not1_saveexec_b32 s0, s81
	s_cbranch_execz .LBB15_59
; %bb.58:                               ;   in Loop: Header=BB15_3 Depth=1
	v_cvt_f32_u32_e32 v2, s50
	s_sub_co_i32 s74, 0, s50
	s_delay_alu instid0(VALU_DEP_1) | instskip(NEXT) | instid1(TRANS32_DEP_1)
	v_rcp_iflag_f32_e32 v2, v2
	v_mul_f32_e32 v2, 0x4f7ffffe, v2
	s_delay_alu instid0(VALU_DEP_1) | instskip(SKIP_1) | instid1(VALU_DEP_1)
	v_cvt_u32_f32_e32 v2, v2
	s_wait_alu 0xfffe
	v_mul_lo_u32 v23, s74, v2
	s_delay_alu instid0(VALU_DEP_1) | instskip(NEXT) | instid1(VALU_DEP_1)
	v_mul_hi_u32 v23, v2, v23
	v_add_nc_u32_e32 v2, v2, v23
	s_delay_alu instid0(VALU_DEP_1) | instskip(NEXT) | instid1(VALU_DEP_1)
	v_mul_hi_u32 v2, v3, v2
	v_mul_lo_u32 v23, v2, s50
	v_add_nc_u32_e32 v24, 1, v2
	s_delay_alu instid0(VALU_DEP_2) | instskip(NEXT) | instid1(VALU_DEP_1)
	v_sub_nc_u32_e32 v23, v3, v23
	v_subrev_nc_u32_e32 v25, s50, v23
	v_cmp_le_u32_e32 vcc_lo, s50, v23
	s_wait_alu 0xfffd
	s_delay_alu instid0(VALU_DEP_2) | instskip(NEXT) | instid1(VALU_DEP_1)
	v_dual_cndmask_b32 v23, v23, v25 :: v_dual_cndmask_b32 v2, v2, v24
	v_cmp_le_u32_e32 vcc_lo, s50, v23
	s_delay_alu instid0(VALU_DEP_2) | instskip(SKIP_1) | instid1(VALU_DEP_1)
	v_add_nc_u32_e32 v24, 1, v2
	s_wait_alu 0xfffd
	v_dual_cndmask_b32 v23, v2, v24 :: v_dual_mov_b32 v24, v1
.LBB15_59:                              ;   in Loop: Header=BB15_3 Depth=1
	s_wait_alu 0xfffe
	s_or_b32 exec_lo, exec_lo, s0
	s_delay_alu instid0(VALU_DEP_1) | instskip(NEXT) | instid1(VALU_DEP_2)
	v_mad_co_u64_u32 v[25:26], null, s68, v23, v[3:4]
	v_mul_lo_u32 v2, s68, v24
	v_mul_lo_u32 v35, s69, v23
	;; [unrolled: 1-line block ×4, first 2 shown]
	v_mad_co_u64_u32 v[23:24], null, v23, s16, 0
	s_mov_b32 s0, exec_lo
	v_add3_u32 v2, v35, v26, v2
	v_mul_lo_u32 v35, v25, s19
	v_mad_co_u64_u32 v[25:26], null, v25, s18, 0
	v_add3_u32 v24, v24, v39, v36
	s_delay_alu instid0(VALU_DEP_4) | instskip(NEXT) | instid1(VALU_DEP_2)
	v_mul_lo_u32 v2, v2, s18
	v_lshlrev_b64_e32 v[23:24], 1, v[23:24]
	s_delay_alu instid0(VALU_DEP_2) | instskip(NEXT) | instid1(VALU_DEP_2)
	v_add3_u32 v26, v26, v35, v2
	v_add_co_u32 v2, vcc_lo, s48, v23
	s_wait_alu 0xfffd
	s_delay_alu instid0(VALU_DEP_3) | instskip(NEXT) | instid1(VALU_DEP_3)
	v_add_co_ci_u32_e64 v24, null, s49, v24, vcc_lo
	v_lshlrev_b64_e32 v[25:26], 1, v[25:26]
	s_delay_alu instid0(VALU_DEP_1) | instskip(SKIP_1) | instid1(VALU_DEP_2)
	v_add_co_u32 v23, vcc_lo, v2, v25
	s_wait_alu 0xfffd
	v_add_co_ci_u32_e64 v24, null, v24, v26, vcc_lo
	v_or_b32_e32 v2, s55, v4
	global_load_u16 v35, v[23:24], off
                                        ; implicit-def: $vgpr23_vgpr24
	v_cmpx_ne_u64_e32 0, v[1:2]
	s_wait_alu 0xfffe
	s_xor_b32 s81, exec_lo, s0
	s_cbranch_execz .LBB15_61
; %bb.60:                               ;   in Loop: Header=BB15_3 Depth=1
	s_ashr_i32 s74, s55, 31
	v_add_co_u32 v2, vcc_lo, v3, v28
	s_wait_alu 0xfffe
	s_mov_b32 s75, s74
	s_wait_alu 0xfffd
	v_add_co_ci_u32_e64 v23, null, v4, v28, vcc_lo
	s_wait_alu 0xfffe
	s_add_nc_u64 s[76:77], s[54:55], s[74:75]
	v_xor_b32_e32 v2, v2, v28
	s_wait_alu 0xfffe
	s_xor_b64 s[76:77], s[76:77], s[74:75]
	v_xor_b32_e32 v36, v23, v28
	s_wait_alu 0xfffe
	s_cvt_f32_u32 s0, s76
	s_cvt_f32_u32 s75, s77
	s_sub_nc_u64 s[84:85], 0, s[76:77]
	s_wait_alu 0xfffe
	s_delay_alu instid0(SALU_CYCLE_1) | instskip(SKIP_1) | instid1(SALU_CYCLE_2)
	s_fmamk_f32 s0, s75, 0x4f800000, s0
	s_wait_alu 0xfffe
	v_s_rcp_f32 s0, s0
	s_delay_alu instid0(TRANS32_DEP_1) | instskip(SKIP_1) | instid1(SALU_CYCLE_2)
	s_mul_f32 s0, s0, 0x5f7ffffc
	s_wait_alu 0xfffe
	s_mul_f32 s75, s0, 0x2f800000
	s_wait_alu 0xfffe
	s_delay_alu instid0(SALU_CYCLE_2) | instskip(SKIP_1) | instid1(SALU_CYCLE_2)
	s_trunc_f32 s75, s75
	s_wait_alu 0xfffe
	s_fmamk_f32 s0, s75, 0xcf800000, s0
	s_cvt_u32_f32 s83, s75
	s_wait_alu 0xfffe
	s_delay_alu instid0(SALU_CYCLE_1) | instskip(NEXT) | instid1(SALU_CYCLE_3)
	s_cvt_u32_f32 s82, s0
	s_mul_u64 s[86:87], s[84:85], s[82:83]
	s_delay_alu instid0(SALU_CYCLE_1)
	s_mul_hi_u32 s89, s82, s87
	s_mul_i32 s88, s82, s87
	s_mul_hi_u32 s0, s82, s86
	s_mul_i32 s90, s83, s86
	s_wait_alu 0xfffe
	s_add_nc_u64 s[88:89], s[0:1], s[88:89]
	s_mul_hi_u32 s75, s83, s86
	s_mul_hi_u32 s91, s83, s87
	s_add_co_u32 s0, s88, s90
	s_wait_alu 0xfffe
	s_add_co_ci_u32 s0, s89, s75
	s_mul_i32 s86, s83, s87
	s_add_co_ci_u32 s87, s91, 0
	s_wait_alu 0xfffe
	s_add_nc_u64 s[86:87], s[0:1], s[86:87]
	s_delay_alu instid0(SALU_CYCLE_1) | instskip(SKIP_4) | instid1(SALU_CYCLE_1)
	s_add_co_u32 s82, s82, s86
	s_cselect_b32 s0, -1, 0
	s_wait_alu 0xfffe
	s_cmp_lg_u32 s0, 0
	s_add_co_ci_u32 s83, s83, s87
	s_mul_u64 s[84:85], s[84:85], s[82:83]
	s_delay_alu instid0(SALU_CYCLE_1)
	s_mul_hi_u32 s87, s82, s85
	s_mul_i32 s86, s82, s85
	s_mul_hi_u32 s0, s82, s84
	s_mul_i32 s88, s83, s84
	s_wait_alu 0xfffe
	s_add_nc_u64 s[86:87], s[0:1], s[86:87]
	s_mul_hi_u32 s75, s83, s84
	s_mul_hi_u32 s89, s83, s85
	s_add_co_u32 s0, s86, s88
	s_wait_alu 0xfffe
	s_add_co_ci_u32 s0, s87, s75
	s_mul_i32 s84, s83, s85
	s_add_co_ci_u32 s85, s89, 0
	s_wait_alu 0xfffe
	s_add_nc_u64 s[84:85], s[0:1], s[84:85]
	s_delay_alu instid0(SALU_CYCLE_1)
	s_add_co_u32 s0, s82, s84
	s_cselect_b32 s75, -1, 0
	s_wait_alu 0xfffe
	v_mul_hi_u32 v41, v2, s0
	s_cmp_lg_u32 s75, 0
	v_mad_co_u64_u32 v[25:26], null, v36, s0, 0
	s_add_co_ci_u32 s75, s83, s85
	s_wait_alu 0xfffe
	v_mad_co_u64_u32 v[23:24], null, v2, s75, 0
	v_mad_co_u64_u32 v[39:40], null, v36, s75, 0
	s_delay_alu instid0(VALU_DEP_2) | instskip(SKIP_1) | instid1(VALU_DEP_3)
	v_add_co_u32 v23, vcc_lo, v41, v23
	s_wait_alu 0xfffd
	v_add_co_ci_u32_e64 v24, null, 0, v24, vcc_lo
	s_delay_alu instid0(VALU_DEP_2) | instskip(SKIP_1) | instid1(VALU_DEP_2)
	v_add_co_u32 v23, vcc_lo, v23, v25
	s_wait_alu 0xfffd
	v_add_co_ci_u32_e32 v23, vcc_lo, v24, v26, vcc_lo
	s_wait_alu 0xfffd
	v_add_co_ci_u32_e32 v24, vcc_lo, 0, v40, vcc_lo
	s_delay_alu instid0(VALU_DEP_2) | instskip(SKIP_1) | instid1(VALU_DEP_2)
	v_add_co_u32 v25, vcc_lo, v23, v39
	s_wait_alu 0xfffd
	v_add_co_ci_u32_e64 v26, null, 0, v24, vcc_lo
	s_delay_alu instid0(VALU_DEP_2) | instskip(SKIP_1) | instid1(VALU_DEP_3)
	v_mul_lo_u32 v39, s77, v25
	v_mad_co_u64_u32 v[23:24], null, s76, v25, 0
	v_mul_lo_u32 v40, s76, v26
	s_delay_alu instid0(VALU_DEP_2) | instskip(NEXT) | instid1(VALU_DEP_2)
	v_sub_co_u32 v2, vcc_lo, v2, v23
	v_add3_u32 v24, v24, v40, v39
	s_delay_alu instid0(VALU_DEP_1) | instskip(SKIP_2) | instid1(VALU_DEP_2)
	v_sub_nc_u32_e32 v39, v36, v24
	s_wait_alu 0xfffd
	v_sub_co_ci_u32_e64 v24, null, v36, v24, vcc_lo
	v_subrev_co_ci_u32_e64 v23, null, s77, v39, vcc_lo
	v_add_co_u32 v39, s0, v25, 2
	s_wait_alu 0xf1ff
	v_add_co_ci_u32_e64 v40, null, 0, v26, s0
	v_sub_co_u32 v41, s0, v2, s76
	s_wait_alu 0xf1ff
	v_subrev_co_ci_u32_e64 v23, null, 0, v23, s0
	s_delay_alu instid0(VALU_DEP_2) | instskip(SKIP_2) | instid1(VALU_DEP_3)
	v_cmp_le_u32_e32 vcc_lo, s76, v41
	s_wait_alu 0xfffd
	v_cndmask_b32_e64 v36, 0, -1, vcc_lo
	v_cmp_le_u32_e32 vcc_lo, s77, v23
	s_wait_alu 0xfffd
	v_cndmask_b32_e64 v41, 0, -1, vcc_lo
	;; [unrolled: 3-line block ×4, first 2 shown]
	v_cmp_eq_u32_e32 vcc_lo, s77, v23
	s_wait_alu 0xfffd
	v_cndmask_b32_e32 v23, v41, v36, vcc_lo
	v_add_co_u32 v36, vcc_lo, v25, 1
	s_wait_alu 0xfffd
	v_add_co_ci_u32_e64 v41, null, 0, v26, vcc_lo
	v_cmp_eq_u32_e32 vcc_lo, s77, v24
	v_xor_b32_e32 v24, s74, v28
	s_wait_alu 0xfffd
	v_cndmask_b32_e32 v2, v42, v2, vcc_lo
	v_cmp_ne_u32_e32 vcc_lo, 0, v23
	s_delay_alu instid0(VALU_DEP_2) | instskip(SKIP_3) | instid1(VALU_DEP_1)
	v_cmp_ne_u32_e64 s0, 0, v2
	s_wait_alu 0xfffd
	v_dual_cndmask_b32 v23, v41, v40 :: v_dual_cndmask_b32 v2, v36, v39
	s_wait_alu 0xf1ff
	v_cndmask_b32_e64 v23, v26, v23, s0
	s_delay_alu instid0(VALU_DEP_2) | instskip(NEXT) | instid1(VALU_DEP_2)
	v_cndmask_b32_e64 v2, v25, v2, s0
	v_xor_b32_e32 v25, v23, v24
	s_delay_alu instid0(VALU_DEP_2) | instskip(NEXT) | instid1(VALU_DEP_1)
	v_xor_b32_e32 v2, v2, v24
	v_sub_co_u32 v23, vcc_lo, v2, v24
	s_wait_alu 0xfffd
	s_delay_alu instid0(VALU_DEP_3)
	v_sub_co_ci_u32_e64 v24, null, v25, v24, vcc_lo
.LBB15_61:                              ;   in Loop: Header=BB15_3 Depth=1
	s_and_not1_saveexec_b32 s0, s81
	s_cbranch_execz .LBB15_63
; %bb.62:                               ;   in Loop: Header=BB15_3 Depth=1
	v_cvt_f32_u32_e32 v2, s54
	s_sub_co_i32 s74, 0, s54
	s_delay_alu instid0(VALU_DEP_1) | instskip(NEXT) | instid1(TRANS32_DEP_1)
	v_rcp_iflag_f32_e32 v2, v2
	v_mul_f32_e32 v2, 0x4f7ffffe, v2
	s_delay_alu instid0(VALU_DEP_1) | instskip(SKIP_1) | instid1(VALU_DEP_1)
	v_cvt_u32_f32_e32 v2, v2
	s_wait_alu 0xfffe
	v_mul_lo_u32 v23, s74, v2
	s_delay_alu instid0(VALU_DEP_1) | instskip(NEXT) | instid1(VALU_DEP_1)
	v_mul_hi_u32 v23, v2, v23
	v_add_nc_u32_e32 v2, v2, v23
	s_delay_alu instid0(VALU_DEP_1) | instskip(NEXT) | instid1(VALU_DEP_1)
	v_mul_hi_u32 v2, v3, v2
	v_mul_lo_u32 v23, v2, s54
	v_add_nc_u32_e32 v24, 1, v2
	s_delay_alu instid0(VALU_DEP_2) | instskip(NEXT) | instid1(VALU_DEP_1)
	v_sub_nc_u32_e32 v23, v3, v23
	v_subrev_nc_u32_e32 v25, s54, v23
	v_cmp_le_u32_e32 vcc_lo, s54, v23
	s_wait_alu 0xfffd
	s_delay_alu instid0(VALU_DEP_2) | instskip(NEXT) | instid1(VALU_DEP_1)
	v_dual_cndmask_b32 v23, v23, v25 :: v_dual_cndmask_b32 v2, v2, v24
	v_cmp_le_u32_e32 vcc_lo, s54, v23
	s_delay_alu instid0(VALU_DEP_2) | instskip(SKIP_1) | instid1(VALU_DEP_1)
	v_add_nc_u32_e32 v24, 1, v2
	s_wait_alu 0xfffd
	v_dual_cndmask_b32 v23, v2, v24 :: v_dual_mov_b32 v24, v1
.LBB15_63:                              ;   in Loop: Header=BB15_3 Depth=1
	s_wait_alu 0xfffe
	s_or_b32 exec_lo, exec_lo, s0
	v_or_b32_e32 v2, s59, v4
                                        ; implicit-def: $vgpr25_vgpr26
	s_mov_b32 s0, exec_lo
	s_delay_alu instid0(VALU_DEP_1)
	v_cmpx_ne_u64_e32 0, v[1:2]
	s_wait_alu 0xfffe
	s_xor_b32 s81, exec_lo, s0
	s_cbranch_execnz .LBB15_67
; %bb.64:                               ;   in Loop: Header=BB15_3 Depth=1
	s_and_not1_saveexec_b32 s0, s81
	s_cbranch_execnz .LBB15_68
.LBB15_65:                              ;   in Loop: Header=BB15_3 Depth=1
	s_wait_alu 0xfffe
	s_or_b32 exec_lo, exec_lo, s0
	s_delay_alu instid0(SALU_CYCLE_1)
	s_and_not1_b32 vcc_lo, exec_lo, s33
	s_wait_alu 0xfffe
	s_cbranch_vccnz .LBB15_69
.LBB15_66:                              ;   in Loop: Header=BB15_3 Depth=1
	v_sub_co_u32 v2, vcc_lo, 1, v9
	s_wait_alu 0xfffd
	v_sub_co_ci_u32_e64 v28, null, 0, v10, vcc_lo
	v_mad_co_u64_u32 v[39:40], null, s66, v9, v[3:4]
	v_mul_lo_u32 v36, s66, v10
	v_mul_lo_u32 v43, s67, v9
	s_delay_alu instid0(VALU_DEP_4) | instskip(SKIP_2) | instid1(VALU_DEP_4)
	v_mul_lo_u32 v28, s4, v28
	v_mul_lo_u32 v44, s5, v2
	v_mad_co_u64_u32 v[41:42], null, s4, v2, v[3:4]
	v_add3_u32 v2, v43, v40, v36
	v_sub_co_u32 v40, vcc_lo, 2, v9
	s_delay_alu instid0(VALU_DEP_3) | instskip(SKIP_2) | instid1(VALU_DEP_3)
	v_add3_u32 v28, v44, v42, v28
	s_wait_alu 0xfffd
	v_sub_co_ci_u32_e64 v44, null, 0, v10, vcc_lo
	v_mul_lo_u32 v47, s5, v40
	v_mul_lo_u32 v36, v39, s43
	;; [unrolled: 1-line block ×3, first 2 shown]
	s_delay_alu instid0(VALU_DEP_4)
	v_mul_lo_u32 v46, s4, v44
	v_mad_co_u64_u32 v[44:45], null, s4, v40, v[3:4]
	v_sub_co_u32 v40, vcc_lo, 3, v9
	s_wait_alu 0xfffd
	v_sub_co_ci_u32_e64 v48, null, 0, v10, vcc_lo
	v_mad_co_u64_u32 v[42:43], null, v39, s42, 0
	s_delay_alu instid0(VALU_DEP_4) | instskip(NEXT) | instid1(VALU_DEP_3)
	v_add3_u32 v52, v47, v45, v46
	v_mul_lo_u32 v53, s4, v48
	v_mul_lo_u32 v54, s5, v40
	v_mad_co_u64_u32 v[45:46], null, s4, v40, v[3:4]
	v_mul_lo_u32 v50, v28, s42
	v_mul_lo_u32 v51, v41, s43
	v_mad_co_u64_u32 v[9:10], null, v41, s42, 0
	;; [unrolled: 3-line block ×3, first 2 shown]
	v_add3_u32 v43, v43, v36, v49
	v_add3_u32 v36, v54, v46, v53
	;; [unrolled: 1-line block ×3, first 2 shown]
	v_mul_lo_u32 v51, v45, s43
	v_mad_co_u64_u32 v[49:50], null, v45, s42, 0
	v_add3_u32 v48, v48, v55, v40
	v_mul_lo_u32 v40, v36, s42
	v_mul_lo_u32 v53, v39, s47
	;; [unrolled: 1-line block ×4, first 2 shown]
	v_lshlrev_b64_e32 v[46:47], 1, v[47:48]
	v_mul_lo_u32 v54, v41, s47
	v_lshlrev_b64_e32 v[42:43], 1, v[42:43]
	v_lshlrev_b64_e32 v[9:10], 1, v[9:10]
	v_add3_u32 v50, v50, v51, v40
	v_mad_co_u64_u32 v[39:40], null, v39, s46, 0
	s_delay_alu instid0(VALU_DEP_4) | instskip(NEXT) | instid1(VALU_DEP_3)
	v_add_co_u32 v42, vcc_lo, s40, v42
	v_lshlrev_b64_e32 v[48:49], 1, v[49:50]
	v_mad_co_u64_u32 v[50:51], null, v41, s46, 0
	s_delay_alu instid0(VALU_DEP_4)
	v_add3_u32 v40, v40, v53, v2
	v_mul_lo_u32 v2, v52, s46
	v_mul_lo_u32 v41, v44, s47
	v_mad_co_u64_u32 v[52:53], null, v44, s46, 0
	s_wait_alu 0xfffd
	v_add_co_ci_u32_e64 v43, null, s41, v43, vcc_lo
	v_add3_u32 v51, v51, v54, v28
	v_mul_lo_u32 v28, v36, s46
	v_mul_lo_u32 v36, v45, s47
	v_mad_co_u64_u32 v[44:45], null, v45, s46, 0
	v_add3_u32 v53, v53, v41, v2
	v_add_co_u32 v9, vcc_lo, s40, v9
	v_lshlrev_b64_e32 v[39:40], 1, v[39:40]
	s_wait_alu 0xfffd
	v_add_co_ci_u32_e64 v10, null, s41, v10, vcc_lo
	v_add3_u32 v45, v45, v36, v28
	v_add_co_u32 v46, vcc_lo, s40, v46
	v_lshlrev_b64_e32 v[50:51], 1, v[50:51]
	s_wait_alu 0xfffd
	v_add_co_ci_u32_e64 v47, null, s41, v47, vcc_lo
	v_add_co_u32 v48, vcc_lo, s40, v48
	v_lshlrev_b64_e32 v[52:53], 1, v[52:53]
	s_wait_alu 0xfffd
	v_add_co_ci_u32_e64 v49, null, s41, v49, vcc_lo
	v_add_co_u32 v39, vcc_lo, s44, v39
	v_lshlrev_b64_e32 v[44:45], 1, v[44:45]
	s_wait_alu 0xfffd
	v_add_co_ci_u32_e64 v40, null, s45, v40, vcc_lo
	v_add_co_u32 v50, vcc_lo, s44, v50
	s_wait_alu 0xfffd
	v_add_co_ci_u32_e64 v51, null, s45, v51, vcc_lo
	v_add_co_u32 v52, vcc_lo, s44, v52
	s_wait_alu 0xfffd
	v_add_co_ci_u32_e64 v53, null, s45, v53, vcc_lo
	;; [unrolled: 3-line block ×3, first 2 shown]
	global_load_u16 v2, v[42:43], off
	global_load_u16 v28, v[39:40], off
	;; [unrolled: 1-line block ×4, first 2 shown]
	s_clause 0x1
	global_load_u16 v39, v[46:47], off
	global_load_u16 v42, v[48:49], off
	s_clause 0x1
	global_load_u16 v43, v[52:53], off
	global_load_u16 v44, v[44:45], off
	s_wait_loadcnt 0x7
	v_lshlrev_b32_e32 v41, 16, v2
	s_wait_loadcnt 0x6
	v_lshlrev_b32_e32 v10, 16, v28
	;; [unrolled: 2-line block ×8, first 2 shown]
	s_branch .LBB15_70
.LBB15_67:                              ;   in Loop: Header=BB15_3 Depth=1
	s_ashr_i32 s74, s59, 31
	v_add_co_u32 v2, vcc_lo, v3, v28
	s_wait_alu 0xfffe
	s_mov_b32 s75, s74
	s_wait_alu 0xfffd
	v_add_co_ci_u32_e64 v25, null, v4, v28, vcc_lo
	s_wait_alu 0xfffe
	s_add_nc_u64 s[76:77], s[58:59], s[74:75]
	v_xor_b32_e32 v2, v2, v28
	s_wait_alu 0xfffe
	s_xor_b64 s[76:77], s[76:77], s[74:75]
	v_xor_b32_e32 v36, v25, v28
	s_wait_alu 0xfffe
	s_cvt_f32_u32 s0, s76
	s_cvt_f32_u32 s75, s77
	s_sub_nc_u64 s[84:85], 0, s[76:77]
	s_wait_alu 0xfffe
	s_delay_alu instid0(SALU_CYCLE_1) | instskip(SKIP_1) | instid1(SALU_CYCLE_2)
	s_fmamk_f32 s0, s75, 0x4f800000, s0
	s_wait_alu 0xfffe
	v_s_rcp_f32 s0, s0
	s_delay_alu instid0(TRANS32_DEP_1) | instskip(SKIP_1) | instid1(SALU_CYCLE_2)
	s_mul_f32 s0, s0, 0x5f7ffffc
	s_wait_alu 0xfffe
	s_mul_f32 s75, s0, 0x2f800000
	s_wait_alu 0xfffe
	s_delay_alu instid0(SALU_CYCLE_2) | instskip(SKIP_1) | instid1(SALU_CYCLE_2)
	s_trunc_f32 s75, s75
	s_wait_alu 0xfffe
	s_fmamk_f32 s0, s75, 0xcf800000, s0
	s_cvt_u32_f32 s83, s75
	s_wait_alu 0xfffe
	s_delay_alu instid0(SALU_CYCLE_1) | instskip(NEXT) | instid1(SALU_CYCLE_3)
	s_cvt_u32_f32 s82, s0
	s_mul_u64 s[86:87], s[84:85], s[82:83]
	s_delay_alu instid0(SALU_CYCLE_1)
	s_mul_hi_u32 s89, s82, s87
	s_mul_i32 s88, s82, s87
	s_mul_hi_u32 s0, s82, s86
	s_mul_i32 s90, s83, s86
	s_wait_alu 0xfffe
	s_add_nc_u64 s[88:89], s[0:1], s[88:89]
	s_mul_hi_u32 s75, s83, s86
	s_mul_hi_u32 s91, s83, s87
	s_add_co_u32 s0, s88, s90
	s_wait_alu 0xfffe
	s_add_co_ci_u32 s0, s89, s75
	s_mul_i32 s86, s83, s87
	s_add_co_ci_u32 s87, s91, 0
	s_wait_alu 0xfffe
	s_add_nc_u64 s[86:87], s[0:1], s[86:87]
	s_delay_alu instid0(SALU_CYCLE_1) | instskip(SKIP_4) | instid1(SALU_CYCLE_1)
	s_add_co_u32 s82, s82, s86
	s_cselect_b32 s0, -1, 0
	s_wait_alu 0xfffe
	s_cmp_lg_u32 s0, 0
	s_add_co_ci_u32 s83, s83, s87
	s_mul_u64 s[84:85], s[84:85], s[82:83]
	s_delay_alu instid0(SALU_CYCLE_1)
	s_mul_hi_u32 s87, s82, s85
	s_mul_i32 s86, s82, s85
	s_mul_hi_u32 s0, s82, s84
	s_mul_i32 s88, s83, s84
	s_wait_alu 0xfffe
	s_add_nc_u64 s[86:87], s[0:1], s[86:87]
	s_mul_hi_u32 s75, s83, s84
	s_mul_hi_u32 s89, s83, s85
	s_add_co_u32 s0, s86, s88
	s_wait_alu 0xfffe
	s_add_co_ci_u32 s0, s87, s75
	s_mul_i32 s84, s83, s85
	s_add_co_ci_u32 s85, s89, 0
	s_wait_alu 0xfffe
	s_add_nc_u64 s[84:85], s[0:1], s[84:85]
	s_delay_alu instid0(SALU_CYCLE_1)
	s_add_co_u32 s0, s82, s84
	s_cselect_b32 s75, -1, 0
	s_wait_alu 0xfffe
	v_mul_hi_u32 v43, v2, s0
	s_cmp_lg_u32 s75, 0
	v_mad_co_u64_u32 v[39:40], null, v36, s0, 0
	s_add_co_ci_u32 s75, s83, s85
	s_wait_alu 0xfffe
	v_mad_co_u64_u32 v[25:26], null, v2, s75, 0
	v_mad_co_u64_u32 v[41:42], null, v36, s75, 0
	s_delay_alu instid0(VALU_DEP_2) | instskip(SKIP_1) | instid1(VALU_DEP_3)
	v_add_co_u32 v25, vcc_lo, v43, v25
	s_wait_alu 0xfffd
	v_add_co_ci_u32_e64 v26, null, 0, v26, vcc_lo
	s_delay_alu instid0(VALU_DEP_2) | instskip(SKIP_1) | instid1(VALU_DEP_2)
	v_add_co_u32 v25, vcc_lo, v25, v39
	s_wait_alu 0xfffd
	v_add_co_ci_u32_e32 v25, vcc_lo, v26, v40, vcc_lo
	s_wait_alu 0xfffd
	v_add_co_ci_u32_e32 v26, vcc_lo, 0, v42, vcc_lo
	s_delay_alu instid0(VALU_DEP_2) | instskip(SKIP_1) | instid1(VALU_DEP_2)
	v_add_co_u32 v39, vcc_lo, v25, v41
	s_wait_alu 0xfffd
	v_add_co_ci_u32_e64 v40, null, 0, v26, vcc_lo
	s_delay_alu instid0(VALU_DEP_2) | instskip(SKIP_1) | instid1(VALU_DEP_3)
	v_mul_lo_u32 v41, s77, v39
	v_mad_co_u64_u32 v[25:26], null, s76, v39, 0
	v_mul_lo_u32 v42, s76, v40
	s_delay_alu instid0(VALU_DEP_2) | instskip(NEXT) | instid1(VALU_DEP_2)
	v_sub_co_u32 v2, vcc_lo, v2, v25
	v_add3_u32 v26, v26, v42, v41
	s_delay_alu instid0(VALU_DEP_1) | instskip(SKIP_2) | instid1(VALU_DEP_2)
	v_sub_nc_u32_e32 v41, v36, v26
	s_wait_alu 0xfffd
	v_sub_co_ci_u32_e64 v26, null, v36, v26, vcc_lo
	v_subrev_co_ci_u32_e64 v25, null, s77, v41, vcc_lo
	v_add_co_u32 v41, s0, v39, 2
	s_wait_alu 0xf1ff
	v_add_co_ci_u32_e64 v42, null, 0, v40, s0
	v_sub_co_u32 v43, s0, v2, s76
	s_wait_alu 0xf1ff
	v_subrev_co_ci_u32_e64 v25, null, 0, v25, s0
	s_delay_alu instid0(VALU_DEP_2) | instskip(SKIP_2) | instid1(VALU_DEP_3)
	v_cmp_le_u32_e32 vcc_lo, s76, v43
	s_wait_alu 0xfffd
	v_cndmask_b32_e64 v36, 0, -1, vcc_lo
	v_cmp_le_u32_e32 vcc_lo, s77, v25
	s_wait_alu 0xfffd
	v_cndmask_b32_e64 v43, 0, -1, vcc_lo
	;; [unrolled: 3-line block ×4, first 2 shown]
	v_cmp_eq_u32_e32 vcc_lo, s77, v25
	s_wait_alu 0xfffd
	v_cndmask_b32_e32 v25, v43, v36, vcc_lo
	v_add_co_u32 v36, vcc_lo, v39, 1
	s_wait_alu 0xfffd
	v_add_co_ci_u32_e64 v43, null, 0, v40, vcc_lo
	v_cmp_eq_u32_e32 vcc_lo, s77, v26
	v_xor_b32_e32 v26, s74, v28
	s_wait_alu 0xfffd
	v_cndmask_b32_e32 v2, v44, v2, vcc_lo
	v_cmp_ne_u32_e32 vcc_lo, 0, v25
	s_delay_alu instid0(VALU_DEP_2) | instskip(SKIP_3) | instid1(VALU_DEP_1)
	v_cmp_ne_u32_e64 s0, 0, v2
	s_wait_alu 0xfffd
	v_dual_cndmask_b32 v25, v43, v42 :: v_dual_cndmask_b32 v2, v36, v41
	s_wait_alu 0xf1ff
	v_cndmask_b32_e64 v25, v40, v25, s0
	s_delay_alu instid0(VALU_DEP_2) | instskip(NEXT) | instid1(VALU_DEP_2)
	v_cndmask_b32_e64 v2, v39, v2, s0
	v_xor_b32_e32 v28, v25, v26
	s_delay_alu instid0(VALU_DEP_2) | instskip(NEXT) | instid1(VALU_DEP_1)
	v_xor_b32_e32 v2, v2, v26
	v_sub_co_u32 v25, vcc_lo, v2, v26
	s_wait_alu 0xfffd
	s_delay_alu instid0(VALU_DEP_3)
	v_sub_co_ci_u32_e64 v26, null, v28, v26, vcc_lo
	s_and_not1_saveexec_b32 s0, s81
	s_cbranch_execz .LBB15_65
.LBB15_68:                              ;   in Loop: Header=BB15_3 Depth=1
	v_cvt_f32_u32_e32 v2, s58
	s_sub_co_i32 s74, 0, s58
	s_delay_alu instid0(VALU_DEP_1) | instskip(NEXT) | instid1(TRANS32_DEP_1)
	v_rcp_iflag_f32_e32 v2, v2
	v_mul_f32_e32 v2, 0x4f7ffffe, v2
	s_delay_alu instid0(VALU_DEP_1) | instskip(SKIP_1) | instid1(VALU_DEP_1)
	v_cvt_u32_f32_e32 v2, v2
	s_wait_alu 0xfffe
	v_mul_lo_u32 v25, s74, v2
	s_delay_alu instid0(VALU_DEP_1) | instskip(NEXT) | instid1(VALU_DEP_1)
	v_mul_hi_u32 v25, v2, v25
	v_add_nc_u32_e32 v2, v2, v25
	s_delay_alu instid0(VALU_DEP_1) | instskip(NEXT) | instid1(VALU_DEP_1)
	v_mul_hi_u32 v2, v3, v2
	v_mul_lo_u32 v25, v2, s58
	v_add_nc_u32_e32 v26, 1, v2
	s_delay_alu instid0(VALU_DEP_2) | instskip(NEXT) | instid1(VALU_DEP_1)
	v_sub_nc_u32_e32 v25, v3, v25
	v_subrev_nc_u32_e32 v28, s58, v25
	v_cmp_le_u32_e32 vcc_lo, s58, v25
	s_wait_alu 0xfffd
	s_delay_alu instid0(VALU_DEP_2) | instskip(NEXT) | instid1(VALU_DEP_1)
	v_dual_cndmask_b32 v25, v25, v28 :: v_dual_cndmask_b32 v2, v2, v26
	v_cmp_le_u32_e32 vcc_lo, s58, v25
	s_delay_alu instid0(VALU_DEP_2) | instskip(SKIP_1) | instid1(VALU_DEP_1)
	v_add_nc_u32_e32 v26, 1, v2
	s_wait_alu 0xfffd
	v_dual_cndmask_b32 v25, v2, v26 :: v_dual_mov_b32 v26, v1
	s_or_b32 exec_lo, exec_lo, s0
	s_delay_alu instid0(SALU_CYCLE_1)
	s_and_not1_b32 vcc_lo, exec_lo, s33
	s_wait_alu 0xfffe
	s_cbranch_vccz .LBB15_66
.LBB15_69:                              ;   in Loop: Header=BB15_3 Depth=1
	v_dual_mov_b32 v2, 0 :: v_dual_mov_b32 v9, 0
	v_dual_mov_b32 v36, 0 :: v_dual_mov_b32 v39, 0
	v_dual_mov_b32 v10, 0 :: v_dual_mov_b32 v41, 0
	v_mov_b32_e32 v28, 0
	v_mov_b32_e32 v40, 0
.LBB15_70:                              ;   in Loop: Header=BB15_3 Depth=1
	s_wait_loadcnt 0x6
	v_lshlrev_b32_e32 v31, 16, v31
	s_wait_loadcnt 0x2
	v_lshlrev_b32_e32 v37, 16, v37
	s_delay_alu instid0(VALU_DEP_1) | instskip(NEXT) | instid1(VALU_DEP_1)
	v_add_f32_e32 v31, v31, v37
	v_add_f32_e32 v28, v31, v28
	s_delay_alu instid0(VALU_DEP_1) | instskip(NEXT) | instid1(VALU_DEP_1)
	v_add_f32_e32 v2, v2, v28
                                        ; implicit-def: $vgpr28
	v_cmp_ngt_f32_e64 s0, 0x3f200000, |v2|
	s_and_saveexec_b32 s74, s0
	s_wait_alu 0xfffe
	s_xor_b32 s0, exec_lo, s74
	s_cbranch_execz .LBB15_72
; %bb.71:                               ;   in Loop: Header=BB15_3 Depth=1
	v_add_f32_e64 v28, |v2|, |v2|
	s_delay_alu instid0(VALU_DEP_1) | instskip(SKIP_1) | instid1(VALU_DEP_2)
	v_mul_f32_e32 v31, 0x3fb8aa3b, v28
	v_cmp_ngt_f32_e32 vcc_lo, 0xc2ce8ed0, v28
	v_rndne_f32_e32 v37, v31
	v_fma_f32 v42, 0x3fb8aa3b, v28, -v31
	s_delay_alu instid0(VALU_DEP_1) | instskip(SKIP_1) | instid1(VALU_DEP_2)
	v_dual_sub_f32 v31, v31, v37 :: v_dual_fmac_f32 v42, 0x32a5705f, v28
	v_cvt_i32_f32_e32 v37, v37
	v_add_f32_e32 v31, v31, v42
	s_delay_alu instid0(VALU_DEP_1) | instskip(NEXT) | instid1(TRANS32_DEP_1)
	v_exp_f32_e32 v31, v31
	v_ldexp_f32 v31, v31, v37
	s_wait_alu 0xfffd
	s_delay_alu instid0(VALU_DEP_1) | instskip(SKIP_2) | instid1(VALU_DEP_2)
	v_cndmask_b32_e32 v31, 0, v31, vcc_lo
	v_cmp_nlt_f32_e32 vcc_lo, 0x42b17218, v28
	s_wait_alu 0xfffd
	v_cndmask_b32_e32 v28, 0x7f800000, v31, vcc_lo
	s_delay_alu instid0(VALU_DEP_1) | instskip(NEXT) | instid1(VALU_DEP_1)
	v_add_f32_e32 v28, 1.0, v28
	v_rcp_f32_e32 v28, v28
	s_delay_alu instid0(TRANS32_DEP_1)
	v_fma_f32 v28, v28, -2.0, 1.0
.LBB15_72:                              ;   in Loop: Header=BB15_3 Depth=1
	s_wait_alu 0xfffe
	s_and_not1_saveexec_b32 s0, s0
	s_cbranch_execz .LBB15_74
; %bb.73:                               ;   in Loop: Header=BB15_3 Depth=1
	v_mul_f32_e32 v28, v2, v2
	s_delay_alu instid0(VALU_DEP_1) | instskip(NEXT) | instid1(VALU_DEP_1)
	v_fmaak_f32 v31, s79, v28, 0x3ca908c9
	v_fmaak_f32 v31, v28, v31, 0xbd5c1c4e
	s_delay_alu instid0(VALU_DEP_1) | instskip(NEXT) | instid1(VALU_DEP_1)
	v_fmaak_f32 v31, v28, v31, 0x3e088382
	v_fmaak_f32 v31, v28, v31, 0xbeaaaa99
	s_delay_alu instid0(VALU_DEP_1) | instskip(NEXT) | instid1(VALU_DEP_1)
	v_mul_f32_e64 v31, |v2|, v31
	v_fma_f32 v28, v28, v31, |v2|
.LBB15_74:                              ;   in Loop: Header=BB15_3 Depth=1
	s_wait_alu 0xfffe
	s_or_b32 exec_lo, exec_lo, s0
	v_lshlrev_b32_e32 v31, 16, v33
	v_lshlrev_b32_e32 v30, 16, v30
	;; [unrolled: 1-line block ×3, first 2 shown]
	v_bfi_b32 v2, 0x7fffffff, v28, v2
	s_delay_alu instid0(VALU_DEP_2) | instskip(NEXT) | instid1(VALU_DEP_1)
	v_add_f32_e32 v30, v30, v33
	v_dual_add_f32 v30, v30, v40 :: v_dual_lshlrev_b32 v29, 16, v29
	s_delay_alu instid0(VALU_DEP_1) | instskip(NEXT) | instid1(VALU_DEP_1)
	v_add_f32_e32 v9, v9, v30
	v_mul_f32_e32 v30, 0xbfb8aa3b, v9
	s_delay_alu instid0(VALU_DEP_1) | instskip(SKIP_1) | instid1(VALU_DEP_1)
	v_fma_f32 v34, 0xbfb8aa3b, v9, -v30
	v_rndne_f32_e32 v37, v30
	v_sub_f32_e32 v30, v30, v37
	s_delay_alu instid0(VALU_DEP_3) | instskip(NEXT) | instid1(VALU_DEP_1)
	v_fmac_f32_e32 v34, 0xb2a5705f, v9
	v_dual_add_f32 v30, v30, v34 :: v_dual_add_f32 v29, v29, v31
	s_delay_alu instid0(VALU_DEP_1) | instskip(NEXT) | instid1(VALU_DEP_1)
	v_exp_f32_e32 v30, v30
	v_add_f32_e32 v29, v29, v41
	s_delay_alu instid0(VALU_DEP_1) | instskip(NEXT) | instid1(VALU_DEP_1)
	v_add_f32_e32 v10, v10, v29
	v_mul_f32_e32 v29, 0xbfb8aa3b, v10
	v_cmp_nlt_f32_e32 vcc_lo, 0x42ce8ed0, v10
	s_delay_alu instid0(VALU_DEP_2) | instskip(SKIP_1) | instid1(VALU_DEP_2)
	v_fma_f32 v31, 0xbfb8aa3b, v10, -v29
	v_rndne_f32_e32 v33, v29
	v_fmac_f32_e32 v31, 0xb2a5705f, v10
	s_delay_alu instid0(VALU_DEP_2) | instskip(NEXT) | instid1(VALU_DEP_1)
	v_sub_f32_e32 v29, v29, v33
	v_add_f32_e32 v29, v29, v31
	v_cvt_i32_f32_e32 v31, v33
	v_cvt_i32_f32_e32 v33, v37
	s_delay_alu instid0(VALU_DEP_3) | instskip(NEXT) | instid1(VALU_DEP_1)
	v_exp_f32_e32 v29, v29
	v_ldexp_f32 v30, v30, v33
	s_delay_alu instid0(TRANS32_DEP_1) | instskip(SKIP_1) | instid1(VALU_DEP_1)
	v_ldexp_f32 v29, v29, v31
	s_wait_alu 0xfffd
	v_cndmask_b32_e32 v29, 0, v29, vcc_lo
	v_cmp_nlt_f32_e32 vcc_lo, 0x42ce8ed0, v9
	s_wait_alu 0xfffd
	v_cndmask_b32_e32 v30, 0, v30, vcc_lo
	v_cmp_ngt_f32_e32 vcc_lo, 0xc2b17218, v10
	s_wait_alu 0xfffd
	v_cndmask_b32_e32 v10, 0x7f800000, v29, vcc_lo
	v_cmp_ngt_f32_e32 vcc_lo, 0xc2b17218, v9
	s_delay_alu instid0(VALU_DEP_2) | instskip(SKIP_2) | instid1(VALU_DEP_2)
	v_add_f32_e32 v10, 1.0, v10
	s_wait_alu 0xfffd
	v_cndmask_b32_e32 v9, 0x7f800000, v30, vcc_lo
	v_div_scale_f32 v29, null, v10, v10, 1.0
	s_delay_alu instid0(VALU_DEP_2) | instskip(SKIP_1) | instid1(VALU_DEP_3)
	v_add_f32_e32 v9, 1.0, v9
	v_div_scale_f32 v40, vcc_lo, 1.0, v10, 1.0
	v_rcp_f32_e32 v31, v29
	s_delay_alu instid0(VALU_DEP_2) | instskip(NEXT) | instid1(VALU_DEP_1)
	v_div_scale_f32 v30, null, v9, v9, 1.0
	v_rcp_f32_e32 v33, v30
	s_delay_alu instid0(TRANS32_DEP_2) | instskip(NEXT) | instid1(VALU_DEP_1)
	v_fma_f32 v34, -v29, v31, 1.0
	v_fmac_f32_e32 v31, v34, v31
	v_div_scale_f32 v34, s0, 1.0, v9, 1.0
	s_delay_alu instid0(TRANS32_DEP_1) | instskip(NEXT) | instid1(VALU_DEP_1)
	v_fma_f32 v37, -v30, v33, 1.0
	v_fmac_f32_e32 v33, v37, v33
	s_delay_alu instid0(VALU_DEP_4) | instskip(NEXT) | instid1(VALU_DEP_2)
	v_mul_f32_e32 v37, v40, v31
	v_mul_f32_e32 v41, v34, v33
	s_delay_alu instid0(VALU_DEP_2) | instskip(NEXT) | instid1(VALU_DEP_2)
	v_fma_f32 v42, -v29, v37, v40
	v_fma_f32 v43, -v30, v41, v34
	s_delay_alu instid0(VALU_DEP_2) | instskip(NEXT) | instid1(VALU_DEP_2)
	v_fmac_f32_e32 v37, v42, v31
	v_fmac_f32_e32 v41, v43, v33
	s_delay_alu instid0(VALU_DEP_2) | instskip(NEXT) | instid1(VALU_DEP_2)
	v_fma_f32 v29, -v29, v37, v40
	v_fma_f32 v30, -v30, v41, v34
	s_wait_alu 0xfffd
	s_delay_alu instid0(VALU_DEP_2) | instskip(SKIP_3) | instid1(VALU_DEP_2)
	v_div_fmas_f32 v29, v29, v31, v37
	s_mov_b32 vcc_lo, s0
	s_wait_alu 0xfffe
	v_div_fmas_f32 v30, v30, v33, v41
	v_div_fixup_f32 v10, v29, v10, 1.0
	s_wait_loadcnt 0x0
	v_lshlrev_b32_e32 v29, 16, v35
	s_delay_alu instid0(VALU_DEP_3) | instskip(NEXT) | instid1(VALU_DEP_3)
	v_div_fixup_f32 v9, v30, v9, 1.0
	v_mul_f32_e32 v28, v10, v2
	s_delay_alu instid0(VALU_DEP_1) | instskip(NEXT) | instid1(VALU_DEP_1)
	v_fmac_f32_e32 v28, v9, v29
                                        ; implicit-def: $vgpr29
	v_cmp_ngt_f32_e64 s0, 0x3f200000, |v28|
	s_and_saveexec_b32 s74, s0
	s_wait_alu 0xfffe
	s_xor_b32 s0, exec_lo, s74
	s_cbranch_execz .LBB15_76
; %bb.75:                               ;   in Loop: Header=BB15_3 Depth=1
	v_add_f32_e64 v29, |v28|, |v28|
	s_delay_alu instid0(VALU_DEP_1) | instskip(SKIP_1) | instid1(VALU_DEP_2)
	v_mul_f32_e32 v30, 0x3fb8aa3b, v29
	v_cmp_ngt_f32_e32 vcc_lo, 0xc2ce8ed0, v29
	v_rndne_f32_e32 v31, v30
	v_fma_f32 v33, 0x3fb8aa3b, v29, -v30
	s_delay_alu instid0(VALU_DEP_1) | instskip(SKIP_1) | instid1(VALU_DEP_2)
	v_dual_sub_f32 v30, v30, v31 :: v_dual_fmac_f32 v33, 0x32a5705f, v29
	v_cvt_i32_f32_e32 v31, v31
	v_add_f32_e32 v30, v30, v33
	s_delay_alu instid0(VALU_DEP_1) | instskip(NEXT) | instid1(TRANS32_DEP_1)
	v_exp_f32_e32 v30, v30
	v_ldexp_f32 v30, v30, v31
	s_wait_alu 0xfffd
	s_delay_alu instid0(VALU_DEP_1) | instskip(SKIP_2) | instid1(VALU_DEP_2)
	v_cndmask_b32_e32 v30, 0, v30, vcc_lo
	v_cmp_nlt_f32_e32 vcc_lo, 0x42b17218, v29
	s_wait_alu 0xfffd
	v_cndmask_b32_e32 v29, 0x7f800000, v30, vcc_lo
	s_delay_alu instid0(VALU_DEP_1) | instskip(NEXT) | instid1(VALU_DEP_1)
	v_add_f32_e32 v29, 1.0, v29
	v_rcp_f32_e32 v29, v29
	s_delay_alu instid0(TRANS32_DEP_1)
	v_fma_f32 v29, v29, -2.0, 1.0
.LBB15_76:                              ;   in Loop: Header=BB15_3 Depth=1
	s_wait_alu 0xfffe
	s_and_not1_saveexec_b32 s0, s0
	s_cbranch_execz .LBB15_2
; %bb.77:                               ;   in Loop: Header=BB15_3 Depth=1
	v_mul_f32_e32 v29, v28, v28
	s_delay_alu instid0(VALU_DEP_1) | instskip(NEXT) | instid1(VALU_DEP_1)
	v_fmaak_f32 v30, s79, v29, 0x3ca908c9
	v_fmaak_f32 v30, v29, v30, 0xbd5c1c4e
	s_delay_alu instid0(VALU_DEP_1) | instskip(NEXT) | instid1(VALU_DEP_1)
	v_fmaak_f32 v30, v29, v30, 0x3e088382
	v_fmaak_f32 v30, v29, v30, 0xbeaaaa99
	s_delay_alu instid0(VALU_DEP_1) | instskip(NEXT) | instid1(VALU_DEP_1)
	v_mul_f32_e64 v30, |v28|, v30
	v_fma_f32 v29, v29, v30, |v28|
	s_branch .LBB15_2
.LBB15_78:
	s_endpgm
	.section	.rodata,"a",@progbits
	.p2align	6, 0x0
	.amdhsa_kernel _ZN2at6native12_GLOBAL__N_16kernel17lstm_cell_forwardIN3c108BFloat16EflLi2EEEvNS_4cuda6detail10TensorInfoIT_T1_EESB_SB_SB_SB_SB_SB_SB_SA_SA_
		.amdhsa_group_segment_fixed_size 0
		.amdhsa_private_segment_fixed_size 0
		.amdhsa_kernarg_size 3600
		.amdhsa_user_sgpr_count 2
		.amdhsa_user_sgpr_dispatch_ptr 0
		.amdhsa_user_sgpr_queue_ptr 0
		.amdhsa_user_sgpr_kernarg_segment_ptr 1
		.amdhsa_user_sgpr_dispatch_id 0
		.amdhsa_user_sgpr_private_segment_size 0
		.amdhsa_wavefront_size32 1
		.amdhsa_uses_dynamic_stack 0
		.amdhsa_enable_private_segment 0
		.amdhsa_system_sgpr_workgroup_id_x 1
		.amdhsa_system_sgpr_workgroup_id_y 0
		.amdhsa_system_sgpr_workgroup_id_z 0
		.amdhsa_system_sgpr_workgroup_info 0
		.amdhsa_system_vgpr_workitem_id 0
		.amdhsa_next_free_vgpr 56
		.amdhsa_next_free_sgpr 92
		.amdhsa_reserve_vcc 1
		.amdhsa_float_round_mode_32 0
		.amdhsa_float_round_mode_16_64 0
		.amdhsa_float_denorm_mode_32 3
		.amdhsa_float_denorm_mode_16_64 3
		.amdhsa_fp16_overflow 0
		.amdhsa_workgroup_processor_mode 1
		.amdhsa_memory_ordered 1
		.amdhsa_forward_progress 1
		.amdhsa_inst_pref_size 169
		.amdhsa_round_robin_scheduling 0
		.amdhsa_exception_fp_ieee_invalid_op 0
		.amdhsa_exception_fp_denorm_src 0
		.amdhsa_exception_fp_ieee_div_zero 0
		.amdhsa_exception_fp_ieee_overflow 0
		.amdhsa_exception_fp_ieee_underflow 0
		.amdhsa_exception_fp_ieee_inexact 0
		.amdhsa_exception_int_div_zero 0
	.end_amdhsa_kernel
	.section	.text._ZN2at6native12_GLOBAL__N_16kernel17lstm_cell_forwardIN3c108BFloat16EflLi2EEEvNS_4cuda6detail10TensorInfoIT_T1_EESB_SB_SB_SB_SB_SB_SB_SA_SA_,"axG",@progbits,_ZN2at6native12_GLOBAL__N_16kernel17lstm_cell_forwardIN3c108BFloat16EflLi2EEEvNS_4cuda6detail10TensorInfoIT_T1_EESB_SB_SB_SB_SB_SB_SB_SA_SA_,comdat
.Lfunc_end15:
	.size	_ZN2at6native12_GLOBAL__N_16kernel17lstm_cell_forwardIN3c108BFloat16EflLi2EEEvNS_4cuda6detail10TensorInfoIT_T1_EESB_SB_SB_SB_SB_SB_SB_SA_SA_, .Lfunc_end15-_ZN2at6native12_GLOBAL__N_16kernel17lstm_cell_forwardIN3c108BFloat16EflLi2EEEvNS_4cuda6detail10TensorInfoIT_T1_EESB_SB_SB_SB_SB_SB_SB_SA_SA_
                                        ; -- End function
	.set _ZN2at6native12_GLOBAL__N_16kernel17lstm_cell_forwardIN3c108BFloat16EflLi2EEEvNS_4cuda6detail10TensorInfoIT_T1_EESB_SB_SB_SB_SB_SB_SB_SA_SA_.num_vgpr, 56
	.set _ZN2at6native12_GLOBAL__N_16kernel17lstm_cell_forwardIN3c108BFloat16EflLi2EEEvNS_4cuda6detail10TensorInfoIT_T1_EESB_SB_SB_SB_SB_SB_SB_SA_SA_.num_agpr, 0
	.set _ZN2at6native12_GLOBAL__N_16kernel17lstm_cell_forwardIN3c108BFloat16EflLi2EEEvNS_4cuda6detail10TensorInfoIT_T1_EESB_SB_SB_SB_SB_SB_SB_SA_SA_.numbered_sgpr, 92
	.set _ZN2at6native12_GLOBAL__N_16kernel17lstm_cell_forwardIN3c108BFloat16EflLi2EEEvNS_4cuda6detail10TensorInfoIT_T1_EESB_SB_SB_SB_SB_SB_SB_SA_SA_.num_named_barrier, 0
	.set _ZN2at6native12_GLOBAL__N_16kernel17lstm_cell_forwardIN3c108BFloat16EflLi2EEEvNS_4cuda6detail10TensorInfoIT_T1_EESB_SB_SB_SB_SB_SB_SB_SA_SA_.private_seg_size, 0
	.set _ZN2at6native12_GLOBAL__N_16kernel17lstm_cell_forwardIN3c108BFloat16EflLi2EEEvNS_4cuda6detail10TensorInfoIT_T1_EESB_SB_SB_SB_SB_SB_SB_SA_SA_.uses_vcc, 1
	.set _ZN2at6native12_GLOBAL__N_16kernel17lstm_cell_forwardIN3c108BFloat16EflLi2EEEvNS_4cuda6detail10TensorInfoIT_T1_EESB_SB_SB_SB_SB_SB_SB_SA_SA_.uses_flat_scratch, 0
	.set _ZN2at6native12_GLOBAL__N_16kernel17lstm_cell_forwardIN3c108BFloat16EflLi2EEEvNS_4cuda6detail10TensorInfoIT_T1_EESB_SB_SB_SB_SB_SB_SB_SA_SA_.has_dyn_sized_stack, 0
	.set _ZN2at6native12_GLOBAL__N_16kernel17lstm_cell_forwardIN3c108BFloat16EflLi2EEEvNS_4cuda6detail10TensorInfoIT_T1_EESB_SB_SB_SB_SB_SB_SB_SA_SA_.has_recursion, 0
	.set _ZN2at6native12_GLOBAL__N_16kernel17lstm_cell_forwardIN3c108BFloat16EflLi2EEEvNS_4cuda6detail10TensorInfoIT_T1_EESB_SB_SB_SB_SB_SB_SB_SA_SA_.has_indirect_call, 0
	.section	.AMDGPU.csdata,"",@progbits
; Kernel info:
; codeLenInByte = 21588
; TotalNumSgprs: 94
; NumVgprs: 56
; ScratchSize: 0
; MemoryBound: 0
; FloatMode: 240
; IeeeMode: 1
; LDSByteSize: 0 bytes/workgroup (compile time only)
; SGPRBlocks: 0
; VGPRBlocks: 6
; NumSGPRsForWavesPerEU: 94
; NumVGPRsForWavesPerEU: 56
; Occupancy: 16
; WaveLimiterHint : 1
; COMPUTE_PGM_RSRC2:SCRATCH_EN: 0
; COMPUTE_PGM_RSRC2:USER_SGPR: 2
; COMPUTE_PGM_RSRC2:TRAP_HANDLER: 0
; COMPUTE_PGM_RSRC2:TGID_X_EN: 1
; COMPUTE_PGM_RSRC2:TGID_Y_EN: 0
; COMPUTE_PGM_RSRC2:TGID_Z_EN: 0
; COMPUTE_PGM_RSRC2:TIDIG_COMP_CNT: 0
	.section	.text._ZN2at6native12_GLOBAL__N_16kernel18lstm_cell_backwardIddiLi1EEEvNS_4cuda6detail10TensorInfoIT_T1_EES9_S9_S9_S9_S9_S9_S8_S8_,"axG",@progbits,_ZN2at6native12_GLOBAL__N_16kernel18lstm_cell_backwardIddiLi1EEEvNS_4cuda6detail10TensorInfoIT_T1_EES9_S9_S9_S9_S9_S9_S8_S8_,comdat
	.globl	_ZN2at6native12_GLOBAL__N_16kernel18lstm_cell_backwardIddiLi1EEEvNS_4cuda6detail10TensorInfoIT_T1_EES9_S9_S9_S9_S9_S9_S8_S8_ ; -- Begin function _ZN2at6native12_GLOBAL__N_16kernel18lstm_cell_backwardIddiLi1EEEvNS_4cuda6detail10TensorInfoIT_T1_EES9_S9_S9_S9_S9_S9_S8_S8_
	.p2align	8
	.type	_ZN2at6native12_GLOBAL__N_16kernel18lstm_cell_backwardIddiLi1EEEvNS_4cuda6detail10TensorInfoIT_T1_EES9_S9_S9_S9_S9_S9_S8_S8_,@function
_ZN2at6native12_GLOBAL__N_16kernel18lstm_cell_backwardIddiLi1EEEvNS_4cuda6detail10TensorInfoIT_T1_EES9_S9_S9_S9_S9_S9_S8_S8_: ; @_ZN2at6native12_GLOBAL__N_16kernel18lstm_cell_backwardIddiLi1EEEvNS_4cuda6detail10TensorInfoIT_T1_EES9_S9_S9_S9_S9_S9_S8_S8_
; %bb.0:
	s_clause 0x1
	s_load_b32 s4, s[0:1], 0x5fc
	s_load_b64 s[2:3], s[0:1], 0x5e8
	s_wait_kmcnt 0x0
	s_and_b32 s28, s4, 0xffff
	s_mov_b32 s4, exec_lo
	v_mad_co_u64_u32 v[0:1], null, ttmp9, s28, v[0:1]
	s_delay_alu instid0(VALU_DEP_1)
	v_cmpx_gt_i32_e64 s3, v0
	s_cbranch_execz .LBB16_7
; %bb.1:
	s_clause 0x1
	s_load_b64 s[4:5], s[0:1], 0x360
	s_load_b64 s[6:7], s[0:1], 0x438
	s_add_nc_u64 s[18:19], s[0:1], 0x5f0
	s_clause 0xb
	s_load_b64 s[8:9], s[0:1], 0x0
	s_load_b32 s33, s[0:1], 0x6c
	s_load_b64 s[10:11], s[0:1], 0xd8
	s_load_b32 s46, s[0:1], 0x144
	;; [unrolled: 2-line block ×4, first 2 shown]
	s_load_b32 s31, s[0:1], 0x3cc
	s_load_b32 s34, s[0:1], 0x4a4
	s_load_b64 s[16:17], s[0:1], 0x510
	s_load_b32 s35, s[0:1], 0x57c
	s_load_b32 s52, s[18:19], 0x0
	s_mov_b32 s0, 0x652b82fe
	s_mov_b32 s18, 0xfefa3000
	;; [unrolled: 1-line block ×10, first 2 shown]
	s_mul_i32 s48, s2, 3
	s_mov_b32 s1, 0x3ff71547
	s_wait_kmcnt 0x0
	v_mul_lo_u32 v1, v0, s29
	s_mov_b32 s19, 0xbfe62e42
	v_mul_lo_u32 v3, v0, s30
	s_cmp_lg_u64 s[4:5], 0
	v_mul_lo_u32 v7, v0, s31
	s_cselect_b32 s49, -1, 0
	s_cmp_lg_u64 s[6:7], 0
	s_mul_i32 s52, s52, s28
	s_cselect_b32 s50, -1, 0
	s_abs_i32 s51, s2
	s_mul_i32 s54, s52, s29
	s_cvt_f32_u32 s22, s51
	s_sub_co_i32 s29, 0, s51
	v_mul_lo_u32 v5, v0, s35
	v_mul_lo_u32 v9, v0, s34
	v_rcp_iflag_f32_e32 v2, s22
	s_mov_b32 s22, 0xf97b57a0
	s_mul_i32 s55, s52, s30
	s_mul_i32 s56, s52, s35
	;; [unrolled: 1-line block ×4, first 2 shown]
	s_mov_b32 s30, 0x7c89e6b0
	s_mov_b32 s34, 0x14761f6e
	;; [unrolled: 1-line block ×4, first 2 shown]
	v_readfirstlane_b32 s36, v2
	s_mov_b32 s25, 0x3e928af3
	s_mov_b32 s27, 0x3e5ade15
	s_ashr_i32 s53, s2, 31
	s_mov_b32 s31, 0x3efa0199
	s_mul_f32 s28, s36, 0x4f7ffffe
	s_mov_b32 s36, 0x1852b7b0
	s_mov_b32 s35, 0x3f2a01a0
	;; [unrolled: 1-line block ×3, first 2 shown]
	s_wait_alu 0xfffe
	s_cvt_u32_f32 s28, s28
	s_mov_b32 s39, 0x3f811111
	s_mov_b32 s41, 0x3fa55555
	;; [unrolled: 1-line block ×3, first 2 shown]
	s_wait_alu 0xfffe
	s_mul_i32 s29, s29, s28
	s_mov_b32 s45, 0x3fe00000
	s_wait_alu 0xfffe
	s_mul_hi_u32 s29, s28, s29
	s_wait_alu 0xfffe
	s_add_co_i32 s59, s28, s29
	s_mov_b32 s28, 0x623fde64
	s_mov_b32 s29, 0x3ec71dee
	s_branch .LBB16_3
.LBB16_2:                               ;   in Loop: Header=BB16_3 Depth=1
	s_wait_loadcnt 0x0
	v_mul_f64_e64 v[30:31], |v[26:27]|, s[0:1]
	v_cmp_nlt_f64_e64 vcc_lo, 0x40331000, |v[26:27]|
	v_and_b32_e32 v8, 0x7fffffff, v27
	v_mul_lo_u32 v10, v11, s46
	v_mul_lo_u32 v12, v12, s46
	v_add_nc_u32_e32 v0, s52, v0
	v_add_nc_u32_e32 v9, s58, v9
	v_add_nc_u32_e32 v1, s54, v1
	v_add_nc_u32_e32 v7, s57, v7
	v_add_nc_u32_e32 v3, s55, v3
	v_ashrrev_i32_e32 v11, 31, v10
	s_delay_alu instid0(VALU_DEP_1) | instskip(SKIP_1) | instid1(VALU_DEP_1)
	v_lshlrev_b64_e32 v[10:11], 3, v[10:11]
	v_rndne_f64_e32 v[30:31], v[30:31]
	v_fma_f64 v[32:33], v[30:31], s[18:19], |v[26:27]|
	v_mul_f64_e32 v[34:35], s[20:21], v[30:31]
	v_cvt_i32_f64_e32 v4, v[30:31]
	s_delay_alu instid0(VALU_DEP_3) | instskip(NEXT) | instid1(VALU_DEP_1)
	v_add_f64_e32 v[36:37], 0, v[32:33]
	v_add_f64_e32 v[38:39], v[36:37], v[34:35]
	v_add_f64_e64 v[32:33], v[32:33], -v[36:37]
	s_delay_alu instid0(VALU_DEP_2) | instskip(NEXT) | instid1(VALU_DEP_2)
	v_add_f64_e64 v[36:37], v[36:37], -v[38:39]
	v_add_f64_e32 v[32:33], 0, v[32:33]
	s_delay_alu instid0(VALU_DEP_2) | instskip(NEXT) | instid1(VALU_DEP_1)
	v_add_f64_e32 v[34:35], v[36:37], v[34:35]
	v_add_f64_e32 v[32:33], v[32:33], v[34:35]
	v_mul_f64_e32 v[34:35], s[22:23], v[30:31]
	s_delay_alu instid0(VALU_DEP_2) | instskip(NEXT) | instid1(VALU_DEP_1)
	v_add_f64_e32 v[36:37], v[38:39], v[32:33]
	v_add_f64_e32 v[40:41], v[36:37], v[34:35]
	v_add_f64_e64 v[38:39], v[38:39], -v[36:37]
	s_delay_alu instid0(VALU_DEP_2) | instskip(NEXT) | instid1(VALU_DEP_2)
	v_add_f64_e64 v[36:37], v[36:37], -v[40:41]
	v_add_f64_e32 v[32:33], v[32:33], v[38:39]
	s_delay_alu instid0(VALU_DEP_2) | instskip(NEXT) | instid1(VALU_DEP_1)
	v_add_f64_e32 v[34:35], v[36:37], v[34:35]
	v_add_f64_e32 v[32:33], v[32:33], v[34:35]
	s_delay_alu instid0(VALU_DEP_1) | instskip(NEXT) | instid1(VALU_DEP_1)
	v_add_f64_e32 v[34:35], v[40:41], v[32:33]
	v_fma_f64 v[36:37], v[34:35], s[26:27], s[24:25]
	v_add_f64_e64 v[38:39], v[40:41], -v[34:35]
	v_mul_f64_e32 v[40:41], v[34:35], v[34:35]
	s_delay_alu instid0(VALU_DEP_3) | instskip(NEXT) | instid1(VALU_DEP_3)
	v_fma_f64 v[36:37], v[34:35], v[36:37], s[28:29]
	v_add_f64_e32 v[32:33], v[32:33], v[38:39]
	s_delay_alu instid0(VALU_DEP_3) | instskip(NEXT) | instid1(VALU_DEP_3)
	v_fma_f64 v[38:39], v[34:35], v[34:35], -v[40:41]
	v_fma_f64 v[36:37], v[34:35], v[36:37], s[30:31]
	s_delay_alu instid0(VALU_DEP_3) | instskip(NEXT) | instid1(VALU_DEP_2)
	v_add_f64_e32 v[42:43], v[32:33], v[32:33]
	v_fma_f64 v[36:37], v[34:35], v[36:37], s[34:35]
	s_delay_alu instid0(VALU_DEP_2) | instskip(NEXT) | instid1(VALU_DEP_2)
	v_fma_f64 v[38:39], v[34:35], v[42:43], v[38:39]
	v_fma_f64 v[36:37], v[34:35], v[36:37], s[36:37]
	s_delay_alu instid0(VALU_DEP_2) | instskip(NEXT) | instid1(VALU_DEP_2)
	v_add_f64_e32 v[42:43], v[40:41], v[38:39]
	v_fma_f64 v[36:37], v[34:35], v[36:37], s[38:39]
	s_delay_alu instid0(VALU_DEP_2) | instskip(NEXT) | instid1(VALU_DEP_2)
	v_add_f64_e64 v[40:41], v[42:43], -v[40:41]
	v_fma_f64 v[36:37], v[34:35], v[36:37], s[40:41]
	s_delay_alu instid0(VALU_DEP_2) | instskip(NEXT) | instid1(VALU_DEP_2)
	v_add_f64_e64 v[38:39], v[38:39], -v[40:41]
	v_fma_f64 v[36:37], v[34:35], v[36:37], s[42:43]
	s_delay_alu instid0(VALU_DEP_1) | instskip(NEXT) | instid1(VALU_DEP_1)
	v_fma_f64 v[36:37], v[34:35], v[36:37], s[44:45]
	v_mul_f64_e32 v[44:45], v[42:43], v[36:37]
	s_delay_alu instid0(VALU_DEP_1) | instskip(NEXT) | instid1(VALU_DEP_1)
	v_fma_f64 v[40:41], v[42:43], v[36:37], -v[44:45]
	v_fma_f64 v[36:37], v[38:39], v[36:37], v[40:41]
	s_delay_alu instid0(VALU_DEP_1) | instskip(NEXT) | instid1(VALU_DEP_1)
	v_add_f64_e32 v[38:39], v[44:45], v[36:37]
	v_add_f64_e32 v[40:41], v[34:35], v[38:39]
	v_add_f64_e64 v[42:43], v[38:39], -v[44:45]
	s_delay_alu instid0(VALU_DEP_2) | instskip(NEXT) | instid1(VALU_DEP_2)
	v_add_f64_e64 v[34:35], v[40:41], -v[34:35]
	v_add_f64_e64 v[36:37], v[36:37], -v[42:43]
	s_delay_alu instid0(VALU_DEP_2) | instskip(NEXT) | instid1(VALU_DEP_2)
	v_add_f64_e64 v[34:35], v[38:39], -v[34:35]
	v_add_f64_e32 v[32:33], v[32:33], v[36:37]
	s_delay_alu instid0(VALU_DEP_1) | instskip(NEXT) | instid1(VALU_DEP_1)
	v_add_f64_e32 v[32:33], v[32:33], v[34:35]
	v_add_f64_e32 v[34:35], v[40:41], v[32:33]
	s_delay_alu instid0(VALU_DEP_1) | instskip(SKIP_1) | instid1(VALU_DEP_2)
	v_add_f64_e32 v[36:37], 1.0, v[34:35]
	v_add_f64_e64 v[38:39], v[34:35], -v[40:41]
	v_add_f64_e32 v[40:41], -1.0, v[36:37]
	s_delay_alu instid0(VALU_DEP_2) | instskip(NEXT) | instid1(VALU_DEP_2)
	v_add_f64_e64 v[32:33], v[32:33], -v[38:39]
	v_add_f64_e64 v[34:35], v[34:35], -v[40:41]
	s_delay_alu instid0(VALU_DEP_1) | instskip(NEXT) | instid1(VALU_DEP_1)
	v_add_f64_e32 v[32:33], v[32:33], v[34:35]
	v_add_f64_e32 v[30:31], v[36:37], v[32:33]
	s_delay_alu instid0(VALU_DEP_1) | instskip(SKIP_1) | instid1(VALU_DEP_2)
	v_ldexp_f64 v[34:35], v[30:31], v4
	v_add_f64_e64 v[30:31], v[30:31], -v[36:37]
	v_rcp_f64_e32 v[38:39], v[34:35]
	s_delay_alu instid0(VALU_DEP_1) | instskip(NEXT) | instid1(VALU_DEP_1)
	v_add_f64_e64 v[30:31], v[32:33], -v[30:31]
	v_ldexp_f64 v[30:31], v[30:31], v4
	s_delay_alu instid0(TRANS32_DEP_1) | instskip(NEXT) | instid1(VALU_DEP_1)
	v_fma_f64 v[40:41], -v[34:35], v[38:39], 1.0
	v_fma_f64 v[38:39], v[40:41], v[38:39], v[38:39]
	s_delay_alu instid0(VALU_DEP_1) | instskip(NEXT) | instid1(VALU_DEP_1)
	v_fma_f64 v[40:41], -v[34:35], v[38:39], 1.0
	v_fma_f64 v[36:37], v[40:41], v[38:39], v[38:39]
	s_delay_alu instid0(VALU_DEP_1) | instskip(NEXT) | instid1(VALU_DEP_1)
	v_mul_f64_e32 v[32:33], v[34:35], v[36:37]
	v_fma_f64 v[38:39], v[36:37], v[34:35], -v[32:33]
	s_delay_alu instid0(VALU_DEP_1) | instskip(NEXT) | instid1(VALU_DEP_1)
	v_fma_f64 v[38:39], v[36:37], v[30:31], v[38:39]
	v_add_f64_e32 v[40:41], v[32:33], v[38:39]
	s_delay_alu instid0(VALU_DEP_1) | instskip(SKIP_1) | instid1(VALU_DEP_2)
	v_add_f64_e64 v[42:43], -v[40:41], 1.0
	v_add_f64_e64 v[32:33], v[40:41], -v[32:33]
	v_add_f64_e64 v[44:45], -v[42:43], 1.0
	s_delay_alu instid0(VALU_DEP_2) | instskip(NEXT) | instid1(VALU_DEP_2)
	v_add_f64_e64 v[32:33], v[32:33], -v[38:39]
	v_add_f64_e64 v[38:39], v[44:45], -v[40:41]
	s_delay_alu instid0(VALU_DEP_1) | instskip(NEXT) | instid1(VALU_DEP_1)
	v_add_f64_e32 v[32:33], v[32:33], v[38:39]
	v_add_f64_e32 v[38:39], v[42:43], v[32:33]
	s_delay_alu instid0(VALU_DEP_1) | instskip(SKIP_1) | instid1(VALU_DEP_2)
	v_mul_f64_e32 v[40:41], v[36:37], v[38:39]
	v_add_f64_e64 v[42:43], v[42:43], -v[38:39]
	v_mul_f64_e32 v[44:45], v[34:35], v[40:41]
	s_delay_alu instid0(VALU_DEP_2) | instskip(NEXT) | instid1(VALU_DEP_2)
	v_add_f64_e32 v[32:33], v[32:33], v[42:43]
	v_fma_f64 v[46:47], v[40:41], v[34:35], -v[44:45]
	s_delay_alu instid0(VALU_DEP_1) | instskip(NEXT) | instid1(VALU_DEP_1)
	v_fma_f64 v[46:47], v[40:41], v[30:31], v[46:47]
	v_add_f64_e32 v[48:49], v[44:45], v[46:47]
	s_delay_alu instid0(VALU_DEP_1) | instskip(SKIP_1) | instid1(VALU_DEP_2)
	v_add_f64_e64 v[50:51], v[38:39], -v[48:49]
	v_add_f64_e64 v[42:43], v[48:49], -v[44:45]
	;; [unrolled: 1-line block ×3, first 2 shown]
	s_delay_alu instid0(VALU_DEP_2) | instskip(NEXT) | instid1(VALU_DEP_2)
	v_add_f64_e64 v[42:43], v[42:43], -v[46:47]
	v_add_f64_e64 v[38:39], v[38:39], -v[48:49]
	s_delay_alu instid0(VALU_DEP_1) | instskip(SKIP_1) | instid1(VALU_DEP_2)
	v_add_f64_e32 v[32:33], v[32:33], v[38:39]
	v_add_f64_e32 v[38:39], v[36:37], v[40:41]
	;; [unrolled: 1-line block ×3, first 2 shown]
	s_delay_alu instid0(VALU_DEP_2) | instskip(NEXT) | instid1(VALU_DEP_2)
	v_add_f64_e64 v[42:43], v[38:39], -v[36:37]
	v_add_f64_e32 v[32:33], v[50:51], v[32:33]
	s_delay_alu instid0(VALU_DEP_2) | instskip(NEXT) | instid1(VALU_DEP_2)
	v_add_f64_e64 v[40:41], v[40:41], -v[42:43]
	v_mul_f64_e32 v[32:33], v[36:37], v[32:33]
	s_delay_alu instid0(VALU_DEP_1) | instskip(NEXT) | instid1(VALU_DEP_1)
	v_add_f64_e32 v[32:33], v[40:41], v[32:33]
	v_add_f64_e32 v[36:37], v[38:39], v[32:33]
	s_delay_alu instid0(VALU_DEP_1) | instskip(SKIP_2) | instid1(VALU_DEP_3)
	v_add_f64_e32 v[40:41], v[34:35], v[36:37]
	v_add_f64_e64 v[38:39], v[36:37], -v[38:39]
	v_add_f64_e64 v[44:45], v[34:35], -v[36:37]
	;; [unrolled: 1-line block ×3, first 2 shown]
	s_delay_alu instid0(VALU_DEP_3) | instskip(NEXT) | instid1(VALU_DEP_3)
	v_add_f64_e64 v[32:33], v[32:33], -v[38:39]
	v_add_f64_e64 v[34:35], v[34:35], -v[44:45]
	s_delay_alu instid0(VALU_DEP_3) | instskip(NEXT) | instid1(VALU_DEP_3)
	v_add_f64_e64 v[38:39], v[36:37], -v[42:43]
	v_add_f64_e32 v[42:43], v[30:31], v[32:33]
	s_delay_alu instid0(VALU_DEP_3) | instskip(NEXT) | instid1(VALU_DEP_2)
	v_add_f64_e64 v[34:35], v[34:35], -v[36:37]
	v_add_f64_e32 v[38:39], v[42:43], v[38:39]
	s_delay_alu instid0(VALU_DEP_2) | instskip(NEXT) | instid1(VALU_DEP_2)
	v_add_f64_e32 v[30:31], v[30:31], v[34:35]
	v_add_f64_e32 v[42:43], v[40:41], v[38:39]
	s_delay_alu instid0(VALU_DEP_2) | instskip(NEXT) | instid1(VALU_DEP_2)
	v_add_f64_e64 v[30:31], v[30:31], -v[32:33]
	v_rcp_f64_e32 v[46:47], v[42:43]
	v_add_f64_e64 v[40:41], v[42:43], -v[40:41]
	s_delay_alu instid0(VALU_DEP_1) | instskip(NEXT) | instid1(TRANS32_DEP_1)
	v_add_f64_e64 v[38:39], v[38:39], -v[40:41]
	v_fma_f64 v[36:37], -v[42:43], v[46:47], 1.0
	s_delay_alu instid0(VALU_DEP_1) | instskip(SKIP_1) | instid1(VALU_DEP_2)
	v_fma_f64 v[34:35], v[36:37], v[46:47], v[46:47]
	v_add_f64_e32 v[36:37], v[44:45], v[30:31]
	v_fma_f64 v[32:33], -v[42:43], v[34:35], 1.0
	s_delay_alu instid0(VALU_DEP_1) | instskip(NEXT) | instid1(VALU_DEP_1)
	v_fma_f64 v[32:33], v[32:33], v[34:35], v[34:35]
	v_mul_f64_e32 v[34:35], v[36:37], v[32:33]
	s_delay_alu instid0(VALU_DEP_1) | instskip(NEXT) | instid1(VALU_DEP_1)
	v_mul_f64_e32 v[46:47], v[42:43], v[34:35]
	v_fma_f64 v[40:41], v[34:35], v[42:43], -v[46:47]
	s_delay_alu instid0(VALU_DEP_1) | instskip(NEXT) | instid1(VALU_DEP_1)
	v_fma_f64 v[38:39], v[34:35], v[38:39], v[40:41]
	v_add_f64_e32 v[40:41], v[46:47], v[38:39]
	s_delay_alu instid0(VALU_DEP_1) | instskip(SKIP_1) | instid1(VALU_DEP_2)
	v_add_f64_e64 v[42:43], v[36:37], -v[40:41]
	v_add_f64_e64 v[46:47], v[40:41], -v[46:47]
	;; [unrolled: 1-line block ×4, first 2 shown]
	s_delay_alu instid0(VALU_DEP_3) | instskip(NEXT) | instid1(VALU_DEP_3)
	v_add_f64_e64 v[38:39], v[38:39], -v[46:47]
	v_add_f64_e64 v[40:41], v[48:49], -v[40:41]
	s_delay_alu instid0(VALU_DEP_3) | instskip(NEXT) | instid1(VALU_DEP_2)
	v_add_f64_e64 v[30:31], v[30:31], -v[36:37]
	v_add_f64_e64 v[36:37], v[40:41], -v[38:39]
	s_delay_alu instid0(VALU_DEP_1) | instskip(SKIP_1) | instid1(VALU_DEP_2)
	v_add_f64_e32 v[30:31], v[30:31], v[36:37]
	v_add_f64_e64 v[36:37], -v[18:19], 1.0
	v_add_f64_e32 v[30:31], v[42:43], v[30:31]
	s_delay_alu instid0(VALU_DEP_1) | instskip(NEXT) | instid1(VALU_DEP_1)
	v_mul_f64_e32 v[30:31], v[32:33], v[30:31]
	v_add_f64_e32 v[30:31], v[34:35], v[30:31]
	s_wait_alu 0xfffd
	s_delay_alu instid0(VALU_DEP_1) | instskip(NEXT) | instid1(VALU_DEP_2)
	v_cndmask_b32_e32 v4, 0x3ff00000, v31, vcc_lo
	v_cndmask_b32_e32 v6, 0, v30, vcc_lo
	v_cmp_gt_f64_e64 vcc_lo, 0x3e400000, |v[26:27]|
	v_mul_f64_e32 v[30:31], v[18:19], v[24:25]
	s_wait_alu 0xfffd
	v_cndmask_b32_e32 v4, v4, v8, vcc_lo
	v_cndmask_b32_e32 v26, v6, v26, vcc_lo
	v_cmp_le_i32_e32 vcc_lo, s3, v0
	v_ashrrev_i32_e32 v6, 31, v5
	s_delay_alu instid0(VALU_DEP_4) | instskip(SKIP_2) | instid1(VALU_DEP_2)
	v_bfi_b32 v27, 0x7fffffff, v4, v27
	s_or_b32 s47, vcc_lo, s47
	v_add_co_u32 v10, vcc_lo, s10, v10
	v_fma_f64 v[32:33], -v[26:27], v[26:27], 1.0
	v_mul_f64_e32 v[24:25], v[26:27], v[24:25]
	s_wait_alu 0xfffd
	v_add_co_ci_u32_e64 v11, null, s11, v11, vcc_lo
	s_delay_alu instid0(VALU_DEP_3) | instskip(SKIP_3) | instid1(VALU_DEP_4)
	v_fma_f64 v[28:29], v[32:33], v[30:31], v[28:29]
	v_add_f64_e64 v[30:31], -v[16:17], 1.0
	v_add_f64_e64 v[32:33], -v[14:15], 1.0
	v_mul_f64_e32 v[24:25], v[36:37], v[24:25]
	v_mul_f64_e32 v[34:35], v[20:21], v[28:29]
	;; [unrolled: 1-line block ×3, first 2 shown]
	v_fma_f64 v[20:21], -v[20:21], v[20:21], 1.0
	s_delay_alu instid0(VALU_DEP_4)
	v_mul_f64_e32 v[18:19], v[18:19], v[24:25]
	v_lshlrev_b64_e32 v[24:25], 3, v[5:6]
	v_add_nc_u32_e32 v5, s56, v5
	v_mul_f64_e32 v[26:27], v[30:31], v[34:35]
	v_mul_f64_e32 v[22:23], v[32:33], v[22:23]
	;; [unrolled: 1-line block ×3, first 2 shown]
	v_mul_lo_u32 v32, v2, s46
	v_mul_lo_u32 v34, v13, s46
	v_ashrrev_i32_e32 v13, 31, v12
	s_delay_alu instid0(VALU_DEP_1) | instskip(NEXT) | instid1(VALU_DEP_4)
	v_lshlrev_b64_e32 v[12:13], 3, v[12:13]
	v_ashrrev_i32_e32 v33, 31, v32
	s_delay_alu instid0(VALU_DEP_4)
	v_ashrrev_i32_e32 v35, 31, v34
	v_mul_f64_e32 v[16:17], v[16:17], v[26:27]
	v_mul_f64_e32 v[22:23], v[14:15], v[22:23]
	v_mul_f64_e32 v[20:21], v[20:21], v[30:31]
	v_mul_f64_e32 v[14:15], v[14:15], v[28:29]
	v_lshlrev_b64_e32 v[26:27], 3, v[32:33]
	v_lshlrev_b64_e32 v[28:29], 3, v[34:35]
	s_delay_alu instid0(VALU_DEP_2) | instskip(SKIP_1) | instid1(VALU_DEP_3)
	v_add_co_u32 v26, vcc_lo, s10, v26
	s_wait_alu 0xfffd
	v_add_co_ci_u32_e64 v27, null, s11, v27, vcc_lo
	v_add_co_u32 v12, vcc_lo, s10, v12
	s_wait_alu 0xfffd
	v_add_co_ci_u32_e64 v13, null, s11, v13, vcc_lo
	;; [unrolled: 3-line block ×4, first 2 shown]
	s_clause 0x3
	global_store_b64 v[10:11], v[16:17], off
	global_store_b64 v[26:27], v[22:23], off
	;; [unrolled: 1-line block ×5, first 2 shown]
	s_wait_alu 0xfffe
	s_and_not1_b32 exec_lo, exec_lo, s47
	s_cbranch_execz .LBB16_7
.LBB16_3:                               ; =>This Inner Loop Header: Depth=1
	v_sub_nc_u32_e32 v2, 0, v0
	s_delay_alu instid0(VALU_DEP_1) | instskip(NEXT) | instid1(VALU_DEP_1)
	v_max_i32_e32 v2, v0, v2
	v_mul_hi_u32 v4, v2, s59
	s_delay_alu instid0(VALU_DEP_1) | instskip(NEXT) | instid1(VALU_DEP_1)
	v_mul_lo_u32 v6, v4, s51
	v_sub_nc_u32_e32 v2, v2, v6
	v_add_nc_u32_e32 v6, 1, v4
	s_delay_alu instid0(VALU_DEP_2) | instskip(SKIP_2) | instid1(VALU_DEP_3)
	v_subrev_nc_u32_e32 v8, s51, v2
	v_cmp_le_u32_e32 vcc_lo, s51, v2
	s_wait_alu 0xfffd
	v_cndmask_b32_e32 v4, v4, v6, vcc_lo
	s_delay_alu instid0(VALU_DEP_3) | instskip(SKIP_1) | instid1(VALU_DEP_3)
	v_cndmask_b32_e32 v2, v2, v8, vcc_lo
	v_ashrrev_i32_e32 v6, 31, v0
	v_add_nc_u32_e32 v8, 1, v4
	s_delay_alu instid0(VALU_DEP_3) | instskip(NEXT) | instid1(VALU_DEP_3)
	v_cmp_le_u32_e32 vcc_lo, s51, v2
	v_xor_b32_e32 v6, s53, v6
	s_wait_alu 0xfffd
	s_delay_alu instid0(VALU_DEP_3) | instskip(NEXT) | instid1(VALU_DEP_2)
	v_cndmask_b32_e32 v2, v4, v8, vcc_lo
	v_mul_i32_i24_e32 v4, 3, v6
	s_delay_alu instid0(VALU_DEP_2) | instskip(NEXT) | instid1(VALU_DEP_1)
	v_xor_b32_e32 v2, v2, v6
	v_lshl_add_u32 v8, v2, 1, v2
	v_sub_nc_u32_e32 v2, v2, v6
	s_delay_alu instid0(VALU_DEP_2) | instskip(SKIP_1) | instid1(VALU_DEP_3)
	v_sub_nc_u32_e32 v6, v8, v4
	v_ashrrev_i32_e32 v4, 31, v3
	v_mad_co_u64_u32 v[11:12], null, s48, v2, v[0:1]
	v_ashrrev_i32_e32 v2, 31, v1
	s_delay_alu instid0(VALU_DEP_4)
	v_mul_lo_u32 v8, s2, v6
	v_add_nc_u32_e32 v10, 2, v6
	v_lshlrev_b64_e32 v[19:20], 3, v[3:4]
	v_add_nc_u32_e32 v4, 3, v6
	v_lshlrev_b64_e32 v[15:16], 3, v[1:2]
	v_mul_lo_u32 v17, v11, s33
	v_mad_co_u64_u32 v[12:13], null, s2, v10, v[0:1]
	v_add3_u32 v2, v8, s2, v0
	v_mad_co_u64_u32 v[13:14], null, s2, v4, v[0:1]
	v_add_co_u32 v21, vcc_lo, s12, v15
	s_delay_alu instid0(VALU_DEP_3)
	v_mul_lo_u32 v14, v2, s33
	s_wait_alu 0xfffd
	v_add_co_ci_u32_e64 v22, null, s13, v16, vcc_lo
	v_mul_lo_u32 v16, v12, s33
	v_mul_lo_u32 v23, v13, s33
	v_ashrrev_i32_e32 v18, 31, v17
	v_add_co_u32 v27, vcc_lo, s14, v19
	v_ashrrev_i32_e32 v15, 31, v14
	s_wait_alu 0xfffd
	v_add_co_ci_u32_e64 v28, null, s15, v20, vcc_lo
	v_lshlrev_b64_e32 v[25:26], 3, v[17:18]
	v_ashrrev_i32_e32 v17, 31, v16
	v_ashrrev_i32_e32 v24, 31, v23
	v_lshlrev_b64_e32 v[14:15], 3, v[14:15]
	s_delay_alu instid0(VALU_DEP_3) | instskip(SKIP_1) | instid1(VALU_DEP_4)
	v_lshlrev_b64_e32 v[16:17], 3, v[16:17]
	v_add_co_u32 v18, vcc_lo, s8, v25
	v_lshlrev_b64_e32 v[23:24], 3, v[23:24]
	s_wait_alu 0xfffd
	v_add_co_ci_u32_e64 v19, null, s9, v26, vcc_lo
	v_add_co_u32 v14, vcc_lo, s8, v14
	s_wait_alu 0xfffd
	v_add_co_ci_u32_e64 v15, null, s9, v15, vcc_lo
	v_add_co_u32 v25, vcc_lo, s8, v16
	;; [unrolled: 3-line block ×3, first 2 shown]
	s_wait_alu 0xfffd
	v_add_co_ci_u32_e64 v30, null, s9, v24, vcc_lo
	global_load_b64 v[22:23], v[21:22], off
	s_clause 0x3
	global_load_b64 v[16:17], v[18:19], off
	global_load_b64 v[14:15], v[14:15], off
	;; [unrolled: 1-line block ×5, first 2 shown]
	v_mov_b32_e32 v28, 0
	v_dual_mov_b32 v24, 0 :: v_dual_mov_b32 v29, 0
	v_mov_b32_e32 v25, 0
	s_and_not1_b32 vcc_lo, exec_lo, s49
	s_wait_alu 0xfffe
	s_cbranch_vccnz .LBB16_5
; %bb.4:                                ;   in Loop: Header=BB16_3 Depth=1
	v_ashrrev_i32_e32 v8, 31, v7
	s_delay_alu instid0(VALU_DEP_1) | instskip(NEXT) | instid1(VALU_DEP_1)
	v_lshlrev_b64_e32 v[24:25], 3, v[7:8]
	v_add_co_u32 v24, vcc_lo, s4, v24
	s_wait_alu 0xfffd
	s_delay_alu instid0(VALU_DEP_2)
	v_add_co_ci_u32_e64 v25, null, s5, v25, vcc_lo
	global_load_b64 v[24:25], v[24:25], off
.LBB16_5:                               ;   in Loop: Header=BB16_3 Depth=1
	s_and_not1_b32 vcc_lo, exec_lo, s50
	s_wait_alu 0xfffe
	s_cbranch_vccnz .LBB16_2
; %bb.6:                                ;   in Loop: Header=BB16_3 Depth=1
	v_ashrrev_i32_e32 v10, 31, v9
	s_delay_alu instid0(VALU_DEP_1) | instskip(NEXT) | instid1(VALU_DEP_1)
	v_lshlrev_b64_e32 v[28:29], 3, v[9:10]
	v_add_co_u32 v28, vcc_lo, s6, v28
	s_wait_alu 0xfffd
	s_delay_alu instid0(VALU_DEP_2)
	v_add_co_ci_u32_e64 v29, null, s7, v29, vcc_lo
	global_load_b64 v[28:29], v[28:29], off
	s_branch .LBB16_2
.LBB16_7:
	s_endpgm
	.section	.rodata,"a",@progbits
	.p2align	6, 0x0
	.amdhsa_kernel _ZN2at6native12_GLOBAL__N_16kernel18lstm_cell_backwardIddiLi1EEEvNS_4cuda6detail10TensorInfoIT_T1_EES9_S9_S9_S9_S9_S9_S8_S8_
		.amdhsa_group_segment_fixed_size 0
		.amdhsa_private_segment_fixed_size 0
		.amdhsa_kernarg_size 1776
		.amdhsa_user_sgpr_count 2
		.amdhsa_user_sgpr_dispatch_ptr 0
		.amdhsa_user_sgpr_queue_ptr 0
		.amdhsa_user_sgpr_kernarg_segment_ptr 1
		.amdhsa_user_sgpr_dispatch_id 0
		.amdhsa_user_sgpr_private_segment_size 0
		.amdhsa_wavefront_size32 1
		.amdhsa_uses_dynamic_stack 0
		.amdhsa_enable_private_segment 0
		.amdhsa_system_sgpr_workgroup_id_x 1
		.amdhsa_system_sgpr_workgroup_id_y 0
		.amdhsa_system_sgpr_workgroup_id_z 0
		.amdhsa_system_sgpr_workgroup_info 0
		.amdhsa_system_vgpr_workitem_id 0
		.amdhsa_next_free_vgpr 52
		.amdhsa_next_free_sgpr 60
		.amdhsa_reserve_vcc 1
		.amdhsa_float_round_mode_32 0
		.amdhsa_float_round_mode_16_64 0
		.amdhsa_float_denorm_mode_32 3
		.amdhsa_float_denorm_mode_16_64 3
		.amdhsa_fp16_overflow 0
		.amdhsa_workgroup_processor_mode 1
		.amdhsa_memory_ordered 1
		.amdhsa_forward_progress 1
		.amdhsa_inst_pref_size 22
		.amdhsa_round_robin_scheduling 0
		.amdhsa_exception_fp_ieee_invalid_op 0
		.amdhsa_exception_fp_denorm_src 0
		.amdhsa_exception_fp_ieee_div_zero 0
		.amdhsa_exception_fp_ieee_overflow 0
		.amdhsa_exception_fp_ieee_underflow 0
		.amdhsa_exception_fp_ieee_inexact 0
		.amdhsa_exception_int_div_zero 0
	.end_amdhsa_kernel
	.section	.text._ZN2at6native12_GLOBAL__N_16kernel18lstm_cell_backwardIddiLi1EEEvNS_4cuda6detail10TensorInfoIT_T1_EES9_S9_S9_S9_S9_S9_S8_S8_,"axG",@progbits,_ZN2at6native12_GLOBAL__N_16kernel18lstm_cell_backwardIddiLi1EEEvNS_4cuda6detail10TensorInfoIT_T1_EES9_S9_S9_S9_S9_S9_S8_S8_,comdat
.Lfunc_end16:
	.size	_ZN2at6native12_GLOBAL__N_16kernel18lstm_cell_backwardIddiLi1EEEvNS_4cuda6detail10TensorInfoIT_T1_EES9_S9_S9_S9_S9_S9_S8_S8_, .Lfunc_end16-_ZN2at6native12_GLOBAL__N_16kernel18lstm_cell_backwardIddiLi1EEEvNS_4cuda6detail10TensorInfoIT_T1_EES9_S9_S9_S9_S9_S9_S8_S8_
                                        ; -- End function
	.set _ZN2at6native12_GLOBAL__N_16kernel18lstm_cell_backwardIddiLi1EEEvNS_4cuda6detail10TensorInfoIT_T1_EES9_S9_S9_S9_S9_S9_S8_S8_.num_vgpr, 52
	.set _ZN2at6native12_GLOBAL__N_16kernel18lstm_cell_backwardIddiLi1EEEvNS_4cuda6detail10TensorInfoIT_T1_EES9_S9_S9_S9_S9_S9_S8_S8_.num_agpr, 0
	.set _ZN2at6native12_GLOBAL__N_16kernel18lstm_cell_backwardIddiLi1EEEvNS_4cuda6detail10TensorInfoIT_T1_EES9_S9_S9_S9_S9_S9_S8_S8_.numbered_sgpr, 60
	.set _ZN2at6native12_GLOBAL__N_16kernel18lstm_cell_backwardIddiLi1EEEvNS_4cuda6detail10TensorInfoIT_T1_EES9_S9_S9_S9_S9_S9_S8_S8_.num_named_barrier, 0
	.set _ZN2at6native12_GLOBAL__N_16kernel18lstm_cell_backwardIddiLi1EEEvNS_4cuda6detail10TensorInfoIT_T1_EES9_S9_S9_S9_S9_S9_S8_S8_.private_seg_size, 0
	.set _ZN2at6native12_GLOBAL__N_16kernel18lstm_cell_backwardIddiLi1EEEvNS_4cuda6detail10TensorInfoIT_T1_EES9_S9_S9_S9_S9_S9_S8_S8_.uses_vcc, 1
	.set _ZN2at6native12_GLOBAL__N_16kernel18lstm_cell_backwardIddiLi1EEEvNS_4cuda6detail10TensorInfoIT_T1_EES9_S9_S9_S9_S9_S9_S8_S8_.uses_flat_scratch, 0
	.set _ZN2at6native12_GLOBAL__N_16kernel18lstm_cell_backwardIddiLi1EEEvNS_4cuda6detail10TensorInfoIT_T1_EES9_S9_S9_S9_S9_S9_S8_S8_.has_dyn_sized_stack, 0
	.set _ZN2at6native12_GLOBAL__N_16kernel18lstm_cell_backwardIddiLi1EEEvNS_4cuda6detail10TensorInfoIT_T1_EES9_S9_S9_S9_S9_S9_S8_S8_.has_recursion, 0
	.set _ZN2at6native12_GLOBAL__N_16kernel18lstm_cell_backwardIddiLi1EEEvNS_4cuda6detail10TensorInfoIT_T1_EES9_S9_S9_S9_S9_S9_S8_S8_.has_indirect_call, 0
	.section	.AMDGPU.csdata,"",@progbits
; Kernel info:
; codeLenInByte = 2764
; TotalNumSgprs: 62
; NumVgprs: 52
; ScratchSize: 0
; MemoryBound: 0
; FloatMode: 240
; IeeeMode: 1
; LDSByteSize: 0 bytes/workgroup (compile time only)
; SGPRBlocks: 0
; VGPRBlocks: 6
; NumSGPRsForWavesPerEU: 62
; NumVGPRsForWavesPerEU: 52
; Occupancy: 16
; WaveLimiterHint : 1
; COMPUTE_PGM_RSRC2:SCRATCH_EN: 0
; COMPUTE_PGM_RSRC2:USER_SGPR: 2
; COMPUTE_PGM_RSRC2:TRAP_HANDLER: 0
; COMPUTE_PGM_RSRC2:TGID_X_EN: 1
; COMPUTE_PGM_RSRC2:TGID_Y_EN: 0
; COMPUTE_PGM_RSRC2:TGID_Z_EN: 0
; COMPUTE_PGM_RSRC2:TIDIG_COMP_CNT: 0
	.section	.text._ZN2at6native12_GLOBAL__N_16kernel18lstm_cell_backwardIddiLi2EEEvNS_4cuda6detail10TensorInfoIT_T1_EES9_S9_S9_S9_S9_S9_S8_S8_,"axG",@progbits,_ZN2at6native12_GLOBAL__N_16kernel18lstm_cell_backwardIddiLi2EEEvNS_4cuda6detail10TensorInfoIT_T1_EES9_S9_S9_S9_S9_S9_S8_S8_,comdat
	.globl	_ZN2at6native12_GLOBAL__N_16kernel18lstm_cell_backwardIddiLi2EEEvNS_4cuda6detail10TensorInfoIT_T1_EES9_S9_S9_S9_S9_S9_S8_S8_ ; -- Begin function _ZN2at6native12_GLOBAL__N_16kernel18lstm_cell_backwardIddiLi2EEEvNS_4cuda6detail10TensorInfoIT_T1_EES9_S9_S9_S9_S9_S9_S8_S8_
	.p2align	8
	.type	_ZN2at6native12_GLOBAL__N_16kernel18lstm_cell_backwardIddiLi2EEEvNS_4cuda6detail10TensorInfoIT_T1_EES9_S9_S9_S9_S9_S9_S8_S8_,@function
_ZN2at6native12_GLOBAL__N_16kernel18lstm_cell_backwardIddiLi2EEEvNS_4cuda6detail10TensorInfoIT_T1_EES9_S9_S9_S9_S9_S9_S8_S8_: ; @_ZN2at6native12_GLOBAL__N_16kernel18lstm_cell_backwardIddiLi2EEEvNS_4cuda6detail10TensorInfoIT_T1_EES9_S9_S9_S9_S9_S9_S8_S8_
; %bb.0:
	s_clause 0x1
	s_load_b32 s2, s[0:1], 0x5fc
	s_load_b64 s[4:5], s[0:1], 0x5e8
	s_mov_b32 s3, exec_lo
	s_wait_kmcnt 0x0
	s_and_b32 s2, s2, 0xffff
	s_delay_alu instid0(SALU_CYCLE_1) | instskip(NEXT) | instid1(VALU_DEP_1)
	v_mad_co_u64_u32 v[0:1], null, ttmp9, s2, v[0:1]
	v_cmpx_gt_i32_e64 s5, v0
	s_cbranch_execz .LBB17_7
; %bb.1:
	s_clause 0xb
	s_load_b64 s[6:7], s[0:1], 0x360
	s_load_b64 s[8:9], s[0:1], 0x438
	s_load_b32 s33, s[0:1], 0xc
	s_load_b32 s3, s[0:1], 0x36c
	s_load_b64 s[10:11], s[0:1], 0x3cc
	s_load_b32 s64, s[0:1], 0xe4
	s_load_b64 s[12:13], s[0:1], 0x0
	s_load_b64 s[14:15], s[0:1], 0x6c
	;; [unrolled: 1-line block ×5, first 2 shown]
	s_load_b32 s36, s[0:1], 0x1bc
	s_add_nc_u64 s[22:23], s[0:1], 0x5f0
	s_load_b64 s[34:35], s[0:1], 0x57c
	s_load_b32 s71, s[22:23], 0x0
	s_clause 0x3
	s_load_b64 s[22:23], s[0:1], 0x21c
	s_load_b64 s[24:25], s[0:1], 0x288
	s_load_b32 s37, s[0:1], 0x294
	s_load_b64 s[26:27], s[0:1], 0x2f4
	s_mov_b32 s44, 0xfca7ab0c
	s_mov_b32 s46, 0x6a5dcb37
	;; [unrolled: 1-line block ×9, first 2 shown]
	s_wait_kmcnt 0x0
	s_cmp_lg_u64 s[6:7], 0
	s_mov_b32 s62, 11
	s_cselect_b32 s65, -1, 0
	s_cmp_lg_u64 s[8:9], 0
	s_mov_b32 s70, 0
	s_cselect_b32 s66, -1, 0
	s_abs_i32 s68, s33
	s_abs_i32 s67, s4
	s_cvt_f32_u32 s29, s68
	s_cvt_f32_u32 s28, s67
	s_abs_i32 s69, s64
	s_abs_i32 s74, s36
	v_rcp_iflag_f32_e32 v2, s29
	v_rcp_iflag_f32_e32 v1, s28
	s_cvt_f32_u32 s40, s69
	s_clause 0x3
	s_load_b32 s38, s[0:1], 0x444
	s_load_b64 s[28:29], s[0:1], 0x4a4
	s_load_b64 s[30:31], s[0:1], 0x510
	s_load_b32 s39, s[0:1], 0x51c
	s_sub_co_i32 s42, 0, s68
	s_mul_i32 s71, s71, s2
	v_rcp_iflag_f32_e32 v3, s40
	s_cvt_f32_u32 s40, s74
	s_sub_co_i32 s2, 0, s67
	s_abs_i32 s77, s37
	v_readfirstlane_b32 s1, v2
	v_readfirstlane_b32 s0, v1
	s_wait_alu 0xfffe
	v_rcp_iflag_f32_e32 v1, s40
	s_abs_i32 s83, s3
	s_ashr_i32 s81, s36, 31
	s_mul_f32 s1, s1, 0x4f7ffffe
	s_mul_f32 s0, s0, 0x4f7ffffe
	v_readfirstlane_b32 s41, v3
	s_ashr_i32 s85, s37, 31
	s_wait_alu 0xfffe
	s_cvt_u32_f32 s1, s1
	s_cvt_u32_f32 s0, s0
	s_wait_kmcnt 0x0
	s_abs_i32 s84, s38
	s_mul_f32 s40, s41, 0x4f7ffffe
	s_wait_alu 0xfffe
	s_mul_i32 s42, s42, s1
	s_mul_i32 s2, s2, s0
	s_mul_hi_u32 s41, s1, s42
	s_wait_alu 0xfffe
	s_mul_hi_u32 s2, s0, s2
	s_add_co_i32 s76, s1, s41
	v_readfirstlane_b32 s1, v1
	s_wait_alu 0xfffe
	s_add_co_i32 s75, s0, s2
	s_cvt_u32_f32 s0, s40
	s_cvt_f32_u32 s2, s77
	s_sub_co_i32 s40, 0, s69
	s_mul_f32 s1, s1, 0x4f7ffffe
	s_wait_alu 0xfffe
	s_mul_i32 s40, s40, s0
	s_abs_i32 s79, s39
	v_rcp_iflag_f32_e32 v1, s2
	s_wait_alu 0xfffe
	s_mul_hi_u32 s2, s0, s40
	s_cvt_f32_u32 s40, s79
	s_cvt_u32_f32 s1, s1
	s_wait_alu 0xfffe
	s_add_co_i32 s80, s0, s2
	s_sub_co_i32 s0, 0, s74
	v_rcp_iflag_f32_e32 v2, s40
	s_wait_alu 0xfffe
	s_mul_i32 s0, s0, s1
	s_cvt_f32_u32 s40, s84
	s_wait_alu 0xfffe
	s_mul_hi_u32 s0, s1, s0
	v_readfirstlane_b32 s2, v1
	s_wait_alu 0xfffe
	s_add_co_i32 s82, s1, s0
	s_cvt_f32_u32 s1, s83
	s_ashr_i32 s87, s39, 31
	s_ashr_i32 s91, s38, 31
	s_mul_f32 s0, s2, 0x4f7ffffe
	v_readfirstlane_b32 s2, v2
	s_wait_alu 0xfffe
	v_rcp_iflag_f32_e32 v1, s1
	v_rcp_iflag_f32_e32 v2, s40
	s_cvt_u32_f32 s0, s0
	s_sub_co_i32 s1, 0, s77
	s_mul_f32 s2, s2, 0x4f7ffffe
	s_sub_co_i32 s40, 0, s79
	s_wait_alu 0xfffe
	s_mul_i32 s1, s1, s0
	s_sub_co_i32 s94, 0, s36
	s_cvt_u32_f32 s2, s2
	s_wait_alu 0xfffe
	s_mul_hi_u32 s1, s0, s1
	v_readfirstlane_b32 s41, v1
	s_wait_alu 0xfffe
	s_add_co_i32 s86, s0, s1
	v_readfirstlane_b32 s0, v2
	s_mul_i32 s40, s40, s2
	s_sub_co_i32 s95, 0, s37
	s_wait_alu 0xfffe
	s_mul_hi_u32 s1, s2, s40
	s_mul_f32 s40, s41, 0x4f7ffffe
	s_mul_f32 s0, s0, 0x4f7ffffe
	s_wait_alu 0xfffe
	s_add_co_i32 s88, s2, s1
	s_sub_co_i32 s2, 0, s83
	s_cvt_u32_f32 s1, s40
	s_cvt_u32_f32 s0, s0
	s_sub_co_i32 s40, 0, s84
	s_sub_co_i32 s96, 0, s39
	s_wait_alu 0xfffe
	s_mul_i32 s2, s2, s1
	s_mul_i32 s40, s40, s0
	s_wait_alu 0xfffe
	s_mul_hi_u32 s2, s1, s2
	s_sub_co_i32 s98, 0, s38
	s_wait_alu 0xfffe
	s_add_co_i32 s90, s1, s2
	s_mul_hi_u32 s1, s0, s40
	s_mov_b32 s36, 0x652b82fe
	s_mov_b32 s38, 0xfefa3000
	;; [unrolled: 1-line block ×4, first 2 shown]
	s_ashr_i32 s72, s4, 31
	s_ashr_i32 s73, s33, 31
	;; [unrolled: 1-line block ×4, first 2 shown]
	s_wait_alu 0xfffe
	s_add_co_i32 s92, s0, s1
	s_mul_i32 s93, s4, 3
	s_sub_co_i32 s97, 0, s3
	s_mov_b32 s37, 0x3ff71547
	s_mov_b32 s39, 0xbfe62e42
	;; [unrolled: 1-line block ×14, first 2 shown]
	s_branch .LBB17_3
.LBB17_2:                               ;   in Loop: Header=BB17_3 Depth=1
	s_wait_loadcnt 0x0
	v_mul_f64_e64 v[31:32], |v[14:15]|, s[36:37]
	v_cmp_nlt_f64_e64 vcc_lo, 0x40331000, |v[14:15]|
	v_xor_b32_e32 v22, s87, v22
	s_delay_alu instid0(VALU_DEP_3) | instskip(NEXT) | instid1(VALU_DEP_1)
	v_rndne_f64_e32 v[31:32], v[31:32]
	v_fma_f64 v[33:34], v[31:32], s[38:39], |v[14:15]|
	v_mul_f64_e32 v[35:36], s[40:41], v[31:32]
	s_delay_alu instid0(VALU_DEP_2) | instskip(NEXT) | instid1(VALU_DEP_1)
	v_add_f64_e32 v[37:38], 0, v[33:34]
	v_add_f64_e32 v[39:40], v[37:38], v[35:36]
	v_add_f64_e64 v[33:34], v[33:34], -v[37:38]
	s_delay_alu instid0(VALU_DEP_2) | instskip(NEXT) | instid1(VALU_DEP_2)
	v_add_f64_e64 v[37:38], v[37:38], -v[39:40]
	v_add_f64_e32 v[33:34], 0, v[33:34]
	s_delay_alu instid0(VALU_DEP_2) | instskip(NEXT) | instid1(VALU_DEP_1)
	v_add_f64_e32 v[35:36], v[37:38], v[35:36]
	v_add_f64_e32 v[33:34], v[33:34], v[35:36]
	v_mul_f64_e32 v[35:36], s[42:43], v[31:32]
	s_delay_alu instid0(VALU_DEP_2) | instskip(NEXT) | instid1(VALU_DEP_1)
	v_add_f64_e32 v[37:38], v[39:40], v[33:34]
	v_add_f64_e32 v[41:42], v[37:38], v[35:36]
	v_add_f64_e64 v[39:40], v[39:40], -v[37:38]
	s_delay_alu instid0(VALU_DEP_2) | instskip(NEXT) | instid1(VALU_DEP_2)
	v_add_f64_e64 v[37:38], v[37:38], -v[41:42]
	v_add_f64_e32 v[33:34], v[33:34], v[39:40]
	s_delay_alu instid0(VALU_DEP_2) | instskip(NEXT) | instid1(VALU_DEP_1)
	v_add_f64_e32 v[35:36], v[37:38], v[35:36]
	v_add_f64_e32 v[33:34], v[33:34], v[35:36]
	s_delay_alu instid0(VALU_DEP_1) | instskip(NEXT) | instid1(VALU_DEP_1)
	v_add_f64_e32 v[35:36], v[41:42], v[33:34]
	v_fma_f64 v[37:38], v[35:36], s[46:47], s[44:45]
	v_add_f64_e64 v[39:40], v[41:42], -v[35:36]
	v_mul_f64_e32 v[41:42], v[35:36], v[35:36]
	s_delay_alu instid0(VALU_DEP_3) | instskip(NEXT) | instid1(VALU_DEP_3)
	v_fma_f64 v[37:38], v[35:36], v[37:38], s[48:49]
	v_add_f64_e32 v[33:34], v[33:34], v[39:40]
	s_delay_alu instid0(VALU_DEP_3) | instskip(NEXT) | instid1(VALU_DEP_3)
	v_fma_f64 v[39:40], v[35:36], v[35:36], -v[41:42]
	v_fma_f64 v[37:38], v[35:36], v[37:38], s[50:51]
	s_delay_alu instid0(VALU_DEP_3) | instskip(NEXT) | instid1(VALU_DEP_2)
	v_add_f64_e32 v[43:44], v[33:34], v[33:34]
	v_fma_f64 v[37:38], v[35:36], v[37:38], s[52:53]
	s_delay_alu instid0(VALU_DEP_2) | instskip(NEXT) | instid1(VALU_DEP_2)
	v_fma_f64 v[39:40], v[35:36], v[43:44], v[39:40]
	v_fma_f64 v[37:38], v[35:36], v[37:38], s[54:55]
	s_delay_alu instid0(VALU_DEP_2) | instskip(NEXT) | instid1(VALU_DEP_2)
	v_add_f64_e32 v[43:44], v[41:42], v[39:40]
	v_fma_f64 v[37:38], v[35:36], v[37:38], s[56:57]
	s_delay_alu instid0(VALU_DEP_2) | instskip(NEXT) | instid1(VALU_DEP_2)
	v_add_f64_e64 v[41:42], v[43:44], -v[41:42]
	v_fma_f64 v[37:38], v[35:36], v[37:38], s[58:59]
	s_delay_alu instid0(VALU_DEP_2) | instskip(NEXT) | instid1(VALU_DEP_2)
	v_add_f64_e64 v[39:40], v[39:40], -v[41:42]
	v_fma_f64 v[37:38], v[35:36], v[37:38], s[60:61]
	s_delay_alu instid0(VALU_DEP_1) | instskip(NEXT) | instid1(VALU_DEP_1)
	v_fma_f64 v[37:38], v[35:36], v[37:38], s[62:63]
	v_mul_f64_e32 v[45:46], v[43:44], v[37:38]
	s_delay_alu instid0(VALU_DEP_1) | instskip(NEXT) | instid1(VALU_DEP_1)
	v_fma_f64 v[41:42], v[43:44], v[37:38], -v[45:46]
	v_fma_f64 v[37:38], v[39:40], v[37:38], v[41:42]
	s_delay_alu instid0(VALU_DEP_1) | instskip(NEXT) | instid1(VALU_DEP_1)
	v_add_f64_e32 v[39:40], v[45:46], v[37:38]
	v_add_f64_e32 v[41:42], v[35:36], v[39:40]
	v_add_f64_e64 v[43:44], v[39:40], -v[45:46]
	s_delay_alu instid0(VALU_DEP_2) | instskip(NEXT) | instid1(VALU_DEP_2)
	v_add_f64_e64 v[35:36], v[41:42], -v[35:36]
	v_add_f64_e64 v[37:38], v[37:38], -v[43:44]
	v_cvt_i32_f64_e32 v43, v[31:32]
	s_delay_alu instid0(VALU_DEP_3) | instskip(NEXT) | instid1(VALU_DEP_3)
	v_add_f64_e64 v[35:36], v[39:40], -v[35:36]
	v_add_f64_e32 v[33:34], v[33:34], v[37:38]
	s_delay_alu instid0(VALU_DEP_1) | instskip(NEXT) | instid1(VALU_DEP_1)
	v_add_f64_e32 v[33:34], v[33:34], v[35:36]
	v_add_f64_e32 v[35:36], v[41:42], v[33:34]
	s_delay_alu instid0(VALU_DEP_1) | instskip(SKIP_1) | instid1(VALU_DEP_2)
	v_add_f64_e32 v[37:38], 1.0, v[35:36]
	v_add_f64_e64 v[39:40], v[35:36], -v[41:42]
	v_add_f64_e32 v[41:42], -1.0, v[37:38]
	s_delay_alu instid0(VALU_DEP_2) | instskip(NEXT) | instid1(VALU_DEP_2)
	v_add_f64_e64 v[33:34], v[33:34], -v[39:40]
	v_add_f64_e64 v[35:36], v[35:36], -v[41:42]
	s_delay_alu instid0(VALU_DEP_1) | instskip(NEXT) | instid1(VALU_DEP_1)
	v_add_f64_e32 v[33:34], v[33:34], v[35:36]
	v_add_f64_e32 v[31:32], v[37:38], v[33:34]
	s_delay_alu instid0(VALU_DEP_1) | instskip(SKIP_1) | instid1(VALU_DEP_2)
	v_ldexp_f64 v[35:36], v[31:32], v43
	v_add_f64_e64 v[31:32], v[31:32], -v[37:38]
	v_rcp_f64_e32 v[39:40], v[35:36]
	s_delay_alu instid0(VALU_DEP_1) | instskip(NEXT) | instid1(VALU_DEP_1)
	v_add_f64_e64 v[31:32], v[33:34], -v[31:32]
	v_ldexp_f64 v[31:32], v[31:32], v43
	s_delay_alu instid0(TRANS32_DEP_1) | instskip(NEXT) | instid1(VALU_DEP_1)
	v_fma_f64 v[41:42], -v[35:36], v[39:40], 1.0
	v_fma_f64 v[39:40], v[41:42], v[39:40], v[39:40]
	s_delay_alu instid0(VALU_DEP_1) | instskip(NEXT) | instid1(VALU_DEP_1)
	v_fma_f64 v[41:42], -v[35:36], v[39:40], 1.0
	v_fma_f64 v[37:38], v[41:42], v[39:40], v[39:40]
	s_delay_alu instid0(VALU_DEP_1) | instskip(NEXT) | instid1(VALU_DEP_1)
	v_mul_f64_e32 v[33:34], v[35:36], v[37:38]
	v_fma_f64 v[39:40], v[37:38], v[35:36], -v[33:34]
	s_delay_alu instid0(VALU_DEP_1) | instskip(NEXT) | instid1(VALU_DEP_1)
	v_fma_f64 v[39:40], v[37:38], v[31:32], v[39:40]
	v_add_f64_e32 v[41:42], v[33:34], v[39:40]
	s_delay_alu instid0(VALU_DEP_1) | instskip(SKIP_1) | instid1(VALU_DEP_2)
	v_add_f64_e64 v[43:44], -v[41:42], 1.0
	v_add_f64_e64 v[33:34], v[41:42], -v[33:34]
	v_add_f64_e64 v[45:46], -v[43:44], 1.0
	s_delay_alu instid0(VALU_DEP_2) | instskip(NEXT) | instid1(VALU_DEP_2)
	v_add_f64_e64 v[33:34], v[33:34], -v[39:40]
	v_add_f64_e64 v[39:40], v[45:46], -v[41:42]
	s_delay_alu instid0(VALU_DEP_1) | instskip(NEXT) | instid1(VALU_DEP_1)
	v_add_f64_e32 v[33:34], v[33:34], v[39:40]
	v_add_f64_e32 v[39:40], v[43:44], v[33:34]
	s_delay_alu instid0(VALU_DEP_1) | instskip(SKIP_1) | instid1(VALU_DEP_2)
	v_mul_f64_e32 v[41:42], v[37:38], v[39:40]
	v_add_f64_e64 v[43:44], v[43:44], -v[39:40]
	v_mul_f64_e32 v[45:46], v[35:36], v[41:42]
	s_delay_alu instid0(VALU_DEP_2) | instskip(NEXT) | instid1(VALU_DEP_2)
	v_add_f64_e32 v[33:34], v[33:34], v[43:44]
	v_fma_f64 v[47:48], v[41:42], v[35:36], -v[45:46]
	s_delay_alu instid0(VALU_DEP_1) | instskip(NEXT) | instid1(VALU_DEP_1)
	v_fma_f64 v[47:48], v[41:42], v[31:32], v[47:48]
	v_add_f64_e32 v[49:50], v[45:46], v[47:48]
	s_delay_alu instid0(VALU_DEP_1) | instskip(SKIP_1) | instid1(VALU_DEP_2)
	v_add_f64_e64 v[51:52], v[39:40], -v[49:50]
	v_add_f64_e64 v[43:44], v[49:50], -v[45:46]
	;; [unrolled: 1-line block ×3, first 2 shown]
	s_delay_alu instid0(VALU_DEP_2) | instskip(NEXT) | instid1(VALU_DEP_2)
	v_add_f64_e64 v[43:44], v[43:44], -v[47:48]
	v_add_f64_e64 v[39:40], v[39:40], -v[49:50]
	s_delay_alu instid0(VALU_DEP_1) | instskip(SKIP_1) | instid1(VALU_DEP_2)
	v_add_f64_e32 v[33:34], v[33:34], v[39:40]
	v_add_f64_e32 v[39:40], v[37:38], v[41:42]
	;; [unrolled: 1-line block ×3, first 2 shown]
	s_delay_alu instid0(VALU_DEP_2) | instskip(NEXT) | instid1(VALU_DEP_2)
	v_add_f64_e64 v[43:44], v[39:40], -v[37:38]
	v_add_f64_e32 v[33:34], v[51:52], v[33:34]
	s_delay_alu instid0(VALU_DEP_2) | instskip(NEXT) | instid1(VALU_DEP_2)
	v_add_f64_e64 v[41:42], v[41:42], -v[43:44]
	v_mul_f64_e32 v[33:34], v[37:38], v[33:34]
	s_delay_alu instid0(VALU_DEP_1) | instskip(NEXT) | instid1(VALU_DEP_1)
	v_add_f64_e32 v[33:34], v[41:42], v[33:34]
	v_add_f64_e32 v[37:38], v[39:40], v[33:34]
	s_delay_alu instid0(VALU_DEP_1) | instskip(SKIP_2) | instid1(VALU_DEP_3)
	v_add_f64_e32 v[41:42], v[35:36], v[37:38]
	v_add_f64_e64 v[39:40], v[37:38], -v[39:40]
	v_add_f64_e64 v[45:46], v[35:36], -v[37:38]
	;; [unrolled: 1-line block ×3, first 2 shown]
	s_delay_alu instid0(VALU_DEP_3) | instskip(NEXT) | instid1(VALU_DEP_3)
	v_add_f64_e64 v[33:34], v[33:34], -v[39:40]
	v_add_f64_e64 v[35:36], v[35:36], -v[45:46]
	s_delay_alu instid0(VALU_DEP_3) | instskip(NEXT) | instid1(VALU_DEP_3)
	v_add_f64_e64 v[39:40], v[37:38], -v[43:44]
	v_add_f64_e32 v[43:44], v[31:32], v[33:34]
	s_delay_alu instid0(VALU_DEP_3) | instskip(NEXT) | instid1(VALU_DEP_2)
	v_add_f64_e64 v[35:36], v[35:36], -v[37:38]
	v_add_f64_e32 v[39:40], v[43:44], v[39:40]
	s_delay_alu instid0(VALU_DEP_2) | instskip(NEXT) | instid1(VALU_DEP_2)
	v_add_f64_e32 v[31:32], v[31:32], v[35:36]
	v_add_f64_e32 v[43:44], v[41:42], v[39:40]
	s_delay_alu instid0(VALU_DEP_2) | instskip(NEXT) | instid1(VALU_DEP_2)
	v_add_f64_e64 v[31:32], v[31:32], -v[33:34]
	v_rcp_f64_e32 v[47:48], v[43:44]
	v_add_f64_e64 v[41:42], v[43:44], -v[41:42]
	s_delay_alu instid0(VALU_DEP_1) | instskip(NEXT) | instid1(TRANS32_DEP_1)
	v_add_f64_e64 v[39:40], v[39:40], -v[41:42]
	v_fma_f64 v[37:38], -v[43:44], v[47:48], 1.0
	s_delay_alu instid0(VALU_DEP_1) | instskip(SKIP_1) | instid1(VALU_DEP_2)
	v_fma_f64 v[35:36], v[37:38], v[47:48], v[47:48]
	v_add_f64_e32 v[37:38], v[45:46], v[31:32]
	v_fma_f64 v[33:34], -v[43:44], v[35:36], 1.0
	s_delay_alu instid0(VALU_DEP_1) | instskip(NEXT) | instid1(VALU_DEP_1)
	v_fma_f64 v[33:34], v[33:34], v[35:36], v[35:36]
	v_mul_f64_e32 v[35:36], v[37:38], v[33:34]
	s_delay_alu instid0(VALU_DEP_1) | instskip(NEXT) | instid1(VALU_DEP_1)
	v_mul_f64_e32 v[47:48], v[43:44], v[35:36]
	v_fma_f64 v[41:42], v[35:36], v[43:44], -v[47:48]
	s_delay_alu instid0(VALU_DEP_1) | instskip(NEXT) | instid1(VALU_DEP_1)
	v_fma_f64 v[39:40], v[35:36], v[39:40], v[41:42]
	v_add_f64_e32 v[41:42], v[47:48], v[39:40]
	s_delay_alu instid0(VALU_DEP_1) | instskip(SKIP_1) | instid1(VALU_DEP_2)
	v_add_f64_e64 v[43:44], v[37:38], -v[41:42]
	v_add_f64_e64 v[47:48], v[41:42], -v[47:48]
	;; [unrolled: 1-line block ×4, first 2 shown]
	s_delay_alu instid0(VALU_DEP_3) | instskip(NEXT) | instid1(VALU_DEP_3)
	v_add_f64_e64 v[39:40], v[39:40], -v[47:48]
	v_add_f64_e64 v[41:42], v[49:50], -v[41:42]
	s_delay_alu instid0(VALU_DEP_3) | instskip(NEXT) | instid1(VALU_DEP_2)
	v_add_f64_e64 v[31:32], v[31:32], -v[37:38]
	v_add_f64_e64 v[37:38], v[41:42], -v[39:40]
	v_mul_hi_u32 v42, v26, s80
	v_mul_hi_u32 v40, v25, s80
	v_xor_b32_e32 v39, s78, v29
	v_xor_b32_e32 v41, s78, v30
	v_add_f64_e64 v[29:30], -v[4:5], 1.0
	v_mul_lo_u32 v49, v42, s69
	v_mul_lo_u32 v48, v40, s69
	v_add_nc_u32_e32 v52, 1, v42
	s_delay_alu instid0(VALU_DEP_3) | instskip(NEXT) | instid1(VALU_DEP_3)
	v_sub_nc_u32_e32 v26, v26, v49
	v_sub_nc_u32_e32 v25, v25, v48
	s_delay_alu instid0(VALU_DEP_2) | instskip(NEXT) | instid1(VALU_DEP_2)
	v_cmp_le_u32_e64 s2, s69, v26
	v_cmp_le_u32_e64 s1, s69, v25
	v_add_f64_e32 v[31:32], v[31:32], v[37:38]
	v_mul_hi_u32 v38, v24, s80
	v_xor_b32_e32 v37, s78, v28
	s_delay_alu instid0(VALU_DEP_2) | instskip(SKIP_1) | instid1(VALU_DEP_1)
	v_add_nc_u32_e32 v47, 1, v38
	v_mul_lo_u32 v46, v38, s69
	v_sub_nc_u32_e32 v24, v24, v46
	v_subrev_nc_u32_e32 v46, s69, v25
	s_delay_alu instid0(VALU_DEP_2) | instskip(SKIP_1) | instid1(VALU_DEP_2)
	v_cmp_le_u32_e64 s0, s69, v24
	s_wait_alu 0xf1ff
	v_cndmask_b32_e64 v25, v25, v46, s1
	s_delay_alu instid0(VALU_DEP_2) | instskip(SKIP_2) | instid1(VALU_DEP_1)
	v_cndmask_b32_e64 v38, v38, v47, s0
	v_add_f64_e32 v[31:32], v[43:44], v[31:32]
	v_mul_hi_u32 v43, v18, s88
	v_mul_lo_u32 v50, v43, s79
	s_delay_alu instid0(VALU_DEP_1) | instskip(NEXT) | instid1(VALU_DEP_1)
	v_sub_nc_u32_e32 v18, v18, v50
	v_cmp_le_u32_e64 s3, s79, v18
	v_mul_f64_e32 v[31:32], v[33:34], v[31:32]
	s_delay_alu instid0(VALU_DEP_1) | instskip(SKIP_3) | instid1(VALU_DEP_3)
	v_add_f64_e32 v[31:32], v[35:36], v[31:32]
	v_mul_hi_u32 v36, v23, s80
	v_xor_b32_e32 v35, s78, v27
	v_add_f64_e64 v[27:28], -v[2:3], 1.0
	v_mul_lo_u32 v44, v36, s69
	v_add_nc_u32_e32 v45, 1, v36
	s_delay_alu instid0(VALU_DEP_2) | instskip(NEXT) | instid1(VALU_DEP_1)
	v_sub_nc_u32_e32 v23, v23, v44
	v_subrev_nc_u32_e32 v44, s69, v23
	s_wait_alu 0xfffd
	v_cndmask_b32_e32 v32, 0x3ff00000, v32, vcc_lo
	v_cndmask_b32_e32 v31, 0, v31, vcc_lo
	v_cmp_gt_f64_e64 vcc_lo, 0x3e400000, |v[14:15]|
	s_wait_alu 0xfffd
	s_delay_alu instid0(VALU_DEP_2) | instskip(NEXT) | instid1(VALU_DEP_1)
	v_dual_cndmask_b32 v14, v31, v14 :: v_dual_and_b32 v33, 0x7fffffff, v15
	v_cndmask_b32_e32 v31, v32, v33, vcc_lo
	v_cmp_le_u32_e32 vcc_lo, s69, v23
	s_wait_alu 0xfffd
	v_dual_cndmask_b32 v36, v36, v45 :: v_dual_add_nc_u32 v51, 1, v40
	v_cndmask_b32_e32 v23, v23, v44, vcc_lo
	v_subrev_nc_u32_e32 v45, s69, v24
	s_delay_alu instid0(VALU_DEP_3) | instskip(NEXT) | instid1(VALU_DEP_4)
	v_cndmask_b32_e64 v40, v40, v51, s1
	v_add_nc_u32_e32 v44, 1, v36
	v_bfi_b32 v15, 0x7fffffff, v31, v15
	v_mul_f64_e32 v[31:32], v[6:7], v[12:13]
	v_cndmask_b32_e64 v24, v24, v45, s0
	v_add_nc_u32_e32 v45, 1, v38
	s_delay_alu instid0(VALU_DEP_4) | instskip(SKIP_3) | instid1(VALU_DEP_1)
	v_fma_f64 v[33:34], -v[14:15], v[14:15], 1.0
	v_mul_f64_e32 v[12:13], v[14:15], v[12:13]
	v_cndmask_b32_e64 v14, v42, v52, s2
	v_subrev_nc_u32_e32 v15, s69, v26
	v_cndmask_b32_e64 v15, v26, v15, s2
	s_delay_alu instid0(VALU_DEP_3)
	v_add_nc_u32_e32 v26, 1, v14
	v_cmp_le_u32_e32 vcc_lo, s69, v23
	s_wait_alu 0xfffd
	v_cndmask_b32_e32 v23, v36, v44, vcc_lo
	v_cmp_le_u32_e32 vcc_lo, s69, v24
	s_wait_alu 0xfffd
	v_dual_cndmask_b32 v24, v38, v45 :: v_dual_add_nc_u32 v53, 1, v43
	s_wait_alu 0xf1ff
	s_delay_alu instid0(VALU_DEP_1) | instskip(SKIP_2) | instid1(VALU_DEP_2)
	v_cndmask_b32_e64 v42, v43, v53, s3
	v_subrev_nc_u32_e32 v43, s79, v18
	v_cmp_le_u32_e32 vcc_lo, s69, v25
	v_cndmask_b32_e64 v18, v18, v43, s3
	s_delay_alu instid0(VALU_DEP_4) | instskip(SKIP_2) | instid1(VALU_DEP_1)
	v_add_nc_u32_e32 v43, 1, v42
	v_add_nc_u32_e32 v46, 1, v40
	s_wait_alu 0xfffd
	v_cndmask_b32_e32 v25, v40, v46, vcc_lo
	v_cmp_le_u32_e32 vcc_lo, s69, v15
	v_fma_f64 v[16:17], v[33:34], v[31:32], v[16:17]
	v_fma_f64 v[31:32], -v[8:9], v[8:9], 1.0
	v_add_f64_e64 v[33:34], -v[6:7], 1.0
	s_wait_alu 0xfffd
	v_cndmask_b32_e32 v14, v14, v26, vcc_lo
	v_cmp_le_u32_e32 vcc_lo, s79, v18
	v_xor_b32_e32 v18, v23, v35
	v_xor_b32_e32 v23, v24, v37
	;; [unrolled: 1-line block ×4, first 2 shown]
	s_wait_alu 0xfffd
	v_cndmask_b32_e32 v15, v42, v43, vcc_lo
	v_sub_nc_u32_e32 v26, v18, v35
	v_sub_nc_u32_e32 v35, v23, v37
	;; [unrolled: 1-line block ×4, first 2 shown]
	v_xor_b32_e32 v25, v15, v22
	v_mul_lo_u32 v18, v26, s64
	s_delay_alu instid0(VALU_DEP_2) | instskip(NEXT) | instid1(VALU_DEP_2)
	v_sub_nc_u32_e32 v25, v25, v22
	v_sub_nc_u32_e32 v18, v19, v18
	s_delay_alu instid0(VALU_DEP_2) | instskip(NEXT) | instid1(VALU_DEP_2)
	v_mad_co_u64_u32 v[22:23], null, s96, v25, v[0:1]
	v_add_nc_u32_e32 v18, v0, v18
	s_delay_alu instid0(VALU_DEP_1)
	v_mul_lo_u32 v18, v18, s19
	v_mul_f64_e32 v[8:9], v[8:9], v[16:17]
	v_mul_f64_e32 v[10:11], v[10:11], v[16:17]
	v_mul_f64_e32 v[14:15], v[2:3], v[16:17]
	v_mul_f64_e32 v[12:13], v[33:34], v[12:13]
	v_mul_f64_e32 v[16:17], v[4:5], v[16:17]
	v_mul_f64_e32 v[8:9], v[27:28], v[8:9]
	v_mul_f64_e32 v[10:11], v[29:30], v[10:11]
	v_mul_lo_u32 v28, v24, s64
	v_mul_lo_u32 v27, v35, s64
	;; [unrolled: 1-line block ×3, first 2 shown]
	v_mul_f64_e32 v[6:7], v[6:7], v[12:13]
	s_delay_alu instid0(VALU_DEP_4) | instskip(NEXT) | instid1(VALU_DEP_4)
	v_sub_nc_u32_e32 v20, v20, v28
	v_sub_nc_u32_e32 v19, v1, v27
	v_mul_lo_u32 v1, v22, s35
	v_sub_nc_u32_e32 v21, v21, v29
	s_delay_alu instid0(VALU_DEP_4) | instskip(NEXT) | instid1(VALU_DEP_4)
	v_add_nc_u32_e32 v22, v0, v20
	v_add_nc_u32_e32 v19, v0, v19
	s_delay_alu instid0(VALU_DEP_3)
	v_add_nc_u32_e32 v23, v0, v21
	v_add_nc_u32_e32 v0, s71, v0
	v_mad_co_u64_u32 v[20:21], null, v25, s34, v[1:2]
	v_mul_lo_u32 v1, v22, s19
	v_mul_lo_u32 v19, v19, s19
	;; [unrolled: 1-line block ×3, first 2 shown]
	v_cmp_le_i32_e32 vcc_lo, s5, v0
	s_delay_alu instid0(VALU_DEP_4) | instskip(NEXT) | instid1(VALU_DEP_4)
	v_mad_co_u64_u32 v[24:25], null, v24, s18, v[1:2]
	v_mad_co_u64_u32 v[22:23], null, v26, s18, v[18:19]
	;; [unrolled: 1-line block ×3, first 2 shown]
	s_or_b32 s70, vcc_lo, s70
	v_mul_f64_e32 v[1:2], v[2:3], v[8:9]
	v_mul_f64_e32 v[3:4], v[4:5], v[10:11]
	;; [unrolled: 1-line block ×3, first 2 shown]
	v_mad_co_u64_u32 v[10:11], null, v36, s18, v[21:22]
	v_ashrrev_i32_e32 v23, 31, v22
	v_ashrrev_i32_e32 v19, 31, v18
	v_ashrrev_i32_e32 v21, 31, v20
	v_ashrrev_i32_e32 v25, 31, v24
	s_delay_alu instid0(VALU_DEP_4) | instskip(SKIP_4) | instid1(VALU_DEP_4)
	v_lshlrev_b64_e32 v[12:13], 3, v[22:23]
	v_ashrrev_i32_e32 v11, 31, v10
	v_lshlrev_b64_e32 v[18:19], 3, v[18:19]
	v_lshlrev_b64_e32 v[14:15], 3, v[20:21]
	v_lshlrev_b64_e32 v[20:21], 3, v[24:25]
	v_lshlrev_b64_e32 v[10:11], 3, v[10:11]
	v_add_co_u32 v12, vcc_lo, s16, v12
	s_wait_alu 0xfffd
	v_add_co_ci_u32_e64 v13, null, s17, v13, vcc_lo
	v_add_co_u32 v18, vcc_lo, s16, v18
	s_wait_alu 0xfffd
	v_add_co_ci_u32_e64 v19, null, s17, v19, vcc_lo
	;; [unrolled: 3-line block ×5, first 2 shown]
	s_clause 0x3
	global_store_b64 v[12:13], v[1:2], off
	global_store_b64 v[18:19], v[3:4], off
	;; [unrolled: 1-line block ×5, first 2 shown]
	s_wait_alu 0xfffe
	s_and_not1_b32 exec_lo, exec_lo, s70
	s_cbranch_execz .LBB17_7
.LBB17_3:                               ; =>This Inner Loop Header: Depth=1
	v_sub_nc_u32_e32 v1, 0, v0
	v_ashrrev_i32_e32 v22, 31, v0
	s_delay_alu instid0(VALU_DEP_2) | instskip(NEXT) | instid1(VALU_DEP_2)
	v_max_i32_e32 v18, v0, v1
	v_xor_b32_e32 v6, s72, v22
	v_xor_b32_e32 v8, s85, v22
	s_delay_alu instid0(VALU_DEP_3) | instskip(SKIP_1) | instid1(VALU_DEP_4)
	v_mul_hi_u32 v1, v18, s75
	v_mul_hi_u32 v4, v18, s82
	v_mul_i32_i24_e32 v9, 3, v6
	s_delay_alu instid0(VALU_DEP_3) | instskip(NEXT) | instid1(VALU_DEP_3)
	v_mul_lo_u32 v2, v1, s67
	v_add_nc_u32_e32 v10, 1, v4
	v_add_nc_u32_e32 v3, 1, v1
	v_mul_lo_u32 v7, v4, s74
	s_delay_alu instid0(VALU_DEP_4) | instskip(NEXT) | instid1(VALU_DEP_2)
	v_sub_nc_u32_e32 v2, v18, v2
	v_sub_nc_u32_e32 v7, v18, v7
	s_delay_alu instid0(VALU_DEP_2) | instskip(SKIP_2) | instid1(VALU_DEP_1)
	v_cmp_le_u32_e32 vcc_lo, s67, v2
	v_subrev_nc_u32_e32 v5, s67, v2
	s_wait_alu 0xfffd
	v_dual_cndmask_b32 v1, v1, v3 :: v_dual_cndmask_b32 v2, v2, v5
	v_mul_hi_u32 v3, v18, s86
	s_delay_alu instid0(VALU_DEP_2) | instskip(NEXT) | instid1(VALU_DEP_3)
	v_add_nc_u32_e32 v5, 1, v1
	v_cmp_le_u32_e32 vcc_lo, s67, v2
	s_delay_alu instid0(VALU_DEP_3) | instskip(SKIP_1) | instid1(VALU_DEP_2)
	v_mul_lo_u32 v2, v3, s77
	v_add_nc_u32_e32 v11, 1, v3
	v_sub_nc_u32_e32 v12, v18, v2
	s_delay_alu instid0(VALU_DEP_1) | instskip(SKIP_1) | instid1(VALU_DEP_1)
	v_cmp_le_u32_e64 s0, s77, v12
	s_wait_alu 0xf1ff
	v_cndmask_b32_e64 v3, v3, v11, s0
	s_wait_alu 0xfffd
	v_cndmask_b32_e32 v1, v1, v5, vcc_lo
	v_cmp_le_u32_e32 vcc_lo, s74, v7
	v_xor_b32_e32 v5, s81, v22
	s_delay_alu instid0(VALU_DEP_3) | instskip(SKIP_3) | instid1(VALU_DEP_3)
	v_xor_b32_e32 v1, v1, v6
	s_wait_alu 0xfffd
	v_cndmask_b32_e32 v4, v4, v10, vcc_lo
	v_subrev_nc_u32_e32 v10, s77, v12
	v_sub_nc_u32_e32 v2, v1, v6
	v_lshl_add_u32 v1, v1, 1, v1
	v_subrev_nc_u32_e32 v6, s74, v7
	s_delay_alu instid0(VALU_DEP_3) | instskip(NEXT) | instid1(VALU_DEP_3)
	v_mul_lo_u32 v19, s93, v2
	v_sub_nc_u32_e32 v9, v1, v9
	s_delay_alu instid0(VALU_DEP_3) | instskip(NEXT) | instid1(VALU_DEP_2)
	v_cndmask_b32_e32 v6, v7, v6, vcc_lo
	v_mad_co_u64_u32 v[1:2], null, s4, v9, s[4:5]
	v_add_nc_u32_e32 v2, 2, v9
	v_add_nc_u32_e32 v7, 3, v9
	;; [unrolled: 1-line block ×3, first 2 shown]
	v_cmp_le_u32_e32 vcc_lo, s74, v6
	s_delay_alu instid0(VALU_DEP_4)
	v_mul_lo_u32 v20, s4, v2
	v_add_nc_u32_e32 v2, v0, v1
	v_mul_lo_u32 v21, s4, v7
	v_cndmask_b32_e64 v7, v12, v10, s0
	v_add_nc_u32_e32 v10, 1, v3
	s_wait_alu 0xfffd
	v_cndmask_b32_e32 v4, v4, v9, vcc_lo
	v_ashrrev_i32_e32 v28, 31, v2
	v_add_nc_u32_e32 v2, v0, v20
	v_cmp_le_u32_e32 vcc_lo, s77, v7
	v_add_nc_u32_e32 v11, v0, v19
	v_add_nc_u32_e32 v6, v0, v21
	v_add3_u32 v9, v28, v1, v0
	v_ashrrev_i32_e32 v29, 31, v2
	s_wait_alu 0xfffd
	v_cndmask_b32_e32 v2, v3, v10, vcc_lo
	v_ashrrev_i32_e32 v27, 31, v11
	v_ashrrev_i32_e32 v30, 31, v6
	v_xor_b32_e32 v24, v9, v28
	v_add3_u32 v6, v29, v20, v0
	v_xor_b32_e32 v12, s73, v29
	v_add3_u32 v11, v27, v19, v0
	v_add3_u32 v9, v30, v21, v0
	v_xor_b32_e32 v7, s73, v27
	v_xor_b32_e32 v25, v6, v29
	v_mul_hi_u32 v6, v24, s76
	v_xor_b32_e32 v23, v11, v27
	v_xor_b32_e32 v26, v9, v30
	;; [unrolled: 1-line block ×3, first 2 shown]
	v_mul_hi_u32 v13, v25, s76
	v_xor_b32_e32 v9, s73, v30
	v_mul_hi_u32 v3, v23, s76
	v_mul_hi_u32 v16, v26, s76
	v_mul_lo_u32 v15, v6, s68
	v_add_nc_u32_e32 v17, 1, v6
	v_xor_b32_e32 v4, v4, v5
	v_xor_b32_e32 v2, v2, v8
	v_mul_lo_u32 v31, v13, s68
	v_add_nc_u32_e32 v32, 1, v13
	v_mul_lo_u32 v10, v3, s68
	v_add_nc_u32_e32 v14, 1, v3
	v_add_nc_u32_e32 v34, 1, v16
	v_sub_nc_u32_e32 v31, v25, v31
	s_delay_alu instid0(VALU_DEP_4) | instskip(NEXT) | instid1(VALU_DEP_1)
	v_sub_nc_u32_e32 v10, v23, v10
	v_cmp_le_u32_e32 vcc_lo, s68, v10
	v_subrev_nc_u32_e32 v33, s68, v10
	s_wait_alu 0xfffd
	v_cndmask_b32_e32 v3, v3, v14, vcc_lo
	v_sub_nc_u32_e32 v14, v24, v15
	v_mul_lo_u32 v15, v16, s68
	v_cndmask_b32_e32 v10, v10, v33, vcc_lo
	s_delay_alu instid0(VALU_DEP_3) | instskip(SKIP_1) | instid1(VALU_DEP_3)
	v_cmp_le_u32_e32 vcc_lo, s68, v14
	v_add_nc_u32_e32 v33, 1, v3
	v_cmp_le_u32_e64 s0, s68, v10
	v_sub_nc_u32_e32 v15, v26, v15
	s_wait_alu 0xfffd
	v_cndmask_b32_e32 v6, v6, v17, vcc_lo
	v_subrev_nc_u32_e32 v17, s68, v14
	s_wait_alu 0xf1ff
	v_cndmask_b32_e64 v3, v3, v33, s0
	v_cmp_le_u32_e64 s0, s68, v15
	s_delay_alu instid0(VALU_DEP_2) | instskip(SKIP_1) | instid1(VALU_DEP_2)
	v_xor_b32_e32 v3, v3, v7
	s_wait_alu 0xf1ff
	v_cndmask_b32_e64 v16, v16, v34, s0
	v_cndmask_b32_e32 v10, v14, v17, vcc_lo
	v_cmp_le_u32_e32 vcc_lo, s68, v31
	v_subrev_nc_u32_e32 v17, s68, v31
	v_add_nc_u32_e32 v14, 1, v6
	s_delay_alu instid0(VALU_DEP_4)
	v_cmp_le_u32_e64 s1, s68, v10
	s_wait_alu 0xfffd
	v_cndmask_b32_e32 v13, v13, v32, vcc_lo
	v_subrev_nc_u32_e32 v32, s68, v15
	v_dual_cndmask_b32 v10, v31, v17 :: v_dual_add_nc_u32 v17, 1, v16
	s_wait_alu 0xf1ff
	v_cndmask_b32_e64 v6, v6, v14, s1
	v_add_nc_u32_e32 v14, 1, v13
	v_cndmask_b32_e64 v15, v15, v32, s0
	v_cmp_le_u32_e32 vcc_lo, s68, v10
	v_sub_nc_u32_e32 v31, v3, v7
	v_xor_b32_e32 v3, v6, v11
	s_wait_alu 0xfffd
	v_cndmask_b32_e32 v6, v13, v14, vcc_lo
	v_cmp_le_u32_e32 vcc_lo, s68, v15
	s_delay_alu instid0(VALU_DEP_3)
	v_sub_nc_u32_e32 v11, v3, v11
	v_mul_lo_u32 v10, v31, s33
	v_sub_nc_u32_e32 v13, v2, v8
	v_xor_b32_e32 v3, v6, v12
	s_wait_alu 0xfffd
	v_cndmask_b32_e32 v7, v16, v17, vcc_lo
	s_delay_alu instid0(VALU_DEP_2) | instskip(NEXT) | instid1(VALU_DEP_2)
	v_sub_nc_u32_e32 v14, v3, v12
	v_xor_b32_e32 v6, v7, v9
	v_sub_nc_u32_e32 v7, v4, v5
	v_mul_lo_u32 v4, v11, s33
	v_sub_nc_u32_e32 v5, v19, v10
	s_delay_alu instid0(VALU_DEP_4) | instskip(NEXT) | instid1(VALU_DEP_4)
	v_sub_nc_u32_e32 v15, v6, v9
	v_mad_co_u64_u32 v[2:3], null, s94, v7, v[0:1]
	v_mul_lo_u32 v6, v14, s33
	s_delay_alu instid0(VALU_DEP_3) | instskip(SKIP_4) | instid1(VALU_DEP_4)
	v_mul_lo_u32 v8, v15, s33
	v_sub_nc_u32_e32 v9, v1, v4
	v_mad_co_u64_u32 v[3:4], null, s95, v13, v[0:1]
	v_add_nc_u32_e32 v4, v0, v5
	v_mul_lo_u32 v2, v2, s23
	v_add_nc_u32_e32 v5, v0, v9
	v_sub_nc_u32_e32 v6, v20, v6
	v_sub_nc_u32_e32 v8, v21, v8
	v_mul_lo_u32 v4, v4, s15
	v_mul_lo_u32 v3, v3, s27
	;; [unrolled: 1-line block ×3, first 2 shown]
	v_add_nc_u32_e32 v10, v0, v6
	v_add_nc_u32_e32 v12, v0, v8
	s_delay_alu instid0(VALU_DEP_4) | instskip(NEXT) | instid1(VALU_DEP_4)
	v_mad_co_u64_u32 v[6:7], null, v7, s22, v[2:3]
	v_mad_co_u64_u32 v[8:9], null, v31, s14, v[4:5]
	s_delay_alu instid0(VALU_DEP_4) | instskip(NEXT) | instid1(VALU_DEP_4)
	v_mul_lo_u32 v2, v10, s15
	v_mul_lo_u32 v4, v12, s15
	s_delay_alu instid0(VALU_DEP_4) | instskip(NEXT) | instid1(VALU_DEP_4)
	v_mad_co_u64_u32 v[10:11], null, v11, s14, v[5:6]
	v_ashrrev_i32_e32 v9, 31, v8
	v_ashrrev_i32_e32 v7, 31, v6
	s_delay_alu instid0(VALU_DEP_4)
	v_mad_co_u64_u32 v[12:13], null, v13, s26, v[3:4]
	v_mad_co_u64_u32 v[2:3], null, v14, s14, v[2:3]
	;; [unrolled: 1-line block ×3, first 2 shown]
	v_ashrrev_i32_e32 v11, 31, v10
	v_lshlrev_b64_e32 v[8:9], 3, v[8:9]
	v_ashrrev_i32_e32 v13, 31, v12
	v_lshlrev_b64_e32 v[6:7], 3, v[6:7]
	;; [unrolled: 2-line block ×3, first 2 shown]
	v_ashrrev_i32_e32 v5, 31, v4
	v_add_co_u32 v8, vcc_lo, s12, v8
	s_delay_alu instid0(VALU_DEP_4)
	v_lshlrev_b64_e32 v[2:3], 3, v[2:3]
	s_wait_alu 0xfffd
	v_add_co_ci_u32_e64 v9, null, s13, v9, vcc_lo
	v_lshlrev_b64_e32 v[4:5], 3, v[4:5]
	v_add_co_u32 v10, vcc_lo, s12, v10
	s_wait_alu 0xfffd
	v_add_co_ci_u32_e64 v11, null, s13, v11, vcc_lo
	v_add_co_u32 v14, vcc_lo, s12, v2
	s_wait_alu 0xfffd
	v_add_co_ci_u32_e64 v15, null, s13, v3, vcc_lo
	v_lshlrev_b64_e32 v[2:3], 3, v[12:13]
	v_add_co_u32 v16, vcc_lo, s12, v4
	s_wait_alu 0xfffd
	v_add_co_ci_u32_e64 v17, null, s13, v5, vcc_lo
	v_add_co_u32 v12, vcc_lo, s20, v6
	s_wait_alu 0xfffd
	v_add_co_ci_u32_e64 v13, null, s21, v7, vcc_lo
	;; [unrolled: 3-line block ×3, first 2 shown]
	s_clause 0x3
	global_load_b64 v[2:3], v[8:9], off
	global_load_b64 v[4:5], v[10:11], off
	;; [unrolled: 1-line block ×6, first 2 shown]
	v_mov_b32_e32 v16, 0
	v_dual_mov_b32 v12, 0 :: v_dual_mov_b32 v17, 0
	v_mov_b32_e32 v13, 0
	s_and_not1_b32 vcc_lo, exec_lo, s65
	s_wait_alu 0xfffe
	s_cbranch_vccnz .LBB17_5
; %bb.4:                                ;   in Loop: Header=BB17_3 Depth=1
	v_mul_hi_u32 v12, v18, s90
	s_delay_alu instid0(VALU_DEP_1) | instskip(SKIP_1) | instid1(VALU_DEP_2)
	v_mul_lo_u32 v13, v12, s83
	v_add_nc_u32_e32 v31, 1, v12
	v_sub_nc_u32_e32 v13, v18, v13
	s_delay_alu instid0(VALU_DEP_1) | instskip(SKIP_2) | instid1(VALU_DEP_2)
	v_subrev_nc_u32_e32 v32, s83, v13
	v_cmp_le_u32_e32 vcc_lo, s83, v13
	s_wait_alu 0xfffd
	v_dual_cndmask_b32 v12, v12, v31 :: v_dual_cndmask_b32 v13, v13, v32
	v_xor_b32_e32 v32, s89, v22
	s_delay_alu instid0(VALU_DEP_2) | instskip(NEXT) | instid1(VALU_DEP_3)
	v_add_nc_u32_e32 v31, 1, v12
	v_cmp_le_u32_e32 vcc_lo, s83, v13
	s_wait_alu 0xfffd
	s_delay_alu instid0(VALU_DEP_2) | instskip(NEXT) | instid1(VALU_DEP_1)
	v_cndmask_b32_e32 v12, v12, v31, vcc_lo
	v_xor_b32_e32 v12, v12, v32
	s_delay_alu instid0(VALU_DEP_1) | instskip(NEXT) | instid1(VALU_DEP_1)
	v_sub_nc_u32_e32 v31, v12, v32
	v_mad_co_u64_u32 v[12:13], null, s97, v31, v[0:1]
	s_delay_alu instid0(VALU_DEP_1) | instskip(NEXT) | instid1(VALU_DEP_1)
	v_mul_lo_u32 v12, v12, s11
	v_mad_co_u64_u32 v[12:13], null, v31, s10, v[12:13]
	s_delay_alu instid0(VALU_DEP_1) | instskip(NEXT) | instid1(VALU_DEP_1)
	v_ashrrev_i32_e32 v13, 31, v12
	v_lshlrev_b64_e32 v[12:13], 3, v[12:13]
	s_delay_alu instid0(VALU_DEP_1) | instskip(SKIP_1) | instid1(VALU_DEP_2)
	v_add_co_u32 v12, vcc_lo, s6, v12
	s_wait_alu 0xfffd
	v_add_co_ci_u32_e64 v13, null, s7, v13, vcc_lo
	global_load_b64 v[12:13], v[12:13], off
.LBB17_5:                               ;   in Loop: Header=BB17_3 Depth=1
	s_and_not1_b32 vcc_lo, exec_lo, s66
	s_wait_alu 0xfffe
	s_cbranch_vccnz .LBB17_2
; %bb.6:                                ;   in Loop: Header=BB17_3 Depth=1
	v_mul_hi_u32 v16, v18, s92
	s_delay_alu instid0(VALU_DEP_1) | instskip(SKIP_1) | instid1(VALU_DEP_2)
	v_mul_lo_u32 v17, v16, s84
	v_add_nc_u32_e32 v31, 1, v16
	v_sub_nc_u32_e32 v17, v18, v17
	s_delay_alu instid0(VALU_DEP_1) | instskip(SKIP_2) | instid1(VALU_DEP_2)
	v_subrev_nc_u32_e32 v32, s84, v17
	v_cmp_le_u32_e32 vcc_lo, s84, v17
	s_wait_alu 0xfffd
	v_dual_cndmask_b32 v16, v16, v31 :: v_dual_cndmask_b32 v17, v17, v32
	v_xor_b32_e32 v32, s91, v22
	s_delay_alu instid0(VALU_DEP_2) | instskip(NEXT) | instid1(VALU_DEP_3)
	v_add_nc_u32_e32 v31, 1, v16
	v_cmp_le_u32_e32 vcc_lo, s84, v17
	s_wait_alu 0xfffd
	s_delay_alu instid0(VALU_DEP_2) | instskip(NEXT) | instid1(VALU_DEP_1)
	v_cndmask_b32_e32 v16, v16, v31, vcc_lo
	v_xor_b32_e32 v16, v16, v32
	s_delay_alu instid0(VALU_DEP_1) | instskip(NEXT) | instid1(VALU_DEP_1)
	v_sub_nc_u32_e32 v31, v16, v32
	v_mad_co_u64_u32 v[16:17], null, s98, v31, v[0:1]
	s_delay_alu instid0(VALU_DEP_1) | instskip(NEXT) | instid1(VALU_DEP_1)
	v_mul_lo_u32 v16, v16, s29
	v_mad_co_u64_u32 v[16:17], null, v31, s28, v[16:17]
	s_delay_alu instid0(VALU_DEP_1) | instskip(NEXT) | instid1(VALU_DEP_1)
	v_ashrrev_i32_e32 v17, 31, v16
	v_lshlrev_b64_e32 v[16:17], 3, v[16:17]
	s_delay_alu instid0(VALU_DEP_1) | instskip(SKIP_1) | instid1(VALU_DEP_2)
	v_add_co_u32 v16, vcc_lo, s8, v16
	s_wait_alu 0xfffd
	v_add_co_ci_u32_e64 v17, null, s9, v17, vcc_lo
	global_load_b64 v[16:17], v[16:17], off
	s_branch .LBB17_2
.LBB17_7:
	s_endpgm
	.section	.rodata,"a",@progbits
	.p2align	6, 0x0
	.amdhsa_kernel _ZN2at6native12_GLOBAL__N_16kernel18lstm_cell_backwardIddiLi2EEEvNS_4cuda6detail10TensorInfoIT_T1_EES9_S9_S9_S9_S9_S9_S8_S8_
		.amdhsa_group_segment_fixed_size 0
		.amdhsa_private_segment_fixed_size 0
		.amdhsa_kernarg_size 1776
		.amdhsa_user_sgpr_count 2
		.amdhsa_user_sgpr_dispatch_ptr 0
		.amdhsa_user_sgpr_queue_ptr 0
		.amdhsa_user_sgpr_kernarg_segment_ptr 1
		.amdhsa_user_sgpr_dispatch_id 0
		.amdhsa_user_sgpr_private_segment_size 0
		.amdhsa_wavefront_size32 1
		.amdhsa_uses_dynamic_stack 0
		.amdhsa_enable_private_segment 0
		.amdhsa_system_sgpr_workgroup_id_x 1
		.amdhsa_system_sgpr_workgroup_id_y 0
		.amdhsa_system_sgpr_workgroup_id_z 0
		.amdhsa_system_sgpr_workgroup_info 0
		.amdhsa_system_vgpr_workitem_id 0
		.amdhsa_next_free_vgpr 54
		.amdhsa_next_free_sgpr 99
		.amdhsa_reserve_vcc 1
		.amdhsa_float_round_mode_32 0
		.amdhsa_float_round_mode_16_64 0
		.amdhsa_float_denorm_mode_32 3
		.amdhsa_float_denorm_mode_16_64 3
		.amdhsa_fp16_overflow 0
		.amdhsa_workgroup_processor_mode 1
		.amdhsa_memory_ordered 1
		.amdhsa_forward_progress 1
		.amdhsa_inst_pref_size 37
		.amdhsa_round_robin_scheduling 0
		.amdhsa_exception_fp_ieee_invalid_op 0
		.amdhsa_exception_fp_denorm_src 0
		.amdhsa_exception_fp_ieee_div_zero 0
		.amdhsa_exception_fp_ieee_overflow 0
		.amdhsa_exception_fp_ieee_underflow 0
		.amdhsa_exception_fp_ieee_inexact 0
		.amdhsa_exception_int_div_zero 0
	.end_amdhsa_kernel
	.section	.text._ZN2at6native12_GLOBAL__N_16kernel18lstm_cell_backwardIddiLi2EEEvNS_4cuda6detail10TensorInfoIT_T1_EES9_S9_S9_S9_S9_S9_S8_S8_,"axG",@progbits,_ZN2at6native12_GLOBAL__N_16kernel18lstm_cell_backwardIddiLi2EEEvNS_4cuda6detail10TensorInfoIT_T1_EES9_S9_S9_S9_S9_S9_S8_S8_,comdat
.Lfunc_end17:
	.size	_ZN2at6native12_GLOBAL__N_16kernel18lstm_cell_backwardIddiLi2EEEvNS_4cuda6detail10TensorInfoIT_T1_EES9_S9_S9_S9_S9_S9_S8_S8_, .Lfunc_end17-_ZN2at6native12_GLOBAL__N_16kernel18lstm_cell_backwardIddiLi2EEEvNS_4cuda6detail10TensorInfoIT_T1_EES9_S9_S9_S9_S9_S9_S8_S8_
                                        ; -- End function
	.set _ZN2at6native12_GLOBAL__N_16kernel18lstm_cell_backwardIddiLi2EEEvNS_4cuda6detail10TensorInfoIT_T1_EES9_S9_S9_S9_S9_S9_S8_S8_.num_vgpr, 54
	.set _ZN2at6native12_GLOBAL__N_16kernel18lstm_cell_backwardIddiLi2EEEvNS_4cuda6detail10TensorInfoIT_T1_EES9_S9_S9_S9_S9_S9_S8_S8_.num_agpr, 0
	.set _ZN2at6native12_GLOBAL__N_16kernel18lstm_cell_backwardIddiLi2EEEvNS_4cuda6detail10TensorInfoIT_T1_EES9_S9_S9_S9_S9_S9_S8_S8_.numbered_sgpr, 99
	.set _ZN2at6native12_GLOBAL__N_16kernel18lstm_cell_backwardIddiLi2EEEvNS_4cuda6detail10TensorInfoIT_T1_EES9_S9_S9_S9_S9_S9_S8_S8_.num_named_barrier, 0
	.set _ZN2at6native12_GLOBAL__N_16kernel18lstm_cell_backwardIddiLi2EEEvNS_4cuda6detail10TensorInfoIT_T1_EES9_S9_S9_S9_S9_S9_S8_S8_.private_seg_size, 0
	.set _ZN2at6native12_GLOBAL__N_16kernel18lstm_cell_backwardIddiLi2EEEvNS_4cuda6detail10TensorInfoIT_T1_EES9_S9_S9_S9_S9_S9_S8_S8_.uses_vcc, 1
	.set _ZN2at6native12_GLOBAL__N_16kernel18lstm_cell_backwardIddiLi2EEEvNS_4cuda6detail10TensorInfoIT_T1_EES9_S9_S9_S9_S9_S9_S8_S8_.uses_flat_scratch, 0
	.set _ZN2at6native12_GLOBAL__N_16kernel18lstm_cell_backwardIddiLi2EEEvNS_4cuda6detail10TensorInfoIT_T1_EES9_S9_S9_S9_S9_S9_S8_S8_.has_dyn_sized_stack, 0
	.set _ZN2at6native12_GLOBAL__N_16kernel18lstm_cell_backwardIddiLi2EEEvNS_4cuda6detail10TensorInfoIT_T1_EES9_S9_S9_S9_S9_S9_S8_S8_.has_recursion, 0
	.set _ZN2at6native12_GLOBAL__N_16kernel18lstm_cell_backwardIddiLi2EEEvNS_4cuda6detail10TensorInfoIT_T1_EES9_S9_S9_S9_S9_S9_S8_S8_.has_indirect_call, 0
	.section	.AMDGPU.csdata,"",@progbits
; Kernel info:
; codeLenInByte = 4728
; TotalNumSgprs: 101
; NumVgprs: 54
; ScratchSize: 0
; MemoryBound: 0
; FloatMode: 240
; IeeeMode: 1
; LDSByteSize: 0 bytes/workgroup (compile time only)
; SGPRBlocks: 0
; VGPRBlocks: 6
; NumSGPRsForWavesPerEU: 101
; NumVGPRsForWavesPerEU: 54
; Occupancy: 16
; WaveLimiterHint : 1
; COMPUTE_PGM_RSRC2:SCRATCH_EN: 0
; COMPUTE_PGM_RSRC2:USER_SGPR: 2
; COMPUTE_PGM_RSRC2:TRAP_HANDLER: 0
; COMPUTE_PGM_RSRC2:TGID_X_EN: 1
; COMPUTE_PGM_RSRC2:TGID_Y_EN: 0
; COMPUTE_PGM_RSRC2:TGID_Z_EN: 0
; COMPUTE_PGM_RSRC2:TIDIG_COMP_CNT: 0
	.section	.text._ZN2at6native12_GLOBAL__N_16kernel18lstm_cell_backwardIddlLi1EEEvNS_4cuda6detail10TensorInfoIT_T1_EES9_S9_S9_S9_S9_S9_S8_S8_,"axG",@progbits,_ZN2at6native12_GLOBAL__N_16kernel18lstm_cell_backwardIddlLi1EEEvNS_4cuda6detail10TensorInfoIT_T1_EES9_S9_S9_S9_S9_S9_S8_S8_,comdat
	.globl	_ZN2at6native12_GLOBAL__N_16kernel18lstm_cell_backwardIddlLi1EEEvNS_4cuda6detail10TensorInfoIT_T1_EES9_S9_S9_S9_S9_S9_S8_S8_ ; -- Begin function _ZN2at6native12_GLOBAL__N_16kernel18lstm_cell_backwardIddlLi1EEEvNS_4cuda6detail10TensorInfoIT_T1_EES9_S9_S9_S9_S9_S9_S8_S8_
	.p2align	8
	.type	_ZN2at6native12_GLOBAL__N_16kernel18lstm_cell_backwardIddlLi1EEEvNS_4cuda6detail10TensorInfoIT_T1_EES9_S9_S9_S9_S9_S9_S8_S8_,@function
_ZN2at6native12_GLOBAL__N_16kernel18lstm_cell_backwardIddlLi1EEEvNS_4cuda6detail10TensorInfoIT_T1_EES9_S9_S9_S9_S9_S9_S8_S8_: ; @_ZN2at6native12_GLOBAL__N_16kernel18lstm_cell_backwardIddlLi1EEEvNS_4cuda6detail10TensorInfoIT_T1_EES9_S9_S9_S9_S9_S9_S8_S8_
; %bb.0:
	s_clause 0x1
	s_load_b32 s2, s[0:1], 0xb7c
	s_load_b128 s[4:7], s[0:1], 0xb60
	v_mov_b32_e32 v1, 0
	s_wait_kmcnt 0x0
	s_and_b32 s16, s2, 0xffff
	s_mov_b32 s2, exec_lo
	s_delay_alu instid0(VALU_DEP_1) | instskip(SKIP_1) | instid1(VALU_DEP_1)
	v_mad_co_u64_u32 v[3:4], null, ttmp9, s16, v[0:1]
	v_mov_b32_e32 v4, v1
	v_cmpx_gt_i64_e64 s[6:7], v[3:4]
	s_cbranch_execz .LBB18_11
; %bb.1:
	s_clause 0x4
	s_load_b64 s[18:19], s[0:1], 0x410
	s_load_b64 s[24:25], s[0:1], 0x680
	;; [unrolled: 1-line block ×5, first 2 shown]
	s_add_nc_u64 s[14:15], s[0:1], 0xb70
	s_clause 0x4
	s_load_b64 s[2:3], s[0:1], 0x0
	s_load_b64 s[8:9], s[0:1], 0xd0
	;; [unrolled: 1-line block ×5, first 2 shown]
	s_load_b32 s40, s[14:15], 0x0
	s_clause 0x3
	s_load_b64 s[30:31], s[0:1], 0x750
	s_load_b64 s[34:35], s[0:1], 0x8f0
	;; [unrolled: 1-line block ×4, first 2 shown]
	s_mov_b32 s1, 0
	s_mov_b32 s42, 0x6a5dcb37
	s_wait_alu 0xfffe
	s_mov_b32 s17, s1
	s_mov_b32 s44, 0x623fde64
	;; [unrolled: 1-line block ×9, first 2 shown]
	s_mul_u64 s[14:15], s[4:5], 3
	s_mov_b32 s43, 0x3e5ade15
	s_wait_kmcnt 0x0
	v_mul_lo_u32 v0, 0, s18
	v_mul_lo_u32 v2, v3, s19
	v_mad_co_u64_u32 v[5:6], null, v3, s18, 0
	v_mul_lo_u32 v11, 0, s28
	v_mul_lo_u32 v12, v3, s29
	v_mad_co_u64_u32 v[7:8], null, v3, s28, 0
	v_mad_co_u64_u32 v[9:10], null, v3, s38, 0
	v_add3_u32 v6, v6, v2, v0
	v_mul_lo_u32 v0, 0, s38
	v_mul_lo_u32 v2, v3, s39
	;; [unrolled: 1-line block ×3, first 2 shown]
	v_add3_u32 v8, v8, v12, v11
	v_mad_co_u64_u32 v[11:12], null, v3, s30, 0
	v_mul_lo_u32 v16, v3, s35
	v_mad_co_u64_u32 v[13:14], null, v3, s34, 0
	v_add3_u32 v10, v10, v2, v0
	v_mul_lo_u32 v0, 0, s30
	v_mul_lo_u32 v2, v3, s31
	v_lshlrev_b64_e32 v[5:6], 3, v[5:6]
	v_lshlrev_b64_e32 v[7:8], 3, v[7:8]
	;; [unrolled: 1-line block ×3, first 2 shown]
	v_add3_u32 v14, v14, v16, v15
	s_cmp_lg_u64 s[24:25], 0
	s_mul_i32 s16, s40, s16
	v_add_co_u32 v5, vcc_lo, s20, v5
	v_add3_u32 v12, v12, v2, v0
	v_cvt_f32_u32_e32 v0, s4
	v_add_co_ci_u32_e64 v6, null, s21, v6, vcc_lo
	v_add_co_u32 v7, vcc_lo, s22, v7
	s_delay_alu instid0(VALU_DEP_3)
	v_rcp_iflag_f32_e32 v0, v0
	v_lshlrev_b64_e32 v[11:12], 3, v[11:12]
	v_lshlrev_b64_e32 v[13:14], 3, v[13:14]
	s_wait_alu 0xfffd
	v_add_co_ci_u32_e64 v8, null, s23, v8, vcc_lo
	v_add_co_u32 v9, vcc_lo, s36, v9
	s_wait_alu 0xfffd
	v_add_co_ci_u32_e64 v10, null, s37, v10, vcc_lo
	v_add_co_u32 v11, vcc_lo, s24, v11
	s_delay_alu instid0(TRANS32_DEP_1)
	v_mul_f32_e32 v0, 0x4f7ffffe, v0
	s_wait_alu 0xfffd
	v_add_co_ci_u32_e64 v12, null, s25, v12, vcc_lo
	v_add_co_u32 v13, vcc_lo, s26, v13
	s_cselect_b32 s33, -1, 0
	s_cmp_lg_u64 s[26:27], 0
	s_wait_alu 0xfffe
	s_mul_u64 s[20:21], s[16:17], s[28:29]
	s_mul_u64 s[28:29], s[16:17], s[30:31]
	s_wait_alu 0xfffd
	v_add_co_ci_u32_e64 v14, null, s27, v14, vcc_lo
	v_cvt_u32_f32_e32 v0, v0
	s_cselect_b32 s62, -1, 0
	s_mul_u64 s[18:19], s[16:17], s[18:19]
	s_mul_u64 s[22:23], s[16:17], s[38:39]
	s_wait_alu 0xfffe
	s_lshl_b64 s[24:25], s[28:29], 3
	s_mul_u64 s[28:29], s[16:17], s[34:35]
	s_mov_b32 s30, 0x652b82fe
	s_mov_b32 s34, 0xfefa3000
	;; [unrolled: 1-line block ×5, first 2 shown]
	s_lshl_b64 s[18:19], s[18:19], 3
	s_lshl_b64 s[20:21], s[20:21], 3
	;; [unrolled: 1-line block ×3, first 2 shown]
	s_wait_alu 0xfffe
	s_lshl_b64 s[26:27], s[28:29], 3
	s_ashr_i32 s28, s5, 31
	s_mov_b32 s31, 0x3ff71547
	s_mov_b32 s35, 0xbfe62e42
	;; [unrolled: 1-line block ×14, first 2 shown]
	s_branch .LBB18_3
.LBB18_2:                               ;   in Loop: Header=BB18_3 Depth=1
	s_wait_loadcnt 0x0
	v_mul_f64_e64 v[38:39], |v[35:36]|, s[30:31]
	v_cmp_nlt_f64_e64 vcc_lo, 0x40331000, |v[35:36]|
	v_mul_lo_u32 v2, v2, s12
	v_mul_lo_u32 v37, v37, s12
	s_delay_alu instid0(VALU_DEP_4) | instskip(NEXT) | instid1(VALU_DEP_1)
	v_rndne_f64_e32 v[38:39], v[38:39]
	v_fma_f64 v[40:41], v[38:39], s[34:35], |v[35:36]|
	v_mul_f64_e32 v[42:43], s[36:37], v[38:39]
	s_delay_alu instid0(VALU_DEP_2) | instskip(NEXT) | instid1(VALU_DEP_1)
	v_add_f64_e32 v[44:45], 0, v[40:41]
	v_add_f64_e32 v[46:47], v[44:45], v[42:43]
	v_add_f64_e64 v[40:41], v[40:41], -v[44:45]
	s_delay_alu instid0(VALU_DEP_2) | instskip(NEXT) | instid1(VALU_DEP_2)
	v_add_f64_e64 v[44:45], v[44:45], -v[46:47]
	v_add_f64_e32 v[40:41], 0, v[40:41]
	s_delay_alu instid0(VALU_DEP_2) | instskip(NEXT) | instid1(VALU_DEP_1)
	v_add_f64_e32 v[42:43], v[44:45], v[42:43]
	v_add_f64_e32 v[40:41], v[40:41], v[42:43]
	v_mul_f64_e32 v[42:43], s[38:39], v[38:39]
	s_delay_alu instid0(VALU_DEP_2) | instskip(NEXT) | instid1(VALU_DEP_1)
	v_add_f64_e32 v[44:45], v[46:47], v[40:41]
	v_add_f64_e32 v[48:49], v[44:45], v[42:43]
	v_add_f64_e64 v[46:47], v[46:47], -v[44:45]
	s_delay_alu instid0(VALU_DEP_2) | instskip(NEXT) | instid1(VALU_DEP_2)
	v_add_f64_e64 v[44:45], v[44:45], -v[48:49]
	v_add_f64_e32 v[40:41], v[40:41], v[46:47]
	s_delay_alu instid0(VALU_DEP_2) | instskip(NEXT) | instid1(VALU_DEP_1)
	v_add_f64_e32 v[42:43], v[44:45], v[42:43]
	v_add_f64_e32 v[40:41], v[40:41], v[42:43]
	s_delay_alu instid0(VALU_DEP_1) | instskip(NEXT) | instid1(VALU_DEP_1)
	v_add_f64_e32 v[42:43], v[48:49], v[40:41]
	v_fma_f64 v[44:45], v[42:43], s[42:43], s[40:41]
	v_add_f64_e64 v[46:47], v[48:49], -v[42:43]
	v_mul_f64_e32 v[48:49], v[42:43], v[42:43]
	s_delay_alu instid0(VALU_DEP_3) | instskip(NEXT) | instid1(VALU_DEP_3)
	v_fma_f64 v[44:45], v[42:43], v[44:45], s[44:45]
	v_add_f64_e32 v[40:41], v[40:41], v[46:47]
	s_delay_alu instid0(VALU_DEP_3) | instskip(NEXT) | instid1(VALU_DEP_3)
	v_fma_f64 v[46:47], v[42:43], v[42:43], -v[48:49]
	v_fma_f64 v[44:45], v[42:43], v[44:45], s[46:47]
	s_delay_alu instid0(VALU_DEP_3) | instskip(NEXT) | instid1(VALU_DEP_2)
	v_add_f64_e32 v[50:51], v[40:41], v[40:41]
	v_fma_f64 v[44:45], v[42:43], v[44:45], s[48:49]
	s_delay_alu instid0(VALU_DEP_2) | instskip(NEXT) | instid1(VALU_DEP_2)
	v_fma_f64 v[46:47], v[42:43], v[50:51], v[46:47]
	v_fma_f64 v[44:45], v[42:43], v[44:45], s[50:51]
	s_delay_alu instid0(VALU_DEP_2) | instskip(NEXT) | instid1(VALU_DEP_2)
	v_add_f64_e32 v[50:51], v[48:49], v[46:47]
	v_fma_f64 v[44:45], v[42:43], v[44:45], s[52:53]
	s_delay_alu instid0(VALU_DEP_2) | instskip(NEXT) | instid1(VALU_DEP_2)
	v_add_f64_e64 v[48:49], v[50:51], -v[48:49]
	v_fma_f64 v[44:45], v[42:43], v[44:45], s[54:55]
	s_delay_alu instid0(VALU_DEP_2) | instskip(NEXT) | instid1(VALU_DEP_2)
	v_add_f64_e64 v[46:47], v[46:47], -v[48:49]
	v_fma_f64 v[44:45], v[42:43], v[44:45], s[56:57]
	s_delay_alu instid0(VALU_DEP_1) | instskip(NEXT) | instid1(VALU_DEP_1)
	v_fma_f64 v[44:45], v[42:43], v[44:45], s[58:59]
	v_mul_f64_e32 v[52:53], v[50:51], v[44:45]
	s_delay_alu instid0(VALU_DEP_1) | instskip(NEXT) | instid1(VALU_DEP_1)
	v_fma_f64 v[48:49], v[50:51], v[44:45], -v[52:53]
	v_fma_f64 v[44:45], v[46:47], v[44:45], v[48:49]
	s_delay_alu instid0(VALU_DEP_1) | instskip(NEXT) | instid1(VALU_DEP_1)
	v_add_f64_e32 v[46:47], v[52:53], v[44:45]
	v_add_f64_e32 v[48:49], v[42:43], v[46:47]
	v_add_f64_e64 v[50:51], v[46:47], -v[52:53]
	s_delay_alu instid0(VALU_DEP_2) | instskip(NEXT) | instid1(VALU_DEP_2)
	v_add_f64_e64 v[42:43], v[48:49], -v[42:43]
	v_add_f64_e64 v[44:45], v[44:45], -v[50:51]
	v_cvt_i32_f64_e32 v50, v[38:39]
	s_delay_alu instid0(VALU_DEP_3) | instskip(NEXT) | instid1(VALU_DEP_3)
	v_add_f64_e64 v[42:43], v[46:47], -v[42:43]
	v_add_f64_e32 v[40:41], v[40:41], v[44:45]
	s_delay_alu instid0(VALU_DEP_1) | instskip(NEXT) | instid1(VALU_DEP_1)
	v_add_f64_e32 v[40:41], v[40:41], v[42:43]
	v_add_f64_e32 v[42:43], v[48:49], v[40:41]
	s_delay_alu instid0(VALU_DEP_1) | instskip(SKIP_1) | instid1(VALU_DEP_2)
	v_add_f64_e32 v[44:45], 1.0, v[42:43]
	v_add_f64_e64 v[46:47], v[42:43], -v[48:49]
	v_add_f64_e32 v[48:49], -1.0, v[44:45]
	s_delay_alu instid0(VALU_DEP_2) | instskip(NEXT) | instid1(VALU_DEP_2)
	v_add_f64_e64 v[40:41], v[40:41], -v[46:47]
	v_add_f64_e64 v[42:43], v[42:43], -v[48:49]
	s_delay_alu instid0(VALU_DEP_1) | instskip(NEXT) | instid1(VALU_DEP_1)
	v_add_f64_e32 v[40:41], v[40:41], v[42:43]
	v_add_f64_e32 v[38:39], v[44:45], v[40:41]
	s_delay_alu instid0(VALU_DEP_1) | instskip(SKIP_1) | instid1(VALU_DEP_2)
	v_ldexp_f64 v[42:43], v[38:39], v50
	v_add_f64_e64 v[38:39], v[38:39], -v[44:45]
	v_rcp_f64_e32 v[46:47], v[42:43]
	s_delay_alu instid0(VALU_DEP_1) | instskip(NEXT) | instid1(VALU_DEP_1)
	v_add_f64_e64 v[38:39], v[40:41], -v[38:39]
	v_ldexp_f64 v[38:39], v[38:39], v50
	s_delay_alu instid0(TRANS32_DEP_1) | instskip(NEXT) | instid1(VALU_DEP_1)
	v_fma_f64 v[48:49], -v[42:43], v[46:47], 1.0
	v_fma_f64 v[46:47], v[48:49], v[46:47], v[46:47]
	s_delay_alu instid0(VALU_DEP_1) | instskip(NEXT) | instid1(VALU_DEP_1)
	v_fma_f64 v[48:49], -v[42:43], v[46:47], 1.0
	v_fma_f64 v[44:45], v[48:49], v[46:47], v[46:47]
	s_delay_alu instid0(VALU_DEP_1) | instskip(NEXT) | instid1(VALU_DEP_1)
	v_mul_f64_e32 v[40:41], v[42:43], v[44:45]
	v_fma_f64 v[46:47], v[44:45], v[42:43], -v[40:41]
	s_delay_alu instid0(VALU_DEP_1) | instskip(NEXT) | instid1(VALU_DEP_1)
	v_fma_f64 v[46:47], v[44:45], v[38:39], v[46:47]
	v_add_f64_e32 v[48:49], v[40:41], v[46:47]
	s_delay_alu instid0(VALU_DEP_1) | instskip(SKIP_1) | instid1(VALU_DEP_2)
	v_add_f64_e64 v[50:51], -v[48:49], 1.0
	v_add_f64_e64 v[40:41], v[48:49], -v[40:41]
	v_add_f64_e64 v[52:53], -v[50:51], 1.0
	s_delay_alu instid0(VALU_DEP_2) | instskip(NEXT) | instid1(VALU_DEP_2)
	v_add_f64_e64 v[40:41], v[40:41], -v[46:47]
	v_add_f64_e64 v[46:47], v[52:53], -v[48:49]
	s_delay_alu instid0(VALU_DEP_1) | instskip(NEXT) | instid1(VALU_DEP_1)
	v_add_f64_e32 v[40:41], v[40:41], v[46:47]
	v_add_f64_e32 v[46:47], v[50:51], v[40:41]
	s_delay_alu instid0(VALU_DEP_1) | instskip(SKIP_1) | instid1(VALU_DEP_2)
	v_mul_f64_e32 v[48:49], v[44:45], v[46:47]
	v_add_f64_e64 v[50:51], v[50:51], -v[46:47]
	v_mul_f64_e32 v[52:53], v[42:43], v[48:49]
	s_delay_alu instid0(VALU_DEP_2) | instskip(NEXT) | instid1(VALU_DEP_2)
	v_add_f64_e32 v[40:41], v[40:41], v[50:51]
	v_fma_f64 v[54:55], v[48:49], v[42:43], -v[52:53]
	s_delay_alu instid0(VALU_DEP_1) | instskip(NEXT) | instid1(VALU_DEP_1)
	v_fma_f64 v[54:55], v[48:49], v[38:39], v[54:55]
	v_add_f64_e32 v[56:57], v[52:53], v[54:55]
	s_delay_alu instid0(VALU_DEP_1) | instskip(SKIP_1) | instid1(VALU_DEP_2)
	v_add_f64_e64 v[58:59], v[46:47], -v[56:57]
	v_add_f64_e64 v[50:51], v[56:57], -v[52:53]
	;; [unrolled: 1-line block ×3, first 2 shown]
	s_delay_alu instid0(VALU_DEP_2) | instskip(NEXT) | instid1(VALU_DEP_2)
	v_add_f64_e64 v[50:51], v[50:51], -v[54:55]
	v_add_f64_e64 v[46:47], v[46:47], -v[56:57]
	s_delay_alu instid0(VALU_DEP_1) | instskip(SKIP_1) | instid1(VALU_DEP_2)
	v_add_f64_e32 v[40:41], v[40:41], v[46:47]
	v_add_f64_e32 v[46:47], v[44:45], v[48:49]
	;; [unrolled: 1-line block ×3, first 2 shown]
	s_delay_alu instid0(VALU_DEP_2) | instskip(NEXT) | instid1(VALU_DEP_2)
	v_add_f64_e64 v[50:51], v[46:47], -v[44:45]
	v_add_f64_e32 v[40:41], v[58:59], v[40:41]
	s_delay_alu instid0(VALU_DEP_2) | instskip(NEXT) | instid1(VALU_DEP_2)
	v_add_f64_e64 v[48:49], v[48:49], -v[50:51]
	v_mul_f64_e32 v[40:41], v[44:45], v[40:41]
	s_delay_alu instid0(VALU_DEP_1) | instskip(NEXT) | instid1(VALU_DEP_1)
	v_add_f64_e32 v[40:41], v[48:49], v[40:41]
	v_add_f64_e32 v[44:45], v[46:47], v[40:41]
	s_delay_alu instid0(VALU_DEP_1) | instskip(SKIP_2) | instid1(VALU_DEP_3)
	v_add_f64_e32 v[48:49], v[42:43], v[44:45]
	v_add_f64_e64 v[46:47], v[44:45], -v[46:47]
	v_add_f64_e64 v[52:53], v[42:43], -v[44:45]
	;; [unrolled: 1-line block ×3, first 2 shown]
	s_delay_alu instid0(VALU_DEP_3) | instskip(NEXT) | instid1(VALU_DEP_3)
	v_add_f64_e64 v[40:41], v[40:41], -v[46:47]
	v_add_f64_e64 v[42:43], v[42:43], -v[52:53]
	s_delay_alu instid0(VALU_DEP_3) | instskip(NEXT) | instid1(VALU_DEP_3)
	v_add_f64_e64 v[46:47], v[44:45], -v[50:51]
	v_add_f64_e32 v[50:51], v[38:39], v[40:41]
	s_delay_alu instid0(VALU_DEP_3) | instskip(NEXT) | instid1(VALU_DEP_2)
	v_add_f64_e64 v[42:43], v[42:43], -v[44:45]
	v_add_f64_e32 v[46:47], v[50:51], v[46:47]
	s_delay_alu instid0(VALU_DEP_2) | instskip(NEXT) | instid1(VALU_DEP_2)
	v_add_f64_e32 v[38:39], v[38:39], v[42:43]
	v_add_f64_e32 v[50:51], v[48:49], v[46:47]
	s_delay_alu instid0(VALU_DEP_2) | instskip(NEXT) | instid1(VALU_DEP_2)
	v_add_f64_e64 v[38:39], v[38:39], -v[40:41]
	v_rcp_f64_e32 v[54:55], v[50:51]
	v_add_f64_e64 v[48:49], v[50:51], -v[48:49]
	s_delay_alu instid0(VALU_DEP_1) | instskip(NEXT) | instid1(TRANS32_DEP_1)
	v_add_f64_e64 v[46:47], v[46:47], -v[48:49]
	v_fma_f64 v[44:45], -v[50:51], v[54:55], 1.0
	s_delay_alu instid0(VALU_DEP_1) | instskip(SKIP_1) | instid1(VALU_DEP_2)
	v_fma_f64 v[42:43], v[44:45], v[54:55], v[54:55]
	v_add_f64_e32 v[44:45], v[52:53], v[38:39]
	v_fma_f64 v[40:41], -v[50:51], v[42:43], 1.0
	s_delay_alu instid0(VALU_DEP_1) | instskip(NEXT) | instid1(VALU_DEP_1)
	v_fma_f64 v[40:41], v[40:41], v[42:43], v[42:43]
	v_mul_f64_e32 v[42:43], v[44:45], v[40:41]
	s_delay_alu instid0(VALU_DEP_1) | instskip(NEXT) | instid1(VALU_DEP_1)
	v_mul_f64_e32 v[54:55], v[50:51], v[42:43]
	v_fma_f64 v[48:49], v[42:43], v[50:51], -v[54:55]
	s_delay_alu instid0(VALU_DEP_1) | instskip(NEXT) | instid1(VALU_DEP_1)
	v_fma_f64 v[46:47], v[42:43], v[46:47], v[48:49]
	v_add_f64_e32 v[48:49], v[54:55], v[46:47]
	s_delay_alu instid0(VALU_DEP_1) | instskip(SKIP_1) | instid1(VALU_DEP_2)
	v_add_f64_e64 v[50:51], v[44:45], -v[48:49]
	v_add_f64_e64 v[54:55], v[48:49], -v[54:55]
	;; [unrolled: 1-line block ×4, first 2 shown]
	s_delay_alu instid0(VALU_DEP_3) | instskip(NEXT) | instid1(VALU_DEP_3)
	v_add_f64_e64 v[46:47], v[46:47], -v[54:55]
	v_add_f64_e64 v[48:49], v[56:57], -v[48:49]
	s_delay_alu instid0(VALU_DEP_3) | instskip(NEXT) | instid1(VALU_DEP_2)
	v_add_f64_e64 v[38:39], v[38:39], -v[44:45]
	v_add_f64_e64 v[44:45], v[48:49], -v[46:47]
	v_mul_lo_u32 v46, v18, s13
	v_mul_lo_u32 v47, v20, s13
	s_delay_alu instid0(VALU_DEP_3) | instskip(SKIP_1) | instid1(VALU_DEP_2)
	v_add_f64_e32 v[38:39], v[38:39], v[44:45]
	v_add_f64_e64 v[44:45], -v[25:26], 1.0
	v_add_f64_e32 v[38:39], v[50:51], v[38:39]
	s_delay_alu instid0(VALU_DEP_1) | instskip(NEXT) | instid1(VALU_DEP_1)
	v_mul_f64_e32 v[38:39], v[40:41], v[38:39]
	v_add_f64_e32 v[38:39], v[42:43], v[38:39]
	s_wait_alu 0xfffd
	s_delay_alu instid0(VALU_DEP_1) | instskip(NEXT) | instid1(VALU_DEP_2)
	v_cndmask_b32_e32 v39, 0x3ff00000, v39, vcc_lo
	v_cndmask_b32_e32 v38, 0, v38, vcc_lo
	v_cmp_gt_f64_e64 vcc_lo, 0x3e400000, |v[35:36]|
	s_wait_alu 0xfffd
	s_delay_alu instid0(VALU_DEP_2) | instskip(NEXT) | instid1(VALU_DEP_1)
	v_dual_cndmask_b32 v35, v38, v35 :: v_dual_and_b32 v40, 0x7fffffff, v36
	v_cndmask_b32_e32 v38, v39, v40, vcc_lo
	v_add_co_u32 v3, vcc_lo, v3, s16
	s_wait_alu 0xfffd
	v_add_co_ci_u32_e64 v4, null, 0, v4, vcc_lo
	s_delay_alu instid0(VALU_DEP_3)
	v_bfi_b32 v36, 0x7fffffff, v38, v36
	v_mul_f64_e32 v[38:39], v[25:26], v[31:32]
	v_add_co_u32 v5, vcc_lo, v5, s18
	s_wait_alu 0xfffd
	v_add_co_ci_u32_e64 v6, null, s19, v6, vcc_lo
	v_fma_f64 v[40:41], -v[35:36], v[35:36], 1.0
	v_mul_f64_e32 v[31:32], v[35:36], v[31:32]
	v_add_co_u32 v7, vcc_lo, v7, s20
	s_wait_alu 0xfffd
	v_add_co_ci_u32_e64 v8, null, s21, v8, vcc_lo
	v_add_co_u32 v11, vcc_lo, v11, s24
	s_wait_alu 0xfffd
	v_add_co_ci_u32_e64 v12, null, s25, v12, vcc_lo
	v_fma_f64 v[33:34], v[40:41], v[38:39], v[33:34]
	v_add_f64_e64 v[38:39], -v[23:24], 1.0
	v_add_f64_e64 v[40:41], -v[21:22], 1.0
	v_mul_f64_e32 v[31:32], v[44:45], v[31:32]
	v_mul_lo_u32 v44, v16, s13
	v_mul_lo_u32 v45, v19, s12
	v_mad_co_u64_u32 v[19:20], null, v20, s12, 0
	s_delay_alu instid0(VALU_DEP_1) | instskip(NEXT) | instid1(VALU_DEP_1)
	v_add3_u32 v20, v20, v47, v37
	v_lshlrev_b64_e32 v[19:20], 3, v[19:20]
	v_mul_f64_e32 v[42:43], v[27:28], v[33:34]
	v_mul_f64_e32 v[29:30], v[29:30], v[33:34]
	v_fma_f64 v[27:28], -v[27:28], v[27:28], 1.0
	v_mul_f64_e32 v[25:26], v[25:26], v[31:32]
	s_delay_alu instid0(VALU_DEP_4) | instskip(NEXT) | instid1(VALU_DEP_4)
	v_mul_f64_e32 v[35:36], v[38:39], v[42:43]
	v_mul_f64_e32 v[29:30], v[40:41], v[29:30]
	;; [unrolled: 1-line block ×3, first 2 shown]
	v_mul_lo_u32 v42, v15, s13
	v_mad_co_u64_u32 v[40:41], null, v15, s12, 0
	v_mul_lo_u32 v43, v17, s12
	v_mad_co_u64_u32 v[15:16], null, v16, s12, 0
	v_mad_co_u64_u32 v[17:18], null, v18, s12, 0
	s_delay_alu instid0(VALU_DEP_4) | instskip(NEXT) | instid1(VALU_DEP_3)
	v_add3_u32 v41, v41, v42, v2
	v_add3_u32 v16, v16, v44, v43
	s_delay_alu instid0(VALU_DEP_3) | instskip(NEXT) | instid1(VALU_DEP_3)
	v_add3_u32 v18, v18, v46, v45
	v_lshlrev_b64_e32 v[31:32], 3, v[40:41]
	s_delay_alu instid0(VALU_DEP_3) | instskip(NEXT) | instid1(VALU_DEP_3)
	v_lshlrev_b64_e32 v[15:16], 3, v[15:16]
	v_lshlrev_b64_e32 v[17:18], 3, v[17:18]
	s_delay_alu instid0(VALU_DEP_3) | instskip(SKIP_1) | instid1(VALU_DEP_4)
	v_add_co_u32 v31, vcc_lo, s10, v31
	s_wait_alu 0xfffd
	v_add_co_ci_u32_e64 v32, null, s11, v32, vcc_lo
	s_delay_alu instid0(VALU_DEP_4)
	v_add_co_u32 v15, vcc_lo, s10, v15
	s_wait_alu 0xfffd
	v_add_co_ci_u32_e64 v16, null, s11, v16, vcc_lo
	v_add_co_u32 v17, vcc_lo, s10, v17
	s_wait_alu 0xfffd
	v_add_co_ci_u32_e64 v18, null, s11, v18, vcc_lo
	v_add_co_u32 v19, vcc_lo, s10, v19
	v_mul_f64_e32 v[23:24], v[23:24], v[35:36]
	v_mul_f64_e32 v[29:30], v[21:22], v[29:30]
	;; [unrolled: 1-line block ×4, first 2 shown]
	s_wait_alu 0xfffd
	v_add_co_ci_u32_e64 v20, null, s11, v20, vcc_lo
	v_cmp_le_i64_e32 vcc_lo, s[6:7], v[3:4]
	s_clause 0x3
	global_store_b64 v[31:32], v[23:24], off
	global_store_b64 v[15:16], v[29:30], off
	;; [unrolled: 1-line block ×5, first 2 shown]
	v_add_co_u32 v9, s0, v9, s22
	s_wait_alu 0xf1ff
	v_add_co_ci_u32_e64 v10, null, s23, v10, s0
	v_add_co_u32 v13, s0, v13, s26
	s_wait_alu 0xf1ff
	v_add_co_ci_u32_e64 v14, null, s27, v14, s0
	s_or_b32 s17, vcc_lo, s17
	s_wait_alu 0xfffe
	s_and_not1_b32 exec_lo, exec_lo, s17
	s_cbranch_execz .LBB18_11
.LBB18_3:                               ; =>This Inner Loop Header: Depth=1
	v_or_b32_e32 v2, s5, v4
                                        ; implicit-def: $vgpr17_vgpr18
	s_mov_b32 s0, exec_lo
	s_delay_alu instid0(VALU_DEP_1)
	v_cmpx_ne_u64_e32 0, v[1:2]
	s_wait_alu 0xfffe
	s_xor_b32 s63, exec_lo, s0
	s_cbranch_execz .LBB18_5
; %bb.4:                                ;   in Loop: Header=BB18_3 Depth=1
	s_mov_b32 s29, s28
	v_ashrrev_i32_e32 v2, 31, v4
	s_wait_alu 0xfffe
	s_add_nc_u64 s[60:61], s[4:5], s[28:29]
	s_wait_alu 0xfffe
	s_xor_b64 s[60:61], s[60:61], s[28:29]
	v_add_co_u32 v15, vcc_lo, v3, v2
	s_wait_alu 0xfffe
	s_cvt_f32_u32 s0, s60
	s_cvt_f32_u32 s29, s61
	s_sub_nc_u64 s[66:67], 0, s[60:61]
	s_wait_alu 0xfffd
	v_add_co_ci_u32_e64 v16, null, v4, v2, vcc_lo
	s_wait_alu 0xfffe
	s_fmamk_f32 s0, s29, 0x4f800000, s0
	v_xor_b32_e32 v21, v15, v2
	s_delay_alu instid0(VALU_DEP_2) | instskip(SKIP_3) | instid1(TRANS32_DEP_1)
	v_xor_b32_e32 v22, v16, v2
	s_wait_alu 0xfffe
	v_s_rcp_f32 s0, s0
	v_xor_b32_e32 v2, s28, v2
	s_mul_f32 s0, s0, 0x5f7ffffc
	s_wait_alu 0xfffe
	s_delay_alu instid0(SALU_CYCLE_2) | instskip(SKIP_1) | instid1(SALU_CYCLE_2)
	s_mul_f32 s29, s0, 0x2f800000
	s_wait_alu 0xfffe
	s_trunc_f32 s29, s29
	s_wait_alu 0xfffe
	s_delay_alu instid0(SALU_CYCLE_2) | instskip(SKIP_2) | instid1(SALU_CYCLE_1)
	s_fmamk_f32 s0, s29, 0xcf800000, s0
	s_cvt_u32_f32 s65, s29
	s_wait_alu 0xfffe
	s_cvt_u32_f32 s64, s0
	s_delay_alu instid0(SALU_CYCLE_3) | instskip(NEXT) | instid1(SALU_CYCLE_1)
	s_mul_u64 s[68:69], s[66:67], s[64:65]
	s_mul_hi_u32 s71, s64, s69
	s_mul_i32 s70, s64, s69
	s_mul_hi_u32 s0, s64, s68
	s_mul_i32 s72, s65, s68
	s_wait_alu 0xfffe
	s_add_nc_u64 s[70:71], s[0:1], s[70:71]
	s_mul_hi_u32 s29, s65, s68
	s_mul_hi_u32 s73, s65, s69
	s_add_co_u32 s0, s70, s72
	s_wait_alu 0xfffe
	s_add_co_ci_u32 s0, s71, s29
	s_mul_i32 s68, s65, s69
	s_add_co_ci_u32 s69, s73, 0
	s_wait_alu 0xfffe
	s_add_nc_u64 s[68:69], s[0:1], s[68:69]
	s_delay_alu instid0(SALU_CYCLE_1) | instskip(SKIP_4) | instid1(SALU_CYCLE_1)
	s_add_co_u32 s64, s64, s68
	s_cselect_b32 s0, -1, 0
	s_wait_alu 0xfffe
	s_cmp_lg_u32 s0, 0
	s_add_co_ci_u32 s65, s65, s69
	s_mul_u64 s[66:67], s[66:67], s[64:65]
	s_delay_alu instid0(SALU_CYCLE_1)
	s_mul_hi_u32 s69, s64, s67
	s_mul_i32 s68, s64, s67
	s_mul_hi_u32 s0, s64, s66
	s_mul_i32 s70, s65, s66
	s_wait_alu 0xfffe
	s_add_nc_u64 s[68:69], s[0:1], s[68:69]
	s_mul_hi_u32 s29, s65, s66
	s_mul_hi_u32 s71, s65, s67
	s_add_co_u32 s0, s68, s70
	s_wait_alu 0xfffe
	s_add_co_ci_u32 s0, s69, s29
	s_mul_i32 s66, s65, s67
	s_add_co_ci_u32 s67, s71, 0
	s_wait_alu 0xfffe
	s_add_nc_u64 s[66:67], s[0:1], s[66:67]
	s_delay_alu instid0(SALU_CYCLE_1)
	s_add_co_u32 s0, s64, s66
	s_cselect_b32 s29, -1, 0
	s_wait_alu 0xfffe
	v_mul_hi_u32 v23, v21, s0
	s_cmp_lg_u32 s29, 0
	v_mad_co_u64_u32 v[17:18], null, v22, s0, 0
	s_add_co_ci_u32 s29, s65, s67
	s_wait_alu 0xfffe
	v_mad_co_u64_u32 v[15:16], null, v21, s29, 0
	v_mad_co_u64_u32 v[19:20], null, v22, s29, 0
	s_delay_alu instid0(VALU_DEP_2) | instskip(SKIP_1) | instid1(VALU_DEP_3)
	v_add_co_u32 v15, vcc_lo, v23, v15
	s_wait_alu 0xfffd
	v_add_co_ci_u32_e64 v16, null, 0, v16, vcc_lo
	s_delay_alu instid0(VALU_DEP_2) | instskip(SKIP_1) | instid1(VALU_DEP_2)
	v_add_co_u32 v15, vcc_lo, v15, v17
	s_wait_alu 0xfffd
	v_add_co_ci_u32_e32 v15, vcc_lo, v16, v18, vcc_lo
	s_wait_alu 0xfffd
	v_add_co_ci_u32_e32 v16, vcc_lo, 0, v20, vcc_lo
	s_delay_alu instid0(VALU_DEP_2) | instskip(SKIP_1) | instid1(VALU_DEP_2)
	v_add_co_u32 v17, vcc_lo, v15, v19
	s_wait_alu 0xfffd
	v_add_co_ci_u32_e64 v18, null, 0, v16, vcc_lo
	s_delay_alu instid0(VALU_DEP_2) | instskip(SKIP_1) | instid1(VALU_DEP_3)
	v_mul_lo_u32 v19, s61, v17
	v_mad_co_u64_u32 v[15:16], null, s60, v17, 0
	v_mul_lo_u32 v20, s60, v18
	s_delay_alu instid0(VALU_DEP_2) | instskip(NEXT) | instid1(VALU_DEP_2)
	v_sub_co_u32 v15, vcc_lo, v21, v15
	v_add3_u32 v16, v16, v20, v19
	v_add_co_u32 v20, s0, v17, 2
	s_wait_alu 0xf1ff
	v_add_co_ci_u32_e64 v21, null, 0, v18, s0
	s_delay_alu instid0(VALU_DEP_3) | instskip(SKIP_3) | instid1(VALU_DEP_3)
	v_sub_nc_u32_e32 v19, v22, v16
	v_sub_co_u32 v23, s0, v15, s60
	s_wait_alu 0xfffd
	v_sub_co_ci_u32_e64 v16, null, v22, v16, vcc_lo
	v_subrev_co_ci_u32_e64 v19, null, s61, v19, vcc_lo
	s_delay_alu instid0(VALU_DEP_3) | instskip(SKIP_1) | instid1(VALU_DEP_2)
	v_cmp_le_u32_e32 vcc_lo, s60, v23
	s_wait_alu 0xf1ff
	v_subrev_co_ci_u32_e64 v19, null, 0, v19, s0
	s_wait_alu 0xfffd
	v_cndmask_b32_e64 v22, 0, -1, vcc_lo
	s_delay_alu instid0(VALU_DEP_2)
	v_cmp_le_u32_e32 vcc_lo, s61, v19
	s_wait_alu 0xfffd
	v_cndmask_b32_e64 v23, 0, -1, vcc_lo
	v_cmp_le_u32_e32 vcc_lo, s60, v15
	s_wait_alu 0xfffd
	v_cndmask_b32_e64 v15, 0, -1, vcc_lo
	;; [unrolled: 3-line block ×3, first 2 shown]
	v_cmp_eq_u32_e32 vcc_lo, s61, v19
	s_wait_alu 0xfffd
	v_cndmask_b32_e32 v19, v23, v22, vcc_lo
	v_add_co_u32 v22, vcc_lo, v17, 1
	s_wait_alu 0xfffd
	v_add_co_ci_u32_e64 v23, null, 0, v18, vcc_lo
	v_cmp_eq_u32_e32 vcc_lo, s61, v16
	s_wait_alu 0xfffd
	v_cndmask_b32_e32 v15, v24, v15, vcc_lo
	v_cmp_ne_u32_e32 vcc_lo, 0, v19
	s_wait_alu 0xfffd
	v_cndmask_b32_e32 v16, v23, v21, vcc_lo
	s_delay_alu instid0(VALU_DEP_3) | instskip(SKIP_2) | instid1(VALU_DEP_2)
	v_cmp_ne_u32_e64 s0, 0, v15
	v_cndmask_b32_e32 v15, v22, v20, vcc_lo
	s_wait_alu 0xf1ff
	v_cndmask_b32_e64 v16, v18, v16, s0
	s_delay_alu instid0(VALU_DEP_2) | instskip(NEXT) | instid1(VALU_DEP_2)
	v_cndmask_b32_e64 v15, v17, v15, s0
	v_xor_b32_e32 v16, v16, v2
	s_delay_alu instid0(VALU_DEP_2) | instskip(NEXT) | instid1(VALU_DEP_1)
	v_xor_b32_e32 v15, v15, v2
	v_sub_co_u32 v17, vcc_lo, v15, v2
	s_wait_alu 0xfffd
	s_delay_alu instid0(VALU_DEP_3)
	v_sub_co_ci_u32_e64 v18, null, v16, v2, vcc_lo
.LBB18_5:                               ;   in Loop: Header=BB18_3 Depth=1
	s_and_not1_saveexec_b32 s0, s63
	s_cbranch_execz .LBB18_7
; %bb.6:                                ;   in Loop: Header=BB18_3 Depth=1
	s_sub_co_i32 s29, 0, s4
	v_mov_b32_e32 v18, v1
	s_wait_alu 0xfffe
	v_mul_lo_u32 v2, s29, v0
	s_delay_alu instid0(VALU_DEP_1) | instskip(NEXT) | instid1(VALU_DEP_1)
	v_mul_hi_u32 v2, v0, v2
	v_add_nc_u32_e32 v2, v0, v2
	s_delay_alu instid0(VALU_DEP_1) | instskip(NEXT) | instid1(VALU_DEP_1)
	v_mul_hi_u32 v2, v3, v2
	v_mul_lo_u32 v15, v2, s4
	v_add_nc_u32_e32 v16, 1, v2
	s_delay_alu instid0(VALU_DEP_2) | instskip(NEXT) | instid1(VALU_DEP_1)
	v_sub_nc_u32_e32 v15, v3, v15
	v_subrev_nc_u32_e32 v17, s4, v15
	v_cmp_le_u32_e32 vcc_lo, s4, v15
	s_wait_alu 0xfffd
	s_delay_alu instid0(VALU_DEP_2) | instskip(NEXT) | instid1(VALU_DEP_1)
	v_dual_cndmask_b32 v15, v15, v17 :: v_dual_cndmask_b32 v2, v2, v16
	v_cmp_le_u32_e32 vcc_lo, s4, v15
	s_delay_alu instid0(VALU_DEP_2) | instskip(SKIP_1) | instid1(VALU_DEP_1)
	v_add_nc_u32_e32 v16, 1, v2
	s_wait_alu 0xfffd
	v_cndmask_b32_e32 v17, v2, v16, vcc_lo
.LBB18_7:                               ;   in Loop: Header=BB18_3 Depth=1
	s_wait_alu 0xfffe
	s_or_b32 exec_lo, exec_lo, s0
	s_delay_alu instid0(VALU_DEP_1) | instskip(SKIP_3) | instid1(VALU_DEP_4)
	v_mad_co_u64_u32 v[19:20], null, v17, 3, 0
	v_mad_co_u64_u32 v[15:16], null, s14, v17, v[3:4]
	v_mul_lo_u32 v2, s14, v18
	v_mul_lo_u32 v21, s15, v17
	v_mov_b32_e32 v17, v20
	s_delay_alu instid0(VALU_DEP_4) | instskip(SKIP_1) | instid1(VALU_DEP_4)
	v_mul_lo_u32 v26, v15, s9
	v_mad_co_u64_u32 v[22:23], null, v15, s8, 0
	v_add3_u32 v2, v21, v16, v2
	s_delay_alu instid0(VALU_DEP_4) | instskip(SKIP_1) | instid1(VALU_DEP_3)
	v_mad_co_u64_u32 v[20:21], null, v18, 3, v[17:18]
	v_add_co_u32 v16, vcc_lo, v19, 1
	v_mul_lo_u32 v27, v2, s8
	s_delay_alu instid0(VALU_DEP_2) | instskip(SKIP_1) | instid1(VALU_DEP_4)
	v_mul_lo_u32 v21, s5, v16
	s_wait_alu 0xfffd
	v_add_co_ci_u32_e64 v18, null, 0, v20, vcc_lo
	v_add_co_u32 v24, vcc_lo, v19, 2
	s_wait_alu 0xfffd
	v_add_co_ci_u32_e64 v25, null, 0, v20, vcc_lo
	v_mad_co_u64_u32 v[16:17], null, s4, v16, v[3:4]
	v_mul_lo_u32 v28, s4, v18
	v_add_co_u32 v29, vcc_lo, v19, 3
	v_mul_lo_u32 v30, s5, v24
	v_mad_co_u64_u32 v[18:19], null, s4, v24, v[3:4]
	v_mul_lo_u32 v24, s4, v25
	s_wait_alu 0xfffd
	v_add_co_ci_u32_e64 v25, null, 0, v20, vcc_lo
	v_add3_u32 v17, v21, v17, v28
	v_mul_lo_u32 v28, s5, v29
	v_mad_co_u64_u32 v[20:21], null, s4, v29, v[3:4]
	s_delay_alu instid0(VALU_DEP_4) | instskip(NEXT) | instid1(VALU_DEP_4)
	v_mul_lo_u32 v29, s4, v25
	v_mul_lo_u32 v31, v17, s8
	v_add3_u32 v19, v30, v19, v24
	v_mul_lo_u32 v30, v16, s9
	v_mad_co_u64_u32 v[24:25], null, v16, s8, 0
	v_add3_u32 v23, v23, v26, v27
	s_delay_alu instid0(VALU_DEP_4) | instskip(SKIP_4) | instid1(VALU_DEP_4)
	v_mul_lo_u32 v32, v19, s8
	v_add3_u32 v37, v28, v21, v29
	v_mul_lo_u32 v33, v18, s9
	v_mad_co_u64_u32 v[26:27], null, v18, s8, 0
	v_add3_u32 v25, v25, v30, v31
	v_mul_lo_u32 v30, v37, s8
	v_mul_lo_u32 v31, v20, s9
	v_mad_co_u64_u32 v[28:29], null, v20, s8, 0
	v_lshlrev_b64_e32 v[21:22], 3, v[22:23]
	v_lshlrev_b64_e32 v[23:24], 3, v[24:25]
	v_add3_u32 v27, v27, v33, v32
	s_delay_alu instid0(VALU_DEP_4) | instskip(NEXT) | instid1(VALU_DEP_4)
	v_add3_u32 v29, v29, v31, v30
	v_add_co_u32 v21, vcc_lo, s2, v21
	s_wait_alu 0xfffd
	v_add_co_ci_u32_e64 v22, null, s3, v22, vcc_lo
	v_lshlrev_b64_e32 v[25:26], 3, v[26:27]
	v_add_co_u32 v30, vcc_lo, s2, v23
	s_wait_alu 0xfffd
	v_add_co_ci_u32_e64 v31, null, s3, v24, vcc_lo
	v_lshlrev_b64_e32 v[23:24], 3, v[28:29]
	s_delay_alu instid0(VALU_DEP_4) | instskip(SKIP_2) | instid1(VALU_DEP_3)
	v_add_co_u32 v25, vcc_lo, s2, v25
	s_wait_alu 0xfffd
	v_add_co_ci_u32_e64 v26, null, s3, v26, vcc_lo
	v_add_co_u32 v32, vcc_lo, s2, v23
	s_wait_alu 0xfffd
	v_add_co_ci_u32_e64 v33, null, s3, v24, vcc_lo
	s_clause 0x3
	global_load_b64 v[23:24], v[21:22], off
	global_load_b64 v[21:22], v[30:31], off
	;; [unrolled: 1-line block ×6, first 2 shown]
	v_mov_b32_e32 v33, 0
	v_dual_mov_b32 v31, 0 :: v_dual_mov_b32 v34, 0
	v_mov_b32_e32 v32, 0
	s_and_not1_b32 vcc_lo, exec_lo, s33
	s_wait_alu 0xfffe
	s_cbranch_vccnz .LBB18_9
; %bb.8:                                ;   in Loop: Header=BB18_3 Depth=1
	global_load_b64 v[31:32], v[11:12], off
.LBB18_9:                               ;   in Loop: Header=BB18_3 Depth=1
	s_and_not1_b32 vcc_lo, exec_lo, s62
	s_wait_alu 0xfffe
	s_cbranch_vccnz .LBB18_2
; %bb.10:                               ;   in Loop: Header=BB18_3 Depth=1
	global_load_b64 v[33:34], v[13:14], off
	s_branch .LBB18_2
.LBB18_11:
	s_endpgm
	.section	.rodata,"a",@progbits
	.p2align	6, 0x0
	.amdhsa_kernel _ZN2at6native12_GLOBAL__N_16kernel18lstm_cell_backwardIddlLi1EEEvNS_4cuda6detail10TensorInfoIT_T1_EES9_S9_S9_S9_S9_S9_S8_S8_
		.amdhsa_group_segment_fixed_size 0
		.amdhsa_private_segment_fixed_size 0
		.amdhsa_kernarg_size 3184
		.amdhsa_user_sgpr_count 2
		.amdhsa_user_sgpr_dispatch_ptr 0
		.amdhsa_user_sgpr_queue_ptr 0
		.amdhsa_user_sgpr_kernarg_segment_ptr 1
		.amdhsa_user_sgpr_dispatch_id 0
		.amdhsa_user_sgpr_private_segment_size 0
		.amdhsa_wavefront_size32 1
		.amdhsa_uses_dynamic_stack 0
		.amdhsa_enable_private_segment 0
		.amdhsa_system_sgpr_workgroup_id_x 1
		.amdhsa_system_sgpr_workgroup_id_y 0
		.amdhsa_system_sgpr_workgroup_id_z 0
		.amdhsa_system_sgpr_workgroup_info 0
		.amdhsa_system_vgpr_workitem_id 0
		.amdhsa_next_free_vgpr 60
		.amdhsa_next_free_sgpr 74
		.amdhsa_reserve_vcc 1
		.amdhsa_float_round_mode_32 0
		.amdhsa_float_round_mode_16_64 0
		.amdhsa_float_denorm_mode_32 3
		.amdhsa_float_denorm_mode_16_64 3
		.amdhsa_fp16_overflow 0
		.amdhsa_workgroup_processor_mode 1
		.amdhsa_memory_ordered 1
		.amdhsa_forward_progress 1
		.amdhsa_inst_pref_size 33
		.amdhsa_round_robin_scheduling 0
		.amdhsa_exception_fp_ieee_invalid_op 0
		.amdhsa_exception_fp_denorm_src 0
		.amdhsa_exception_fp_ieee_div_zero 0
		.amdhsa_exception_fp_ieee_overflow 0
		.amdhsa_exception_fp_ieee_underflow 0
		.amdhsa_exception_fp_ieee_inexact 0
		.amdhsa_exception_int_div_zero 0
	.end_amdhsa_kernel
	.section	.text._ZN2at6native12_GLOBAL__N_16kernel18lstm_cell_backwardIddlLi1EEEvNS_4cuda6detail10TensorInfoIT_T1_EES9_S9_S9_S9_S9_S9_S8_S8_,"axG",@progbits,_ZN2at6native12_GLOBAL__N_16kernel18lstm_cell_backwardIddlLi1EEEvNS_4cuda6detail10TensorInfoIT_T1_EES9_S9_S9_S9_S9_S9_S8_S8_,comdat
.Lfunc_end18:
	.size	_ZN2at6native12_GLOBAL__N_16kernel18lstm_cell_backwardIddlLi1EEEvNS_4cuda6detail10TensorInfoIT_T1_EES9_S9_S9_S9_S9_S9_S8_S8_, .Lfunc_end18-_ZN2at6native12_GLOBAL__N_16kernel18lstm_cell_backwardIddlLi1EEEvNS_4cuda6detail10TensorInfoIT_T1_EES9_S9_S9_S9_S9_S9_S8_S8_
                                        ; -- End function
	.set _ZN2at6native12_GLOBAL__N_16kernel18lstm_cell_backwardIddlLi1EEEvNS_4cuda6detail10TensorInfoIT_T1_EES9_S9_S9_S9_S9_S9_S8_S8_.num_vgpr, 60
	.set _ZN2at6native12_GLOBAL__N_16kernel18lstm_cell_backwardIddlLi1EEEvNS_4cuda6detail10TensorInfoIT_T1_EES9_S9_S9_S9_S9_S9_S8_S8_.num_agpr, 0
	.set _ZN2at6native12_GLOBAL__N_16kernel18lstm_cell_backwardIddlLi1EEEvNS_4cuda6detail10TensorInfoIT_T1_EES9_S9_S9_S9_S9_S9_S8_S8_.numbered_sgpr, 74
	.set _ZN2at6native12_GLOBAL__N_16kernel18lstm_cell_backwardIddlLi1EEEvNS_4cuda6detail10TensorInfoIT_T1_EES9_S9_S9_S9_S9_S9_S8_S8_.num_named_barrier, 0
	.set _ZN2at6native12_GLOBAL__N_16kernel18lstm_cell_backwardIddlLi1EEEvNS_4cuda6detail10TensorInfoIT_T1_EES9_S9_S9_S9_S9_S9_S8_S8_.private_seg_size, 0
	.set _ZN2at6native12_GLOBAL__N_16kernel18lstm_cell_backwardIddlLi1EEEvNS_4cuda6detail10TensorInfoIT_T1_EES9_S9_S9_S9_S9_S9_S8_S8_.uses_vcc, 1
	.set _ZN2at6native12_GLOBAL__N_16kernel18lstm_cell_backwardIddlLi1EEEvNS_4cuda6detail10TensorInfoIT_T1_EES9_S9_S9_S9_S9_S9_S8_S8_.uses_flat_scratch, 0
	.set _ZN2at6native12_GLOBAL__N_16kernel18lstm_cell_backwardIddlLi1EEEvNS_4cuda6detail10TensorInfoIT_T1_EES9_S9_S9_S9_S9_S9_S8_S8_.has_dyn_sized_stack, 0
	.set _ZN2at6native12_GLOBAL__N_16kernel18lstm_cell_backwardIddlLi1EEEvNS_4cuda6detail10TensorInfoIT_T1_EES9_S9_S9_S9_S9_S9_S8_S8_.has_recursion, 0
	.set _ZN2at6native12_GLOBAL__N_16kernel18lstm_cell_backwardIddlLi1EEEvNS_4cuda6detail10TensorInfoIT_T1_EES9_S9_S9_S9_S9_S9_S8_S8_.has_indirect_call, 0
	.section	.AMDGPU.csdata,"",@progbits
; Kernel info:
; codeLenInByte = 4116
; TotalNumSgprs: 76
; NumVgprs: 60
; ScratchSize: 0
; MemoryBound: 0
; FloatMode: 240
; IeeeMode: 1
; LDSByteSize: 0 bytes/workgroup (compile time only)
; SGPRBlocks: 0
; VGPRBlocks: 7
; NumSGPRsForWavesPerEU: 76
; NumVGPRsForWavesPerEU: 60
; Occupancy: 16
; WaveLimiterHint : 1
; COMPUTE_PGM_RSRC2:SCRATCH_EN: 0
; COMPUTE_PGM_RSRC2:USER_SGPR: 2
; COMPUTE_PGM_RSRC2:TRAP_HANDLER: 0
; COMPUTE_PGM_RSRC2:TGID_X_EN: 1
; COMPUTE_PGM_RSRC2:TGID_Y_EN: 0
; COMPUTE_PGM_RSRC2:TGID_Z_EN: 0
; COMPUTE_PGM_RSRC2:TIDIG_COMP_CNT: 0
	.section	.text._ZN2at6native12_GLOBAL__N_16kernel18lstm_cell_backwardIddlLi2EEEvNS_4cuda6detail10TensorInfoIT_T1_EES9_S9_S9_S9_S9_S9_S8_S8_,"axG",@progbits,_ZN2at6native12_GLOBAL__N_16kernel18lstm_cell_backwardIddlLi2EEEvNS_4cuda6detail10TensorInfoIT_T1_EES9_S9_S9_S9_S9_S9_S8_S8_,comdat
	.globl	_ZN2at6native12_GLOBAL__N_16kernel18lstm_cell_backwardIddlLi2EEEvNS_4cuda6detail10TensorInfoIT_T1_EES9_S9_S9_S9_S9_S9_S8_S8_ ; -- Begin function _ZN2at6native12_GLOBAL__N_16kernel18lstm_cell_backwardIddlLi2EEEvNS_4cuda6detail10TensorInfoIT_T1_EES9_S9_S9_S9_S9_S9_S8_S8_
	.p2align	8
	.type	_ZN2at6native12_GLOBAL__N_16kernel18lstm_cell_backwardIddlLi2EEEvNS_4cuda6detail10TensorInfoIT_T1_EES9_S9_S9_S9_S9_S9_S8_S8_,@function
_ZN2at6native12_GLOBAL__N_16kernel18lstm_cell_backwardIddlLi2EEEvNS_4cuda6detail10TensorInfoIT_T1_EES9_S9_S9_S9_S9_S9_S8_S8_: ; @_ZN2at6native12_GLOBAL__N_16kernel18lstm_cell_backwardIddlLi2EEEvNS_4cuda6detail10TensorInfoIT_T1_EES9_S9_S9_S9_S9_S9_S8_S8_
; %bb.0:
	s_clause 0x1
	s_load_b32 s2, s[0:1], 0xb7c
	s_load_b128 s[4:7], s[0:1], 0xb60
	v_mov_b32_e32 v1, 0
	s_mov_b32 s3, exec_lo
	s_wait_kmcnt 0x0
	s_and_b32 s2, s2, 0xffff
	s_delay_alu instid0(VALU_DEP_1) | instid1(SALU_CYCLE_1)
	v_mad_co_u64_u32 v[3:4], null, ttmp9, s2, v[0:1]
	v_mov_b32_e32 v4, v1
	s_delay_alu instid0(VALU_DEP_1)
	v_cmpx_gt_i64_e64 s[6:7], v[3:4]
	s_cbranch_execz .LBB19_64
; %bb.1:
	s_add_nc_u64 s[12:13], s[0:1], 0xb70
	s_clause 0x3
	s_load_b128 s[8:11], s[0:1], 0x750
	s_load_b64 s[40:41], s[0:1], 0x820
	s_load_b64 s[42:43], s[0:1], 0x0
	;; [unrolled: 1-line block ×3, first 2 shown]
	s_load_b32 s3, s[12:13], 0x0
	s_clause 0xe
	s_load_b128 s[12:15], s[0:1], 0xd0
	s_load_b64 s[46:47], s[0:1], 0x1a0
	s_load_b64 s[48:49], s[0:1], 0x340
	;; [unrolled: 1-line block ×5, first 2 shown]
	s_load_b128 s[16:19], s[0:1], 0x270
	s_load_b128 s[20:23], s[0:1], 0x410
	s_load_b64 s[56:57], s[0:1], 0x4e0
	s_load_b128 s[24:27], s[0:1], 0x5b0
	s_load_b64 s[58:59], s[0:1], 0x690
	s_load_b64 s[60:61], s[0:1], 0x830
	s_load_b128 s[28:31], s[0:1], 0x8f0
	s_load_b64 s[34:35], s[0:1], 0x680
	s_load_b128 s[36:39], s[0:1], 0xa90
	v_cvt_f32_u32_e32 v0, s4
	s_clause 0x1
	s_load_b64 s[62:63], s[0:1], 0x9c0
	s_load_b64 s[64:65], s[0:1], 0x9d0
	s_mov_b32 s88, 0x14761f6e
	s_wait_kmcnt 0x0
	v_cvt_f32_u32_e32 v2, s44
	s_mov_b32 s90, 0x1852b7b0
	v_rcp_iflag_f32_e32 v0, v0
	s_mov_b32 s92, 0x11122322
	s_mov_b32 s94, 0x555502a1
	v_rcp_iflag_f32_e32 v2, v2
	s_mov_b32 s96, 0x55555511
	s_mov_b32 s98, 11
	s_mul_i32 vcc_hi, s3, s2
	s_mov_b32 s3, 0
	s_mul_u64 s[66:67], s[4:5], 3
	s_sub_nc_u64 s[68:69], 0, s[50:51]
	v_mul_f32_e32 v0, 0x4f7ffffe, v0
	s_sub_nc_u64 s[70:71], 0, s[52:53]
	s_mov_b32 s89, 0x3f2a01a0
	v_mul_f32_e32 v2, 0x4f7ffffe, v2
	s_cmp_lg_u64 s[34:35], 0
	v_cvt_u32_f32_e32 v0, v0
	s_cselect_b32 s33, -1, 0
	s_cmp_lg_u64 s[40:41], 0
	v_cvt_u32_f32_e32 v39, v2
	s_cselect_b32 s104, -1, 0
	s_mov_b32 s91, 0x3f56c16c
	s_mov_b32 s93, 0x3f811111
	s_mov_b32 s95, 0x3fa55555
	s_mov_b32 s97, 0x3fc55555
	s_mov_b32 s99, 0x3fe00000
	s_mov_b32 s78, 0
	s_sub_nc_u64 s[100:101], 0, s[64:65]
	s_sub_nc_u64 s[102:103], 0, s[58:59]
	;; [unrolled: 1-line block ×3, first 2 shown]
	s_branch .LBB19_4
.LBB19_2:                               ;   in Loop: Header=BB19_4 Depth=1
	s_wait_alu 0xfffe
	s_or_b32 exec_lo, exec_lo, s0
	s_delay_alu instid0(VALU_DEP_1)
	v_mad_co_u64_u32 v[40:41], null, s72, v37, v[3:4]
	v_mul_lo_u32 v2, s72, v38
	v_mul_lo_u32 v42, s73, v37
	;; [unrolled: 1-line block ×4, first 2 shown]
	v_mad_co_u64_u32 v[37:38], null, v37, s28, 0
	s_delay_alu instid0(VALU_DEP_4) | instskip(SKIP_2) | instid1(VALU_DEP_4)
	v_add3_u32 v2, v42, v41, v2
	v_mul_lo_u32 v42, v40, s31
	v_mad_co_u64_u32 v[40:41], null, v40, s30, 0
	v_add3_u32 v38, v38, v44, v43
	s_delay_alu instid0(VALU_DEP_4) | instskip(NEXT) | instid1(VALU_DEP_2)
	v_mul_lo_u32 v2, v2, s30
	v_lshlrev_b64_e32 v[37:38], 3, v[37:38]
	s_delay_alu instid0(VALU_DEP_2) | instskip(NEXT) | instid1(VALU_DEP_2)
	v_add3_u32 v41, v41, v42, v2
	v_add_co_u32 v2, vcc_lo, s40, v37
	s_wait_alu 0xfffd
	s_delay_alu instid0(VALU_DEP_3) | instskip(NEXT) | instid1(VALU_DEP_3)
	v_add_co_ci_u32_e64 v38, null, s41, v38, vcc_lo
	v_lshlrev_b64_e32 v[40:41], 3, v[40:41]
	s_delay_alu instid0(VALU_DEP_1) | instskip(SKIP_1) | instid1(VALU_DEP_2)
	v_add_co_u32 v37, vcc_lo, v2, v40
	s_wait_alu 0xfffd
	v_add_co_ci_u32_e64 v38, null, v38, v41, vcc_lo
	global_load_b64 v[37:38], v[37:38], off
.LBB19_3:                               ;   in Loop: Header=BB19_4 Depth=1
	s_mov_b32 s0, 0x652b82fe
	s_mov_b32 s1, 0x3ff71547
	;; [unrolled: 1-line block ×3, first 2 shown]
	s_wait_loadcnt 0x0
	s_wait_alu 0xfffe
	v_mul_f64_e64 v[40:41], |v[33:34]|, s[0:1]
	s_mov_b32 s0, 0xfefa3000
	s_mov_b32 s1, 0xbfe62e42
	;; [unrolled: 1-line block ×3, first 2 shown]
	v_cmp_nlt_f64_e64 vcc_lo, 0x40331000, |v[33:34]|
	s_delay_alu instid0(VALU_DEP_2) | instskip(SKIP_1) | instid1(VALU_DEP_1)
	v_rndne_f64_e32 v[40:41], v[40:41]
	s_wait_alu 0xfffe
	v_fma_f64 v[42:43], v[40:41], s[0:1], |v[33:34]|
	s_mov_b32 s0, 0xf278e000
	s_mov_b32 s1, 0xbd53de6a
	v_cvt_i32_f64_e32 v2, v[40:41]
	s_wait_alu 0xfffe
	v_mul_f64_e32 v[46:47], s[0:1], v[40:41]
	s_mov_b32 s0, 0xf97b57a0
	s_mov_b32 s1, 0xbac9cc01
	s_delay_alu instid0(VALU_DEP_3) | instskip(NEXT) | instid1(VALU_DEP_1)
	v_add_f64_e32 v[44:45], 0, v[42:43]
	v_add_f64_e32 v[48:49], v[44:45], v[46:47]
	v_add_f64_e64 v[42:43], v[42:43], -v[44:45]
	s_delay_alu instid0(VALU_DEP_2) | instskip(NEXT) | instid1(VALU_DEP_2)
	v_add_f64_e64 v[44:45], v[44:45], -v[48:49]
	v_add_f64_e32 v[42:43], 0, v[42:43]
	s_delay_alu instid0(VALU_DEP_2) | instskip(NEXT) | instid1(VALU_DEP_1)
	v_add_f64_e32 v[44:45], v[44:45], v[46:47]
	v_add_f64_e32 v[42:43], v[42:43], v[44:45]
	s_delay_alu instid0(VALU_DEP_1) | instskip(NEXT) | instid1(VALU_DEP_1)
	v_add_f64_e32 v[44:45], v[48:49], v[42:43]
	v_add_f64_e64 v[46:47], v[48:49], -v[44:45]
	s_delay_alu instid0(VALU_DEP_1) | instskip(SKIP_4) | instid1(VALU_DEP_1)
	v_add_f64_e32 v[42:43], v[42:43], v[46:47]
	s_wait_alu 0xfffe
	v_mul_f64_e32 v[46:47], s[0:1], v[40:41]
	s_mov_b32 s0, 0xfca7ab0c
	s_mov_b32 s1, 0x3e928af3
	v_add_f64_e32 v[48:49], v[44:45], v[46:47]
	s_delay_alu instid0(VALU_DEP_1) | instskip(NEXT) | instid1(VALU_DEP_1)
	v_add_f64_e64 v[44:45], v[44:45], -v[48:49]
	v_add_f64_e32 v[44:45], v[44:45], v[46:47]
	s_delay_alu instid0(VALU_DEP_1) | instskip(NEXT) | instid1(VALU_DEP_1)
	v_add_f64_e32 v[42:43], v[42:43], v[44:45]
	v_add_f64_e32 v[44:45], v[48:49], v[42:43]
	s_delay_alu instid0(VALU_DEP_1) | instskip(NEXT) | instid1(VALU_DEP_1)
	v_add_f64_e64 v[46:47], v[48:49], -v[44:45]
	v_add_f64_e32 v[42:43], v[42:43], v[46:47]
	v_mul_f64_e32 v[46:47], v[44:45], v[44:45]
	s_delay_alu instid0(VALU_DEP_2) | instskip(NEXT) | instid1(VALU_DEP_2)
	v_add_f64_e32 v[50:51], v[42:43], v[42:43]
	v_fma_f64 v[48:49], v[44:45], v[44:45], -v[46:47]
	s_delay_alu instid0(VALU_DEP_1) | instskip(NEXT) | instid1(VALU_DEP_1)
	v_fma_f64 v[48:49], v[44:45], v[50:51], v[48:49]
	v_add_f64_e32 v[50:51], v[46:47], v[48:49]
	s_delay_alu instid0(VALU_DEP_1) | instskip(NEXT) | instid1(VALU_DEP_1)
	v_add_f64_e64 v[46:47], v[50:51], -v[46:47]
	v_add_f64_e64 v[46:47], v[48:49], -v[46:47]
	s_wait_alu 0xfffe
	v_fma_f64 v[48:49], v[44:45], s[74:75], s[0:1]
	s_mov_b32 s0, 0x623fde64
	s_mov_b32 s1, 0x3ec71dee
	s_wait_alu 0xfffe
	s_delay_alu instid0(VALU_DEP_1) | instskip(SKIP_3) | instid1(VALU_DEP_1)
	v_fma_f64 v[48:49], v[44:45], v[48:49], s[0:1]
	s_mov_b32 s0, 0x7c89e6b0
	s_mov_b32 s1, 0x3efa0199
	s_wait_alu 0xfffe
	v_fma_f64 v[48:49], v[44:45], v[48:49], s[0:1]
	s_delay_alu instid0(VALU_DEP_1) | instskip(NEXT) | instid1(VALU_DEP_1)
	v_fma_f64 v[48:49], v[44:45], v[48:49], s[88:89]
	v_fma_f64 v[48:49], v[44:45], v[48:49], s[90:91]
	s_delay_alu instid0(VALU_DEP_1) | instskip(NEXT) | instid1(VALU_DEP_1)
	v_fma_f64 v[48:49], v[44:45], v[48:49], s[92:93]
	;; [unrolled: 3-line block ×3, first 2 shown]
	v_fma_f64 v[48:49], v[44:45], v[48:49], s[98:99]
	s_delay_alu instid0(VALU_DEP_1) | instskip(NEXT) | instid1(VALU_DEP_1)
	v_mul_f64_e32 v[52:53], v[50:51], v[48:49]
	v_fma_f64 v[50:51], v[50:51], v[48:49], -v[52:53]
	s_delay_alu instid0(VALU_DEP_1) | instskip(NEXT) | instid1(VALU_DEP_1)
	v_fma_f64 v[46:47], v[46:47], v[48:49], v[50:51]
	v_add_f64_e32 v[48:49], v[52:53], v[46:47]
	s_delay_alu instid0(VALU_DEP_1) | instskip(NEXT) | instid1(VALU_DEP_1)
	v_add_f64_e64 v[50:51], v[48:49], -v[52:53]
	v_add_f64_e64 v[46:47], v[46:47], -v[50:51]
	v_add_f64_e32 v[50:51], v[44:45], v[48:49]
	s_delay_alu instid0(VALU_DEP_2) | instskip(NEXT) | instid1(VALU_DEP_2)
	v_add_f64_e32 v[42:43], v[42:43], v[46:47]
	v_add_f64_e64 v[44:45], v[50:51], -v[44:45]
	s_delay_alu instid0(VALU_DEP_1) | instskip(NEXT) | instid1(VALU_DEP_1)
	v_add_f64_e64 v[44:45], v[48:49], -v[44:45]
	v_add_f64_e32 v[42:43], v[42:43], v[44:45]
	s_delay_alu instid0(VALU_DEP_1) | instskip(NEXT) | instid1(VALU_DEP_1)
	v_add_f64_e32 v[44:45], v[50:51], v[42:43]
	v_add_f64_e64 v[46:47], v[44:45], -v[50:51]
	s_delay_alu instid0(VALU_DEP_1) | instskip(SKIP_1) | instid1(VALU_DEP_1)
	v_add_f64_e64 v[42:43], v[42:43], -v[46:47]
	v_add_f64_e32 v[46:47], 1.0, v[44:45]
	v_add_f64_e32 v[48:49], -1.0, v[46:47]
	s_delay_alu instid0(VALU_DEP_1) | instskip(NEXT) | instid1(VALU_DEP_1)
	v_add_f64_e64 v[44:45], v[44:45], -v[48:49]
	v_add_f64_e32 v[42:43], v[42:43], v[44:45]
	s_delay_alu instid0(VALU_DEP_1) | instskip(NEXT) | instid1(VALU_DEP_1)
	v_add_f64_e32 v[40:41], v[46:47], v[42:43]
	v_add_f64_e64 v[44:45], v[40:41], -v[46:47]
	v_ldexp_f64 v[40:41], v[40:41], v2
	s_delay_alu instid0(VALU_DEP_2) | instskip(NEXT) | instid1(VALU_DEP_2)
	v_add_f64_e64 v[42:43], v[42:43], -v[44:45]
	v_rcp_f64_e32 v[46:47], v[40:41]
	s_delay_alu instid0(VALU_DEP_1) | instskip(NEXT) | instid1(TRANS32_DEP_1)
	v_ldexp_f64 v[42:43], v[42:43], v2
	v_fma_f64 v[48:49], -v[40:41], v[46:47], 1.0
	s_delay_alu instid0(VALU_DEP_1) | instskip(NEXT) | instid1(VALU_DEP_1)
	v_fma_f64 v[46:47], v[48:49], v[46:47], v[46:47]
	v_fma_f64 v[44:45], -v[40:41], v[46:47], 1.0
	s_delay_alu instid0(VALU_DEP_1) | instskip(NEXT) | instid1(VALU_DEP_1)
	v_fma_f64 v[44:45], v[44:45], v[46:47], v[46:47]
	v_mul_f64_e32 v[46:47], v[40:41], v[44:45]
	s_delay_alu instid0(VALU_DEP_1) | instskip(NEXT) | instid1(VALU_DEP_1)
	v_fma_f64 v[48:49], v[44:45], v[40:41], -v[46:47]
	v_fma_f64 v[48:49], v[44:45], v[42:43], v[48:49]
	s_delay_alu instid0(VALU_DEP_1) | instskip(NEXT) | instid1(VALU_DEP_1)
	v_add_f64_e32 v[50:51], v[46:47], v[48:49]
	v_add_f64_e64 v[46:47], v[50:51], -v[46:47]
	s_delay_alu instid0(VALU_DEP_1) | instskip(SKIP_1) | instid1(VALU_DEP_1)
	v_add_f64_e64 v[46:47], v[46:47], -v[48:49]
	v_add_f64_e64 v[48:49], -v[50:51], 1.0
	v_add_f64_e64 v[52:53], -v[48:49], 1.0
	s_delay_alu instid0(VALU_DEP_1) | instskip(NEXT) | instid1(VALU_DEP_1)
	v_add_f64_e64 v[50:51], v[52:53], -v[50:51]
	v_add_f64_e32 v[46:47], v[46:47], v[50:51]
	s_delay_alu instid0(VALU_DEP_1) | instskip(NEXT) | instid1(VALU_DEP_1)
	v_add_f64_e32 v[50:51], v[48:49], v[46:47]
	v_add_f64_e64 v[48:49], v[48:49], -v[50:51]
	s_delay_alu instid0(VALU_DEP_1) | instskip(SKIP_1) | instid1(VALU_DEP_1)
	v_add_f64_e32 v[46:47], v[46:47], v[48:49]
	v_mul_f64_e32 v[48:49], v[44:45], v[50:51]
	v_mul_f64_e32 v[52:53], v[40:41], v[48:49]
	s_delay_alu instid0(VALU_DEP_1) | instskip(NEXT) | instid1(VALU_DEP_1)
	v_fma_f64 v[54:55], v[48:49], v[40:41], -v[52:53]
	v_fma_f64 v[54:55], v[48:49], v[42:43], v[54:55]
	s_delay_alu instid0(VALU_DEP_1) | instskip(NEXT) | instid1(VALU_DEP_1)
	v_add_f64_e32 v[56:57], v[52:53], v[54:55]
	v_add_f64_e64 v[58:59], v[50:51], -v[56:57]
	v_add_f64_e64 v[52:53], v[56:57], -v[52:53]
	s_delay_alu instid0(VALU_DEP_2) | instskip(NEXT) | instid1(VALU_DEP_2)
	v_add_f64_e64 v[50:51], v[50:51], -v[58:59]
	v_add_f64_e64 v[52:53], v[52:53], -v[54:55]
	s_delay_alu instid0(VALU_DEP_2) | instskip(NEXT) | instid1(VALU_DEP_1)
	v_add_f64_e64 v[50:51], v[50:51], -v[56:57]
	v_add_f64_e32 v[46:47], v[46:47], v[50:51]
	v_add_f64_e32 v[50:51], v[44:45], v[48:49]
	s_delay_alu instid0(VALU_DEP_2) | instskip(NEXT) | instid1(VALU_DEP_2)
	v_add_f64_e32 v[46:47], v[52:53], v[46:47]
	v_add_f64_e64 v[52:53], v[50:51], -v[44:45]
	s_delay_alu instid0(VALU_DEP_2) | instskip(NEXT) | instid1(VALU_DEP_2)
	v_add_f64_e32 v[46:47], v[58:59], v[46:47]
	v_add_f64_e64 v[48:49], v[48:49], -v[52:53]
	s_delay_alu instid0(VALU_DEP_2) | instskip(NEXT) | instid1(VALU_DEP_1)
	v_mul_f64_e32 v[44:45], v[44:45], v[46:47]
	v_add_f64_e32 v[44:45], v[48:49], v[44:45]
	s_delay_alu instid0(VALU_DEP_1) | instskip(NEXT) | instid1(VALU_DEP_1)
	v_add_f64_e32 v[46:47], v[50:51], v[44:45]
	v_add_f64_e64 v[48:49], v[46:47], -v[50:51]
	v_add_f64_e32 v[50:51], v[40:41], v[46:47]
	s_delay_alu instid0(VALU_DEP_2) | instskip(SKIP_1) | instid1(VALU_DEP_1)
	v_add_f64_e64 v[44:45], v[44:45], -v[48:49]
	v_add_f64_e64 v[48:49], v[40:41], -v[46:47]
	;; [unrolled: 1-line block ×3, first 2 shown]
	s_delay_alu instid0(VALU_DEP_4) | instskip(NEXT) | instid1(VALU_DEP_2)
	v_add_f64_e64 v[40:41], v[50:51], -v[40:41]
	v_add_f64_e64 v[52:53], v[52:53], -v[46:47]
	s_delay_alu instid0(VALU_DEP_2) | instskip(NEXT) | instid1(VALU_DEP_2)
	v_add_f64_e64 v[40:41], v[46:47], -v[40:41]
	v_add_f64_e32 v[46:47], v[42:43], v[52:53]
	v_add_f64_e32 v[42:43], v[42:43], v[44:45]
	s_delay_alu instid0(VALU_DEP_1) | instskip(NEXT) | instid1(VALU_DEP_3)
	v_add_f64_e32 v[40:41], v[42:43], v[40:41]
	v_add_f64_e64 v[42:43], v[46:47], -v[44:45]
	s_delay_alu instid0(VALU_DEP_2) | instskip(NEXT) | instid1(VALU_DEP_1)
	v_add_f64_e32 v[44:45], v[50:51], v[40:41]
	v_rcp_f64_e32 v[46:47], v[44:45]
	v_add_f64_e64 v[50:51], v[44:45], -v[50:51]
	s_delay_alu instid0(VALU_DEP_1) | instskip(NEXT) | instid1(TRANS32_DEP_1)
	v_add_f64_e64 v[40:41], v[40:41], -v[50:51]
	v_fma_f64 v[52:53], -v[44:45], v[46:47], 1.0
	s_delay_alu instid0(VALU_DEP_1) | instskip(NEXT) | instid1(VALU_DEP_1)
	v_fma_f64 v[46:47], v[52:53], v[46:47], v[46:47]
	v_fma_f64 v[50:51], -v[44:45], v[46:47], 1.0
	s_delay_alu instid0(VALU_DEP_1) | instskip(SKIP_1) | instid1(VALU_DEP_1)
	v_fma_f64 v[46:47], v[50:51], v[46:47], v[46:47]
	v_add_f64_e32 v[50:51], v[48:49], v[42:43]
	v_mul_f64_e32 v[52:53], v[50:51], v[46:47]
	v_add_f64_e64 v[48:49], v[50:51], -v[48:49]
	s_delay_alu instid0(VALU_DEP_2) | instskip(NEXT) | instid1(VALU_DEP_2)
	v_mul_f64_e32 v[54:55], v[44:45], v[52:53]
	v_add_f64_e64 v[42:43], v[42:43], -v[48:49]
	s_delay_alu instid0(VALU_DEP_2) | instskip(NEXT) | instid1(VALU_DEP_1)
	v_fma_f64 v[44:45], v[52:53], v[44:45], -v[54:55]
	v_fma_f64 v[40:41], v[52:53], v[40:41], v[44:45]
	s_delay_alu instid0(VALU_DEP_1) | instskip(NEXT) | instid1(VALU_DEP_1)
	v_add_f64_e32 v[44:45], v[54:55], v[40:41]
	v_add_f64_e64 v[54:55], v[44:45], -v[54:55]
	s_delay_alu instid0(VALU_DEP_1) | instskip(SKIP_1) | instid1(VALU_DEP_1)
	v_add_f64_e64 v[40:41], v[40:41], -v[54:55]
	v_add_f64_e64 v[54:55], v[50:51], -v[44:45]
	;; [unrolled: 1-line block ×3, first 2 shown]
	s_delay_alu instid0(VALU_DEP_1) | instskip(NEXT) | instid1(VALU_DEP_1)
	v_add_f64_e64 v[44:45], v[50:51], -v[44:45]
	v_add_f64_e64 v[40:41], v[44:45], -v[40:41]
	s_delay_alu instid0(VALU_DEP_1) | instskip(NEXT) | instid1(VALU_DEP_1)
	v_add_f64_e32 v[40:41], v[42:43], v[40:41]
	v_add_f64_e32 v[40:41], v[54:55], v[40:41]
	s_delay_alu instid0(VALU_DEP_1) | instskip(NEXT) | instid1(VALU_DEP_1)
	v_mul_f64_e32 v[40:41], v[46:47], v[40:41]
	v_add_f64_e32 v[40:41], v[52:53], v[40:41]
	s_wait_alu 0xfffd
	s_delay_alu instid0(VALU_DEP_1) | instskip(NEXT) | instid1(VALU_DEP_2)
	v_cndmask_b32_e32 v2, 0x3ff00000, v41, vcc_lo
	v_dual_cndmask_b32 v40, 0, v40 :: v_dual_and_b32 v41, 0x7fffffff, v34
	v_cmp_gt_f64_e64 vcc_lo, 0x3e400000, |v[33:34]|
	s_wait_alu 0xfffd
	s_delay_alu instid0(VALU_DEP_2) | instskip(NEXT) | instid1(VALU_DEP_3)
	v_cndmask_b32_e32 v2, v2, v41, vcc_lo
	v_cndmask_b32_e32 v33, v40, v33, vcc_lo
	v_mul_f64_e32 v[40:41], v[19:20], v[35:36]
	s_delay_alu instid0(VALU_DEP_3) | instskip(SKIP_2) | instid1(VALU_DEP_3)
	v_bfi_b32 v34, 0x7fffffff, v2, v34
	v_mul_lo_u32 v2, v22, s54
	v_mul_lo_u32 v22, v22, s16
	v_fma_f64 v[42:43], -v[33:34], v[33:34], 1.0
	s_delay_alu instid0(VALU_DEP_1) | instskip(SKIP_2) | instid1(VALU_DEP_1)
	v_fma_f64 v[37:38], v[42:43], v[40:41], v[37:38]
	v_mul_lo_u32 v42, v21, s55
	v_mad_co_u64_u32 v[40:41], null, v21, s54, 0
	v_add3_u32 v2, v41, v42, v2
	s_delay_alu instid0(VALU_DEP_2) | instskip(SKIP_2) | instid1(VALU_DEP_3)
	v_sub_co_u32 v40, vcc_lo, v5, v40
	v_mul_lo_u32 v41, v21, s17
	s_wait_alu 0xfffd
	v_sub_co_ci_u32_e64 v2, null, v6, v2, vcc_lo
	v_mad_co_u64_u32 v[5:6], null, v21, s16, 0
	v_add_co_u32 v21, vcc_lo, v3, v40
	s_wait_alu 0xfffd
	s_delay_alu instid0(VALU_DEP_3) | instskip(NEXT) | instid1(VALU_DEP_2)
	v_add_co_ci_u32_e64 v2, null, v4, v2, vcc_lo
	v_mul_lo_u32 v40, v21, s19
	s_delay_alu instid0(VALU_DEP_4) | instskip(NEXT) | instid1(VALU_DEP_3)
	v_add3_u32 v6, v6, v41, v22
	v_mul_lo_u32 v2, v2, s18
	v_mad_co_u64_u32 v[21:22], null, v21, s18, 0
	s_delay_alu instid0(VALU_DEP_3) | instskip(NEXT) | instid1(VALU_DEP_2)
	v_lshlrev_b64_e32 v[5:6], 3, v[5:6]
	v_add3_u32 v22, v22, v40, v2
	s_delay_alu instid0(VALU_DEP_2) | instskip(SKIP_1) | instid1(VALU_DEP_3)
	v_add_co_u32 v2, vcc_lo, s46, v5
	s_wait_alu 0xfffd
	v_add_co_ci_u32_e64 v40, null, s47, v6, vcc_lo
	s_delay_alu instid0(VALU_DEP_3) | instskip(SKIP_1) | instid1(VALU_DEP_2)
	v_lshlrev_b64_e32 v[5:6], 3, v[21:22]
	v_add_f64_e64 v[21:22], -v[7:8], 1.0
	v_add_co_u32 v5, vcc_lo, v2, v5
	s_wait_alu 0xfffd
	s_delay_alu instid0(VALU_DEP_3) | instskip(SKIP_2) | instid1(VALU_DEP_2)
	v_add_co_ci_u32_e64 v6, null, v40, v6, vcc_lo
	v_mul_f64_e32 v[40:41], v[17:18], v[37:38]
	v_mul_lo_u32 v2, v24, s54
	v_mul_f64_e32 v[21:22], v[21:22], v[40:41]
	s_delay_alu instid0(VALU_DEP_1) | instskip(SKIP_4) | instid1(VALU_DEP_1)
	v_mul_f64_e32 v[21:22], v[7:8], v[21:22]
	v_mul_f64_e32 v[7:8], v[7:8], v[37:38]
	global_store_b64 v[5:6], v[21:22], off
	v_mul_lo_u32 v21, v23, s55
	v_mad_co_u64_u32 v[5:6], null, v23, s54, 0
	v_add3_u32 v2, v6, v21, v2
	s_delay_alu instid0(VALU_DEP_2)
	v_sub_co_u32 v9, vcc_lo, v9, v5
	v_mul_lo_u32 v21, v23, s17
	v_mad_co_u64_u32 v[5:6], null, v23, s16, 0
	s_wait_alu 0xfffd
	v_sub_co_ci_u32_e64 v2, null, v10, v2, vcc_lo
	v_mul_lo_u32 v10, v24, s16
	v_add_co_u32 v9, vcc_lo, v3, v9
	s_wait_alu 0xfffd
	s_delay_alu instid0(VALU_DEP_3) | instskip(NEXT) | instid1(VALU_DEP_3)
	v_add_co_ci_u32_e64 v2, null, v4, v2, vcc_lo
	v_add3_u32 v6, v6, v21, v10
	s_delay_alu instid0(VALU_DEP_2) | instskip(SKIP_2) | instid1(VALU_DEP_4)
	v_mul_lo_u32 v2, v2, s18
	v_mul_lo_u32 v21, v9, s19
	v_mad_co_u64_u32 v[9:10], null, v9, s18, 0
	v_lshlrev_b64_e32 v[5:6], 3, v[5:6]
	s_delay_alu instid0(VALU_DEP_2) | instskip(NEXT) | instid1(VALU_DEP_2)
	v_add3_u32 v10, v10, v21, v2
	v_add_co_u32 v2, vcc_lo, s46, v5
	s_wait_alu 0xfffd
	s_delay_alu instid0(VALU_DEP_3) | instskip(NEXT) | instid1(VALU_DEP_3)
	v_add_co_ci_u32_e64 v21, null, s47, v6, vcc_lo
	v_lshlrev_b64_e32 v[5:6], 3, v[9:10]
	v_mul_f64_e32 v[9:10], v[29:30], v[37:38]
	s_delay_alu instid0(VALU_DEP_2) | instskip(SKIP_1) | instid1(VALU_DEP_3)
	v_add_co_u32 v5, vcc_lo, v2, v5
	s_wait_alu 0xfffd
	v_add_co_ci_u32_e64 v6, null, v21, v6, vcc_lo
	v_add_f64_e64 v[21:22], -v[11:12], 1.0
	v_mul_lo_u32 v2, v26, s54
	s_delay_alu instid0(VALU_DEP_2) | instskip(NEXT) | instid1(VALU_DEP_1)
	v_mul_f64_e32 v[9:10], v[21:22], v[9:10]
	v_mul_f64_e32 v[9:10], v[11:12], v[9:10]
	;; [unrolled: 1-line block ×3, first 2 shown]
	global_store_b64 v[5:6], v[9:10], off
	v_mul_lo_u32 v9, v25, s55
	v_mad_co_u64_u32 v[5:6], null, v25, s54, 0
	v_mul_lo_u32 v10, v26, s16
	s_delay_alu instid0(VALU_DEP_2) | instskip(NEXT) | instid1(VALU_DEP_3)
	v_add3_u32 v2, v6, v9, v2
	v_sub_co_u32 v9, vcc_lo, v13, v5
	v_mul_lo_u32 v13, v25, s17
	v_mad_co_u64_u32 v[5:6], null, v25, s16, 0
	s_wait_alu 0xfffd
	v_sub_co_ci_u32_e64 v2, null, v14, v2, vcc_lo
	v_add_co_u32 v9, vcc_lo, v3, v9
	s_wait_alu 0xfffd
	s_delay_alu instid0(VALU_DEP_2) | instskip(NEXT) | instid1(VALU_DEP_4)
	v_add_co_ci_u32_e64 v2, null, v4, v2, vcc_lo
	v_add3_u32 v6, v6, v13, v10
	s_delay_alu instid0(VALU_DEP_3) | instskip(SKIP_1) | instid1(VALU_DEP_4)
	v_mul_lo_u32 v13, v9, s19
	v_mad_co_u64_u32 v[9:10], null, v9, s18, 0
	v_mul_lo_u32 v2, v2, s18
	s_delay_alu instid0(VALU_DEP_4) | instskip(NEXT) | instid1(VALU_DEP_2)
	v_lshlrev_b64_e32 v[5:6], 3, v[5:6]
	v_add3_u32 v10, v10, v13, v2
	s_delay_alu instid0(VALU_DEP_2) | instskip(SKIP_1) | instid1(VALU_DEP_3)
	v_add_co_u32 v2, vcc_lo, s46, v5
	s_wait_alu 0xfffd
	v_add_co_ci_u32_e64 v13, null, s47, v6, vcc_lo
	s_delay_alu instid0(VALU_DEP_3) | instskip(SKIP_1) | instid1(VALU_DEP_2)
	v_lshlrev_b64_e32 v[5:6], 3, v[9:10]
	v_fma_f64 v[9:10], -v[17:18], v[17:18], 1.0
	v_add_co_u32 v5, vcc_lo, v2, v5
	s_wait_alu 0xfffd
	s_delay_alu instid0(VALU_DEP_3)
	v_add_co_ci_u32_e64 v6, null, v13, v6, vcc_lo
	v_mul_lo_u32 v2, v28, s54
	v_mul_lo_u32 v13, v31, s37
	v_mul_f64_e32 v[7:8], v[9:10], v[7:8]
	v_mul_lo_u32 v9, v27, s17
	global_store_b64 v[5:6], v[7:8], off
	v_mul_lo_u32 v7, v27, s55
	v_mad_co_u64_u32 v[5:6], null, v27, s54, 0
	v_mul_lo_u32 v8, v28, s16
	s_delay_alu instid0(VALU_DEP_2) | instskip(NEXT) | instid1(VALU_DEP_3)
	v_add3_u32 v2, v6, v7, v2
	v_sub_co_u32 v7, vcc_lo, v15, v5
	v_mad_co_u64_u32 v[5:6], null, v27, s16, 0
	s_wait_alu 0xfffd
	s_delay_alu instid0(VALU_DEP_3) | instskip(NEXT) | instid1(VALU_DEP_3)
	v_sub_co_ci_u32_e64 v2, null, v16, v2, vcc_lo
	v_add_co_u32 v7, vcc_lo, v3, v7
	v_mul_lo_u32 v15, s101, v31
	s_wait_alu 0xfffd
	s_delay_alu instid0(VALU_DEP_3) | instskip(SKIP_3) | instid1(VALU_DEP_4)
	v_add_co_ci_u32_e64 v2, null, v4, v2, vcc_lo
	v_add3_u32 v6, v6, v9, v8
	v_mul_lo_u32 v9, v7, s19
	v_mad_co_u64_u32 v[7:8], null, v7, s18, 0
	v_mul_lo_u32 v2, v2, s18
	s_delay_alu instid0(VALU_DEP_4) | instskip(NEXT) | instid1(VALU_DEP_2)
	v_lshlrev_b64_e32 v[5:6], 3, v[5:6]
	v_add3_u32 v8, v8, v9, v2
	s_delay_alu instid0(VALU_DEP_2) | instskip(SKIP_1) | instid1(VALU_DEP_3)
	v_add_co_u32 v2, vcc_lo, s46, v5
	s_wait_alu 0xfffd
	v_add_co_ci_u32_e64 v9, null, s47, v6, vcc_lo
	s_delay_alu instid0(VALU_DEP_3) | instskip(SKIP_1) | instid1(VALU_DEP_2)
	v_lshlrev_b64_e32 v[5:6], 3, v[7:8]
	v_mul_f64_e32 v[7:8], v[33:34], v[35:36]
	v_add_co_u32 v5, vcc_lo, v2, v5
	s_wait_alu 0xfffd
	s_delay_alu instid0(VALU_DEP_3) | instskip(SKIP_2) | instid1(VALU_DEP_2)
	v_add_co_ci_u32_e64 v6, null, v9, v6, vcc_lo
	v_add_f64_e64 v[9:10], -v[19:20], 1.0
	v_mul_lo_u32 v2, v32, s36
	v_mul_f64_e32 v[7:8], v[9:10], v[7:8]
	v_mad_co_u64_u32 v[9:10], null, v31, s36, 0
	s_delay_alu instid0(VALU_DEP_1) | instskip(SKIP_3) | instid1(VALU_DEP_4)
	v_add3_u32 v10, v10, v13, v2
	v_mul_lo_u32 v2, s100, v32
	v_mad_co_u64_u32 v[13:14], null, s100, v31, v[3:4]
	v_add_co_u32 v3, vcc_lo, v3, vcc_hi
	v_lshlrev_b64_e32 v[9:10], 3, v[9:10]
	s_wait_alu 0xfffd
	v_add_co_ci_u32_e64 v4, null, 0, v4, vcc_lo
	s_delay_alu instid0(VALU_DEP_4) | instskip(SKIP_2) | instid1(VALU_DEP_3)
	v_add3_u32 v2, v15, v14, v2
	v_mul_lo_u32 v15, v13, s39
	v_mad_co_u64_u32 v[13:14], null, v13, s38, 0
	v_mul_lo_u32 v2, v2, s38
	s_delay_alu instid0(VALU_DEP_1) | instskip(SKIP_3) | instid1(VALU_DEP_3)
	v_add3_u32 v14, v14, v15, v2
	v_add_co_u32 v2, vcc_lo, s62, v9
	s_wait_alu 0xfffd
	v_add_co_ci_u32_e64 v10, null, s63, v10, vcc_lo
	v_lshlrev_b64_e32 v[13:14], 3, v[13:14]
	v_mul_f64_e32 v[7:8], v[19:20], v[7:8]
	v_cmp_le_i64_e32 vcc_lo, s[6:7], v[3:4]
	s_delay_alu instid0(VALU_DEP_3) | instskip(SKIP_1) | instid1(VALU_DEP_4)
	v_add_co_u32 v9, s0, v2, v13
	s_wait_alu 0xf1ff
	v_add_co_ci_u32_e64 v10, null, v10, v14, s0
	s_or_b32 s78, vcc_lo, s78
	global_store_b64 v[5:6], v[7:8], off
	global_store_b64 v[9:10], v[11:12], off
	s_and_not1_b32 exec_lo, exec_lo, s78
	s_cbranch_execz .LBB19_64
.LBB19_4:                               ; =>This Inner Loop Header: Depth=1
	v_or_b32_e32 v2, s5, v4
                                        ; implicit-def: $vgpr7_vgpr8
	s_mov_b32 s0, exec_lo
	s_delay_alu instid0(VALU_DEP_1)
	v_cmpx_ne_u64_e32 0, v[1:2]
	s_wait_alu 0xfffe
	s_xor_b32 s79, exec_lo, s0
	s_cbranch_execz .LBB19_6
; %bb.5:                                ;   in Loop: Header=BB19_4 Depth=1
	s_ashr_i32 s74, s5, 31
	v_ashrrev_i32_e32 v2, 31, v4
	s_wait_alu 0xfffe
	s_mov_b32 s75, s74
	s_wait_alu 0xfffe
	s_add_nc_u64 s[0:1], s[4:5], s[74:75]
	s_wait_alu 0xfffe
	s_xor_b64 s[76:77], s[0:1], s[74:75]
	s_wait_alu 0xfffe
	s_cvt_f32_u32 s0, s76
	s_cvt_f32_u32 s1, s77
	s_sub_nc_u64 s[80:81], 0, s[76:77]
	s_wait_alu 0xfffe
	s_delay_alu instid0(SALU_CYCLE_1) | instskip(SKIP_1) | instid1(SALU_CYCLE_2)
	s_fmamk_f32 s0, s1, 0x4f800000, s0
	s_wait_alu 0xfffe
	v_s_rcp_f32 s0, s0
	s_delay_alu instid0(TRANS32_DEP_1) | instskip(SKIP_1) | instid1(SALU_CYCLE_2)
	s_mul_f32 s0, s0, 0x5f7ffffc
	s_wait_alu 0xfffe
	s_mul_f32 s1, s0, 0x2f800000
	s_wait_alu 0xfffe
	s_delay_alu instid0(SALU_CYCLE_2) | instskip(SKIP_1) | instid1(SALU_CYCLE_2)
	s_trunc_f32 s1, s1
	s_wait_alu 0xfffe
	s_fmamk_f32 s0, s1, 0xcf800000, s0
	s_cvt_u32_f32 s1, s1
	s_wait_alu 0xfffe
	s_delay_alu instid0(SALU_CYCLE_1) | instskip(SKIP_1) | instid1(SALU_CYCLE_2)
	s_cvt_u32_f32 s0, s0
	s_wait_alu 0xfffe
	s_mul_u64 s[82:83], s[80:81], s[0:1]
	s_delay_alu instid0(SALU_CYCLE_1)
	s_mul_hi_u32 s85, s0, s83
	s_mul_i32 s84, s0, s83
	s_mul_hi_u32 s2, s0, s82
	s_mul_i32 vcc_lo, s1, s82
	s_wait_alu 0xfffe
	s_add_nc_u64 s[84:85], s[2:3], s[84:85]
	s_mul_hi_u32 s75, s1, s82
	s_mul_hi_u32 s86, s1, s83
	s_add_co_u32 s2, s84, vcc_lo
	s_wait_alu 0xfffe
	s_add_co_ci_u32 s2, s85, s75
	s_mul_i32 s82, s1, s83
	s_add_co_ci_u32 s83, s86, 0
	v_add_co_u32 v5, vcc_lo, v3, v2
	s_wait_alu 0xfffe
	s_add_nc_u64 s[82:83], s[2:3], s[82:83]
	s_wait_alu 0xfffd
	v_add_co_ci_u32_e64 v6, null, v4, v2, vcc_lo
	s_add_co_u32 s0, s0, s82
	s_cselect_b32 s2, -1, 0
	v_xor_b32_e32 v11, v5, v2
	s_wait_alu 0xfffe
	s_cmp_lg_u32 s2, 0
	v_xor_b32_e32 v12, v6, v2
	s_add_co_ci_u32 s1, s1, s83
	v_xor_b32_e32 v2, s74, v2
	s_wait_alu 0xfffe
	s_mul_u64 s[80:81], s[80:81], s[0:1]
	s_delay_alu instid0(SALU_CYCLE_1)
	s_mul_hi_u32 s83, s0, s81
	s_mul_i32 s82, s0, s81
	s_mul_hi_u32 s2, s0, s80
	s_mul_i32 s84, s1, s80
	s_wait_alu 0xfffe
	s_add_nc_u64 s[82:83], s[2:3], s[82:83]
	s_mul_hi_u32 s75, s1, s80
	s_mul_hi_u32 s85, s1, s81
	s_add_co_u32 s2, s82, s84
	s_wait_alu 0xfffe
	s_add_co_ci_u32 s2, s83, s75
	s_mul_i32 s80, s1, s81
	s_add_co_ci_u32 s81, s85, 0
	s_wait_alu 0xfffe
	s_add_nc_u64 s[80:81], s[2:3], s[80:81]
	s_delay_alu instid0(SALU_CYCLE_1)
	s_add_co_u32 s0, s0, s80
	s_cselect_b32 s2, -1, 0
	s_wait_alu 0xfffe
	v_mul_hi_u32 v13, v11, s0
	s_cmp_lg_u32 s2, 0
	v_mad_co_u64_u32 v[7:8], null, v12, s0, 0
	s_add_co_ci_u32 s1, s1, s81
	s_wait_alu 0xfffe
	v_mad_co_u64_u32 v[5:6], null, v11, s1, 0
	v_mad_co_u64_u32 v[9:10], null, v12, s1, 0
	s_delay_alu instid0(VALU_DEP_2) | instskip(SKIP_1) | instid1(VALU_DEP_3)
	v_add_co_u32 v5, vcc_lo, v13, v5
	s_wait_alu 0xfffd
	v_add_co_ci_u32_e64 v6, null, 0, v6, vcc_lo
	s_delay_alu instid0(VALU_DEP_2) | instskip(SKIP_1) | instid1(VALU_DEP_2)
	v_add_co_u32 v5, vcc_lo, v5, v7
	s_wait_alu 0xfffd
	v_add_co_ci_u32_e32 v5, vcc_lo, v6, v8, vcc_lo
	s_wait_alu 0xfffd
	v_add_co_ci_u32_e32 v6, vcc_lo, 0, v10, vcc_lo
	s_delay_alu instid0(VALU_DEP_2) | instskip(SKIP_1) | instid1(VALU_DEP_2)
	v_add_co_u32 v7, vcc_lo, v5, v9
	s_wait_alu 0xfffd
	v_add_co_ci_u32_e64 v8, null, 0, v6, vcc_lo
	s_delay_alu instid0(VALU_DEP_2) | instskip(SKIP_1) | instid1(VALU_DEP_3)
	v_mul_lo_u32 v9, s77, v7
	v_mad_co_u64_u32 v[5:6], null, s76, v7, 0
	v_mul_lo_u32 v10, s76, v8
	s_delay_alu instid0(VALU_DEP_2) | instskip(NEXT) | instid1(VALU_DEP_2)
	v_sub_co_u32 v5, vcc_lo, v11, v5
	v_add3_u32 v6, v6, v10, v9
	s_delay_alu instid0(VALU_DEP_2) | instskip(NEXT) | instid1(VALU_DEP_2)
	v_sub_co_u32 v10, s0, v5, s76
	v_sub_nc_u32_e32 v9, v12, v6
	s_wait_alu 0xfffd
	v_sub_co_ci_u32_e64 v6, null, v12, v6, vcc_lo
	v_cmp_le_u32_e64 s1, s76, v5
	s_delay_alu instid0(VALU_DEP_3) | instskip(SKIP_1) | instid1(VALU_DEP_4)
	v_subrev_co_ci_u32_e64 v9, null, s77, v9, vcc_lo
	v_cmp_le_u32_e32 vcc_lo, s76, v10
	v_cmp_le_u32_e64 s2, s77, v6
	s_wait_alu 0xf1ff
	v_cndmask_b32_e64 v11, 0, -1, s1
	v_subrev_co_ci_u32_e64 v9, null, 0, v9, s0
	s_wait_alu 0xfffd
	v_cndmask_b32_e64 v5, 0, -1, vcc_lo
	v_cmp_eq_u32_e64 s1, s77, v6
	v_cndmask_b32_e64 v6, 0, -1, s2
	v_cmp_le_u32_e64 s0, s77, v9
	v_cmp_eq_u32_e32 vcc_lo, s77, v9
	s_wait_alu 0xf1ff
	s_delay_alu instid0(VALU_DEP_3) | instskip(NEXT) | instid1(VALU_DEP_3)
	v_cndmask_b32_e64 v6, v6, v11, s1
	v_cndmask_b32_e64 v9, 0, -1, s0
	v_add_co_u32 v10, s0, v7, 2
	s_wait_alu 0xfffd
	s_delay_alu instid0(VALU_DEP_2) | instskip(SKIP_3) | instid1(VALU_DEP_3)
	v_cndmask_b32_e32 v5, v9, v5, vcc_lo
	s_wait_alu 0xf1ff
	v_add_co_ci_u32_e64 v9, null, 0, v8, s0
	v_add_co_u32 v12, vcc_lo, v7, 1
	v_cmp_ne_u32_e64 s0, 0, v5
	s_wait_alu 0xfffd
	v_add_co_ci_u32_e64 v5, null, 0, v8, vcc_lo
	v_cmp_ne_u32_e32 vcc_lo, 0, v6
	s_wait_alu 0xf1ff
	v_cndmask_b32_e64 v6, v12, v10, s0
	s_delay_alu instid0(VALU_DEP_3) | instskip(SKIP_1) | instid1(VALU_DEP_1)
	v_cndmask_b32_e64 v5, v5, v9, s0
	s_wait_alu 0xfffd
	v_dual_cndmask_b32 v6, v7, v6 :: v_dual_cndmask_b32 v5, v8, v5
	s_delay_alu instid0(VALU_DEP_1) | instskip(NEXT) | instid1(VALU_DEP_2)
	v_xor_b32_e32 v6, v6, v2
	v_xor_b32_e32 v5, v5, v2
	s_delay_alu instid0(VALU_DEP_2) | instskip(SKIP_1) | instid1(VALU_DEP_2)
	v_sub_co_u32 v7, vcc_lo, v6, v2
	s_wait_alu 0xfffd
	v_sub_co_ci_u32_e64 v8, null, v5, v2, vcc_lo
.LBB19_6:                               ;   in Loop: Header=BB19_4 Depth=1
	s_and_not1_saveexec_b32 s0, s79
	s_cbranch_execz .LBB19_8
; %bb.7:                                ;   in Loop: Header=BB19_4 Depth=1
	s_sub_co_i32 s1, 0, s4
	v_mov_b32_e32 v8, v1
	s_wait_alu 0xfffe
	v_mul_lo_u32 v2, s1, v0
	s_delay_alu instid0(VALU_DEP_1) | instskip(NEXT) | instid1(VALU_DEP_1)
	v_mul_hi_u32 v2, v0, v2
	v_add_nc_u32_e32 v2, v0, v2
	s_delay_alu instid0(VALU_DEP_1) | instskip(NEXT) | instid1(VALU_DEP_1)
	v_mul_hi_u32 v2, v3, v2
	v_mul_lo_u32 v5, v2, s4
	v_add_nc_u32_e32 v6, 1, v2
	s_delay_alu instid0(VALU_DEP_2) | instskip(NEXT) | instid1(VALU_DEP_1)
	v_sub_nc_u32_e32 v5, v3, v5
	v_cmp_le_u32_e32 vcc_lo, s4, v5
	v_subrev_nc_u32_e32 v7, s4, v5
	s_wait_alu 0xfffd
	s_delay_alu instid0(VALU_DEP_1) | instskip(NEXT) | instid1(VALU_DEP_1)
	v_dual_cndmask_b32 v2, v2, v6 :: v_dual_cndmask_b32 v5, v5, v7
	v_add_nc_u32_e32 v6, 1, v2
	s_delay_alu instid0(VALU_DEP_2) | instskip(SKIP_1) | instid1(VALU_DEP_2)
	v_cmp_le_u32_e32 vcc_lo, s4, v5
	s_wait_alu 0xfffd
	v_cndmask_b32_e32 v7, v2, v6, vcc_lo
.LBB19_8:                               ;   in Loop: Header=BB19_4 Depth=1
	s_wait_alu 0xfffe
	s_or_b32 exec_lo, exec_lo, s0
	s_delay_alu instid0(VALU_DEP_1)
	v_mul_lo_u32 v2, s67, v7
	v_mul_lo_u32 v9, s66, v8
	v_mad_co_u64_u32 v[5:6], null, s66, v7, 0
	s_mov_b32 s0, exec_lo
	v_add3_u32 v6, v6, v9, v2
	v_add_co_u32 v24, vcc_lo, v3, v5
                                        ; implicit-def: $vgpr9_vgpr10
	s_wait_alu 0xfffd
	s_delay_alu instid0(VALU_DEP_2) | instskip(NEXT) | instid1(VALU_DEP_1)
	v_add_co_ci_u32_e64 v26, null, v4, v6, vcc_lo
	v_or_b32_e32 v2, s45, v26
	v_ashrrev_i32_e32 v23, 31, v26
	s_delay_alu instid0(VALU_DEP_2)
	v_cmpx_ne_u64_e32 0, v[1:2]
	s_wait_alu 0xfffe
	s_xor_b32 s79, exec_lo, s0
	s_cbranch_execz .LBB19_10
; %bb.9:                                ;   in Loop: Header=BB19_4 Depth=1
	s_ashr_i32 s74, s45, 31
	v_add_co_u32 v2, vcc_lo, v24, v23
	s_wait_alu 0xfffe
	s_mov_b32 s75, s74
	s_wait_alu 0xfffd
	v_add_co_ci_u32_e64 v9, null, v26, v23, vcc_lo
	s_wait_alu 0xfffe
	s_add_nc_u64 s[0:1], s[44:45], s[74:75]
	v_xor_b32_e32 v2, v2, v23
	s_wait_alu 0xfffe
	s_xor_b64 s[76:77], s[0:1], s[74:75]
	v_xor_b32_e32 v15, v9, v23
	s_wait_alu 0xfffe
	s_cvt_f32_u32 s0, s76
	s_cvt_f32_u32 s1, s77
	s_sub_nc_u64 s[80:81], 0, s[76:77]
	s_wait_alu 0xfffe
	s_delay_alu instid0(SALU_CYCLE_1) | instskip(SKIP_1) | instid1(SALU_CYCLE_2)
	s_fmamk_f32 s0, s1, 0x4f800000, s0
	s_wait_alu 0xfffe
	v_s_rcp_f32 s0, s0
	s_delay_alu instid0(TRANS32_DEP_1) | instskip(SKIP_1) | instid1(SALU_CYCLE_2)
	s_mul_f32 s0, s0, 0x5f7ffffc
	s_wait_alu 0xfffe
	s_mul_f32 s1, s0, 0x2f800000
	s_wait_alu 0xfffe
	s_delay_alu instid0(SALU_CYCLE_2) | instskip(SKIP_1) | instid1(SALU_CYCLE_2)
	s_trunc_f32 s1, s1
	s_wait_alu 0xfffe
	s_fmamk_f32 s0, s1, 0xcf800000, s0
	s_cvt_u32_f32 s1, s1
	s_wait_alu 0xfffe
	s_delay_alu instid0(SALU_CYCLE_1) | instskip(SKIP_1) | instid1(SALU_CYCLE_2)
	s_cvt_u32_f32 s0, s0
	s_wait_alu 0xfffe
	s_mul_u64 s[82:83], s[80:81], s[0:1]
	s_delay_alu instid0(SALU_CYCLE_1)
	s_mul_hi_u32 s85, s0, s83
	s_mul_i32 s84, s0, s83
	s_mul_hi_u32 s2, s0, s82
	s_mul_i32 s86, s1, s82
	s_wait_alu 0xfffe
	s_add_nc_u64 s[84:85], s[2:3], s[84:85]
	s_mul_hi_u32 s75, s1, s82
	s_mul_hi_u32 s87, s1, s83
	s_add_co_u32 s2, s84, s86
	s_wait_alu 0xfffe
	s_add_co_ci_u32 s2, s85, s75
	s_mul_i32 s82, s1, s83
	s_add_co_ci_u32 s83, s87, 0
	s_wait_alu 0xfffe
	s_add_nc_u64 s[82:83], s[2:3], s[82:83]
	s_delay_alu instid0(SALU_CYCLE_1)
	s_add_co_u32 s0, s0, s82
	s_cselect_b32 s2, -1, 0
	s_wait_alu 0xfffe
	s_cmp_lg_u32 s2, 0
	s_add_co_ci_u32 s1, s1, s83
	s_wait_alu 0xfffe
	s_mul_u64 s[80:81], s[80:81], s[0:1]
	s_delay_alu instid0(SALU_CYCLE_1)
	s_mul_hi_u32 s83, s0, s81
	s_mul_i32 s82, s0, s81
	s_mul_hi_u32 s2, s0, s80
	s_mul_i32 s84, s1, s80
	s_wait_alu 0xfffe
	s_add_nc_u64 s[82:83], s[2:3], s[82:83]
	s_mul_hi_u32 s75, s1, s80
	s_mul_hi_u32 s85, s1, s81
	s_add_co_u32 s2, s82, s84
	s_wait_alu 0xfffe
	s_add_co_ci_u32 s2, s83, s75
	s_mul_i32 s80, s1, s81
	s_add_co_ci_u32 s81, s85, 0
	s_wait_alu 0xfffe
	s_add_nc_u64 s[80:81], s[2:3], s[80:81]
	s_delay_alu instid0(SALU_CYCLE_1)
	s_add_co_u32 s0, s0, s80
	s_cselect_b32 s2, -1, 0
	s_wait_alu 0xfffe
	v_mul_hi_u32 v16, v2, s0
	s_cmp_lg_u32 s2, 0
	v_mad_co_u64_u32 v[11:12], null, v15, s0, 0
	s_add_co_ci_u32 s1, s1, s81
	s_wait_alu 0xfffe
	v_mad_co_u64_u32 v[9:10], null, v2, s1, 0
	v_mad_co_u64_u32 v[13:14], null, v15, s1, 0
	s_delay_alu instid0(VALU_DEP_2) | instskip(SKIP_1) | instid1(VALU_DEP_3)
	v_add_co_u32 v9, vcc_lo, v16, v9
	s_wait_alu 0xfffd
	v_add_co_ci_u32_e64 v10, null, 0, v10, vcc_lo
	s_delay_alu instid0(VALU_DEP_2) | instskip(SKIP_1) | instid1(VALU_DEP_2)
	v_add_co_u32 v9, vcc_lo, v9, v11
	s_wait_alu 0xfffd
	v_add_co_ci_u32_e32 v9, vcc_lo, v10, v12, vcc_lo
	s_wait_alu 0xfffd
	v_add_co_ci_u32_e32 v10, vcc_lo, 0, v14, vcc_lo
	s_delay_alu instid0(VALU_DEP_2) | instskip(SKIP_1) | instid1(VALU_DEP_2)
	v_add_co_u32 v11, vcc_lo, v9, v13
	s_wait_alu 0xfffd
	v_add_co_ci_u32_e64 v12, null, 0, v10, vcc_lo
	s_delay_alu instid0(VALU_DEP_2) | instskip(SKIP_1) | instid1(VALU_DEP_3)
	v_mul_lo_u32 v13, s77, v11
	v_mad_co_u64_u32 v[9:10], null, s76, v11, 0
	v_mul_lo_u32 v14, s76, v12
	s_delay_alu instid0(VALU_DEP_2) | instskip(NEXT) | instid1(VALU_DEP_2)
	v_sub_co_u32 v2, vcc_lo, v2, v9
	v_add3_u32 v10, v10, v14, v13
	s_delay_alu instid0(VALU_DEP_2) | instskip(NEXT) | instid1(VALU_DEP_2)
	v_cmp_le_u32_e64 s1, s76, v2
	v_sub_nc_u32_e32 v13, v15, v10
	s_wait_alu 0xfffd
	v_sub_co_ci_u32_e64 v10, null, v15, v10, vcc_lo
	s_wait_alu 0xf1ff
	v_cndmask_b32_e64 v14, 0, -1, s1
	v_subrev_co_ci_u32_e64 v9, null, s77, v13, vcc_lo
	v_sub_co_u32 v13, s0, v2, s76
	v_cmp_le_u32_e64 s2, s77, v10
	s_wait_alu 0xf1ff
	s_delay_alu instid0(VALU_DEP_3) | instskip(NEXT) | instid1(VALU_DEP_3)
	v_subrev_co_ci_u32_e64 v9, null, 0, v9, s0
	v_cmp_le_u32_e32 vcc_lo, s76, v13
	v_cmp_eq_u32_e64 s1, s77, v10
	v_cndmask_b32_e64 v10, 0, -1, s2
	s_delay_alu instid0(VALU_DEP_4)
	v_cmp_le_u32_e64 s0, s77, v9
	s_wait_alu 0xfffd
	v_cndmask_b32_e64 v2, 0, -1, vcc_lo
	v_cmp_eq_u32_e32 vcc_lo, s77, v9
	s_wait_alu 0xf1ff
	v_cndmask_b32_e64 v10, v10, v14, s1
	v_cndmask_b32_e64 v9, 0, -1, s0
	v_add_co_u32 v13, s0, v11, 2
	s_wait_alu 0xfffd
	s_delay_alu instid0(VALU_DEP_2) | instskip(SKIP_3) | instid1(VALU_DEP_3)
	v_cndmask_b32_e32 v2, v9, v2, vcc_lo
	s_wait_alu 0xf1ff
	v_add_co_ci_u32_e64 v9, null, 0, v12, s0
	v_add_co_u32 v15, vcc_lo, v11, 1
	v_cmp_ne_u32_e64 s0, 0, v2
	s_wait_alu 0xfffd
	v_add_co_ci_u32_e64 v2, null, 0, v12, vcc_lo
	v_cmp_ne_u32_e32 vcc_lo, 0, v10
	s_wait_alu 0xf1ff
	v_cndmask_b32_e64 v10, v15, v13, s0
	s_delay_alu instid0(VALU_DEP_3) | instskip(SKIP_2) | instid1(VALU_DEP_3)
	v_cndmask_b32_e64 v2, v2, v9, s0
	v_xor_b32_e32 v13, s74, v23
	s_wait_alu 0xfffd
	v_cndmask_b32_e32 v9, v11, v10, vcc_lo
	s_delay_alu instid0(VALU_DEP_3) | instskip(NEXT) | instid1(VALU_DEP_2)
	v_cndmask_b32_e32 v2, v12, v2, vcc_lo
	v_xor_b32_e32 v9, v9, v13
	s_delay_alu instid0(VALU_DEP_2) | instskip(NEXT) | instid1(VALU_DEP_2)
	v_xor_b32_e32 v2, v2, v13
	v_sub_co_u32 v9, vcc_lo, v9, v13
	s_wait_alu 0xfffd
	s_delay_alu instid0(VALU_DEP_2)
	v_sub_co_ci_u32_e64 v10, null, v2, v13, vcc_lo
.LBB19_10:                              ;   in Loop: Header=BB19_4 Depth=1
	s_and_not1_saveexec_b32 s0, s79
	s_cbranch_execz .LBB19_12
; %bb.11:                               ;   in Loop: Header=BB19_4 Depth=1
	s_sub_co_i32 s1, 0, s44
	s_wait_alu 0xfffe
	v_mul_lo_u32 v2, s1, v39
	s_delay_alu instid0(VALU_DEP_1) | instskip(NEXT) | instid1(VALU_DEP_1)
	v_mul_hi_u32 v2, v39, v2
	v_add_nc_u32_e32 v2, v39, v2
	s_delay_alu instid0(VALU_DEP_1) | instskip(NEXT) | instid1(VALU_DEP_1)
	v_mul_hi_u32 v2, v24, v2
	v_mul_lo_u32 v9, v2, s44
	v_add_nc_u32_e32 v10, 1, v2
	s_delay_alu instid0(VALU_DEP_2) | instskip(NEXT) | instid1(VALU_DEP_1)
	v_sub_nc_u32_e32 v9, v24, v9
	v_cmp_le_u32_e32 vcc_lo, s44, v9
	v_subrev_nc_u32_e32 v11, s44, v9
	s_wait_alu 0xfffd
	s_delay_alu instid0(VALU_DEP_1) | instskip(NEXT) | instid1(VALU_DEP_1)
	v_dual_cndmask_b32 v2, v2, v10 :: v_dual_cndmask_b32 v9, v9, v11
	v_add_nc_u32_e32 v10, 1, v2
	s_delay_alu instid0(VALU_DEP_2) | instskip(SKIP_1) | instid1(VALU_DEP_2)
	v_cmp_le_u32_e32 vcc_lo, s44, v9
	s_wait_alu 0xfffd
	v_dual_cndmask_b32 v9, v2, v10 :: v_dual_mov_b32 v10, v1
.LBB19_12:                              ;   in Loop: Header=BB19_4 Depth=1
	s_wait_alu 0xfffe
	s_or_b32 exec_lo, exec_lo, s0
	s_delay_alu instid0(VALU_DEP_1) | instskip(NEXT) | instid1(VALU_DEP_2)
	v_mul_lo_u32 v2, v10, s12
	v_mul_lo_u32 v13, v9, s13
	v_mad_co_u64_u32 v[11:12], null, v9, s12, 0
	v_mad_co_u64_u32 v[15:16], null, v7, 3, 0
	s_mov_b32 s0, exec_lo
	v_add3_u32 v12, v12, v13, v2
	v_mul_lo_u32 v2, v10, s44
	v_mul_lo_u32 v13, v9, s45
	v_mad_co_u64_u32 v[9:10], null, v9, s44, 0
	s_delay_alu instid0(VALU_DEP_4) | instskip(NEXT) | instid1(VALU_DEP_2)
	v_lshlrev_b64_e32 v[11:12], 3, v[11:12]
	v_add3_u32 v2, v10, v13, v2
	s_delay_alu instid0(VALU_DEP_3) | instskip(SKIP_1) | instid1(VALU_DEP_2)
	v_sub_co_u32 v9, vcc_lo, v5, v9
	s_wait_alu 0xfffd
	v_sub_co_ci_u32_e64 v2, null, v6, v2, vcc_lo
	s_delay_alu instid0(VALU_DEP_2) | instskip(SKIP_1) | instid1(VALU_DEP_2)
	v_add_co_u32 v9, vcc_lo, v3, v9
	s_wait_alu 0xfffd
	v_add_co_ci_u32_e64 v2, null, v4, v2, vcc_lo
	s_delay_alu instid0(VALU_DEP_2) | instskip(SKIP_1) | instid1(VALU_DEP_3)
	v_mul_lo_u32 v13, v9, s15
	v_mad_co_u64_u32 v[9:10], null, v9, s14, 0
	v_mul_lo_u32 v2, v2, s14
	s_delay_alu instid0(VALU_DEP_1) | instskip(SKIP_3) | instid1(VALU_DEP_3)
	v_add3_u32 v10, v10, v13, v2
	v_add_co_u32 v2, vcc_lo, s42, v11
	s_wait_alu 0xfffd
	v_add_co_ci_u32_e64 v12, null, s43, v12, vcc_lo
	v_lshlrev_b64_e32 v[9:10], 3, v[9:10]
	s_delay_alu instid0(VALU_DEP_1) | instskip(SKIP_2) | instid1(VALU_DEP_3)
	v_add_co_u32 v11, vcc_lo, v2, v9
	v_mov_b32_e32 v2, v16
	s_wait_alu 0xfffd
	v_add_co_ci_u32_e64 v12, null, v12, v10, vcc_lo
	v_mad_co_u64_u32 v[9:10], null, s4, v15, s[4:5]
	s_delay_alu instid0(VALU_DEP_3) | instskip(SKIP_1) | instid1(VALU_DEP_3)
	v_mad_co_u64_u32 v[16:17], null, v8, 3, v[2:3]
	v_mul_lo_u32 v2, s5, v15
	v_add_co_u32 v28, vcc_lo, v3, v9
	s_delay_alu instid0(VALU_DEP_3) | instskip(NEXT) | instid1(VALU_DEP_1)
	v_mul_lo_u32 v7, s4, v16
	v_add3_u32 v10, v2, v10, v7
	global_load_b64 v[7:8], v[11:12], off
                                        ; implicit-def: $vgpr11_vgpr12
	s_wait_alu 0xfffd
	v_add_co_ci_u32_e64 v29, null, v4, v10, vcc_lo
	s_delay_alu instid0(VALU_DEP_1) | instskip(SKIP_1) | instid1(VALU_DEP_2)
	v_or_b32_e32 v2, s45, v29
	v_ashrrev_i32_e32 v25, 31, v29
	v_cmpx_ne_u64_e32 0, v[1:2]
	s_wait_alu 0xfffe
	s_xor_b32 s79, exec_lo, s0
	s_cbranch_execz .LBB19_14
; %bb.13:                               ;   in Loop: Header=BB19_4 Depth=1
	s_ashr_i32 s74, s45, 31
	v_add_co_u32 v2, vcc_lo, v28, v25
	s_wait_alu 0xfffe
	s_mov_b32 s75, s74
	s_wait_alu 0xfffd
	v_add_co_ci_u32_e64 v11, null, v29, v25, vcc_lo
	s_wait_alu 0xfffe
	s_add_nc_u64 s[0:1], s[44:45], s[74:75]
	v_xor_b32_e32 v2, v2, v25
	s_wait_alu 0xfffe
	s_xor_b64 s[76:77], s[0:1], s[74:75]
	v_xor_b32_e32 v19, v11, v25
	s_wait_alu 0xfffe
	s_cvt_f32_u32 s0, s76
	s_cvt_f32_u32 s1, s77
	s_sub_nc_u64 s[80:81], 0, s[76:77]
	s_wait_alu 0xfffe
	s_delay_alu instid0(SALU_CYCLE_1) | instskip(SKIP_1) | instid1(SALU_CYCLE_2)
	s_fmamk_f32 s0, s1, 0x4f800000, s0
	s_wait_alu 0xfffe
	v_s_rcp_f32 s0, s0
	s_delay_alu instid0(TRANS32_DEP_1) | instskip(SKIP_1) | instid1(SALU_CYCLE_2)
	s_mul_f32 s0, s0, 0x5f7ffffc
	s_wait_alu 0xfffe
	s_mul_f32 s1, s0, 0x2f800000
	s_wait_alu 0xfffe
	s_delay_alu instid0(SALU_CYCLE_2) | instskip(SKIP_1) | instid1(SALU_CYCLE_2)
	s_trunc_f32 s1, s1
	s_wait_alu 0xfffe
	s_fmamk_f32 s0, s1, 0xcf800000, s0
	s_cvt_u32_f32 s1, s1
	s_wait_alu 0xfffe
	s_delay_alu instid0(SALU_CYCLE_1) | instskip(SKIP_1) | instid1(SALU_CYCLE_2)
	s_cvt_u32_f32 s0, s0
	s_wait_alu 0xfffe
	s_mul_u64 s[82:83], s[80:81], s[0:1]
	s_delay_alu instid0(SALU_CYCLE_1)
	s_mul_hi_u32 s85, s0, s83
	s_mul_i32 s84, s0, s83
	s_mul_hi_u32 s2, s0, s82
	s_mul_i32 s86, s1, s82
	s_wait_alu 0xfffe
	s_add_nc_u64 s[84:85], s[2:3], s[84:85]
	s_mul_hi_u32 s75, s1, s82
	s_mul_hi_u32 s87, s1, s83
	s_add_co_u32 s2, s84, s86
	s_wait_alu 0xfffe
	s_add_co_ci_u32 s2, s85, s75
	s_mul_i32 s82, s1, s83
	s_add_co_ci_u32 s83, s87, 0
	s_wait_alu 0xfffe
	s_add_nc_u64 s[82:83], s[2:3], s[82:83]
	s_delay_alu instid0(SALU_CYCLE_1)
	s_add_co_u32 s0, s0, s82
	s_cselect_b32 s2, -1, 0
	s_wait_alu 0xfffe
	s_cmp_lg_u32 s2, 0
	s_add_co_ci_u32 s1, s1, s83
	s_wait_alu 0xfffe
	s_mul_u64 s[80:81], s[80:81], s[0:1]
	s_delay_alu instid0(SALU_CYCLE_1)
	s_mul_hi_u32 s83, s0, s81
	s_mul_i32 s82, s0, s81
	s_mul_hi_u32 s2, s0, s80
	s_mul_i32 s84, s1, s80
	s_wait_alu 0xfffe
	s_add_nc_u64 s[82:83], s[2:3], s[82:83]
	s_mul_hi_u32 s75, s1, s80
	s_mul_hi_u32 s85, s1, s81
	s_add_co_u32 s2, s82, s84
	s_wait_alu 0xfffe
	s_add_co_ci_u32 s2, s83, s75
	s_mul_i32 s80, s1, s81
	s_add_co_ci_u32 s81, s85, 0
	s_wait_alu 0xfffe
	s_add_nc_u64 s[80:81], s[2:3], s[80:81]
	s_delay_alu instid0(SALU_CYCLE_1)
	s_add_co_u32 s0, s0, s80
	s_cselect_b32 s2, -1, 0
	s_wait_alu 0xfffe
	v_mul_hi_u32 v20, v2, s0
	s_cmp_lg_u32 s2, 0
	v_mad_co_u64_u32 v[13:14], null, v19, s0, 0
	s_add_co_ci_u32 s1, s1, s81
	s_wait_alu 0xfffe
	v_mad_co_u64_u32 v[11:12], null, v2, s1, 0
	v_mad_co_u64_u32 v[17:18], null, v19, s1, 0
	s_delay_alu instid0(VALU_DEP_2) | instskip(SKIP_1) | instid1(VALU_DEP_3)
	v_add_co_u32 v11, vcc_lo, v20, v11
	s_wait_alu 0xfffd
	v_add_co_ci_u32_e64 v12, null, 0, v12, vcc_lo
	s_delay_alu instid0(VALU_DEP_2) | instskip(SKIP_1) | instid1(VALU_DEP_2)
	v_add_co_u32 v11, vcc_lo, v11, v13
	s_wait_alu 0xfffd
	v_add_co_ci_u32_e32 v11, vcc_lo, v12, v14, vcc_lo
	s_wait_alu 0xfffd
	v_add_co_ci_u32_e32 v12, vcc_lo, 0, v18, vcc_lo
	s_delay_alu instid0(VALU_DEP_2) | instskip(SKIP_1) | instid1(VALU_DEP_2)
	v_add_co_u32 v13, vcc_lo, v11, v17
	s_wait_alu 0xfffd
	v_add_co_ci_u32_e64 v14, null, 0, v12, vcc_lo
	s_delay_alu instid0(VALU_DEP_2) | instskip(SKIP_1) | instid1(VALU_DEP_3)
	v_mul_lo_u32 v17, s77, v13
	v_mad_co_u64_u32 v[11:12], null, s76, v13, 0
	v_mul_lo_u32 v18, s76, v14
	s_delay_alu instid0(VALU_DEP_2) | instskip(NEXT) | instid1(VALU_DEP_2)
	v_sub_co_u32 v2, vcc_lo, v2, v11
	v_add3_u32 v12, v12, v18, v17
	s_delay_alu instid0(VALU_DEP_2) | instskip(NEXT) | instid1(VALU_DEP_2)
	v_cmp_le_u32_e64 s1, s76, v2
	v_sub_nc_u32_e32 v17, v19, v12
	s_wait_alu 0xfffd
	v_sub_co_ci_u32_e64 v12, null, v19, v12, vcc_lo
	s_wait_alu 0xf1ff
	v_cndmask_b32_e64 v18, 0, -1, s1
	v_subrev_co_ci_u32_e64 v11, null, s77, v17, vcc_lo
	v_sub_co_u32 v17, s0, v2, s76
	v_cmp_le_u32_e64 s2, s77, v12
	s_wait_alu 0xf1ff
	s_delay_alu instid0(VALU_DEP_3) | instskip(NEXT) | instid1(VALU_DEP_3)
	v_subrev_co_ci_u32_e64 v11, null, 0, v11, s0
	v_cmp_le_u32_e32 vcc_lo, s76, v17
	v_cmp_eq_u32_e64 s1, s77, v12
	v_cndmask_b32_e64 v12, 0, -1, s2
	s_delay_alu instid0(VALU_DEP_4)
	v_cmp_le_u32_e64 s0, s77, v11
	s_wait_alu 0xfffd
	v_cndmask_b32_e64 v2, 0, -1, vcc_lo
	v_cmp_eq_u32_e32 vcc_lo, s77, v11
	s_wait_alu 0xf1ff
	v_cndmask_b32_e64 v12, v12, v18, s1
	v_cndmask_b32_e64 v11, 0, -1, s0
	v_add_co_u32 v17, s0, v13, 2
	s_wait_alu 0xfffd
	s_delay_alu instid0(VALU_DEP_2) | instskip(SKIP_3) | instid1(VALU_DEP_3)
	v_cndmask_b32_e32 v2, v11, v2, vcc_lo
	s_wait_alu 0xf1ff
	v_add_co_ci_u32_e64 v11, null, 0, v14, s0
	v_add_co_u32 v19, vcc_lo, v13, 1
	v_cmp_ne_u32_e64 s0, 0, v2
	s_wait_alu 0xfffd
	v_add_co_ci_u32_e64 v2, null, 0, v14, vcc_lo
	v_cmp_ne_u32_e32 vcc_lo, 0, v12
	s_wait_alu 0xf1ff
	v_cndmask_b32_e64 v12, v19, v17, s0
	s_delay_alu instid0(VALU_DEP_3) | instskip(SKIP_2) | instid1(VALU_DEP_2)
	v_cndmask_b32_e64 v2, v2, v11, s0
	v_xor_b32_e32 v17, s74, v25
	s_wait_alu 0xfffd
	v_dual_cndmask_b32 v11, v13, v12 :: v_dual_cndmask_b32 v2, v14, v2
	s_delay_alu instid0(VALU_DEP_1) | instskip(NEXT) | instid1(VALU_DEP_2)
	v_xor_b32_e32 v11, v11, v17
	v_xor_b32_e32 v2, v2, v17
	s_delay_alu instid0(VALU_DEP_2) | instskip(SKIP_1) | instid1(VALU_DEP_2)
	v_sub_co_u32 v11, vcc_lo, v11, v17
	s_wait_alu 0xfffd
	v_sub_co_ci_u32_e64 v12, null, v2, v17, vcc_lo
.LBB19_14:                              ;   in Loop: Header=BB19_4 Depth=1
	s_and_not1_saveexec_b32 s0, s79
	s_cbranch_execz .LBB19_16
; %bb.15:                               ;   in Loop: Header=BB19_4 Depth=1
	s_sub_co_i32 s1, 0, s44
	s_wait_alu 0xfffe
	v_mul_lo_u32 v2, s1, v39
	s_delay_alu instid0(VALU_DEP_1) | instskip(NEXT) | instid1(VALU_DEP_1)
	v_mul_hi_u32 v2, v39, v2
	v_add_nc_u32_e32 v2, v39, v2
	s_delay_alu instid0(VALU_DEP_1) | instskip(NEXT) | instid1(VALU_DEP_1)
	v_mul_hi_u32 v2, v28, v2
	v_mul_lo_u32 v11, v2, s44
	s_delay_alu instid0(VALU_DEP_1) | instskip(NEXT) | instid1(VALU_DEP_1)
	v_sub_nc_u32_e32 v11, v28, v11
	v_cmp_le_u32_e32 vcc_lo, s44, v11
	v_subrev_nc_u32_e32 v13, s44, v11
	s_wait_alu 0xfffd
	s_delay_alu instid0(VALU_DEP_1) | instskip(NEXT) | instid1(VALU_DEP_1)
	v_dual_cndmask_b32 v11, v11, v13 :: v_dual_add_nc_u32 v12, 1, v2
	v_cndmask_b32_e32 v2, v2, v12, vcc_lo
	s_delay_alu instid0(VALU_DEP_2) | instskip(NEXT) | instid1(VALU_DEP_2)
	v_cmp_le_u32_e32 vcc_lo, s44, v11
	v_add_nc_u32_e32 v12, 1, v2
	s_wait_alu 0xfffd
	s_delay_alu instid0(VALU_DEP_1)
	v_dual_cndmask_b32 v11, v2, v12 :: v_dual_mov_b32 v12, v1
.LBB19_16:                              ;   in Loop: Header=BB19_4 Depth=1
	s_wait_alu 0xfffe
	s_or_b32 exec_lo, exec_lo, s0
	s_delay_alu instid0(VALU_DEP_1) | instskip(NEXT) | instid1(VALU_DEP_2)
	v_mul_lo_u32 v2, v12, s12
	v_mul_lo_u32 v17, v11, s13
	v_mad_co_u64_u32 v[13:14], null, v11, s12, 0
	s_mov_b32 s0, exec_lo
	v_add3_u32 v14, v14, v17, v2
	v_mul_lo_u32 v2, v12, s44
	v_mul_lo_u32 v17, v11, s45
	v_mad_co_u64_u32 v[11:12], null, v11, s44, 0
	s_delay_alu instid0(VALU_DEP_4) | instskip(NEXT) | instid1(VALU_DEP_2)
	v_lshlrev_b64_e32 v[13:14], 3, v[13:14]
	v_add3_u32 v2, v12, v17, v2
	s_delay_alu instid0(VALU_DEP_3) | instskip(SKIP_1) | instid1(VALU_DEP_2)
	v_sub_co_u32 v11, vcc_lo, v9, v11
	s_wait_alu 0xfffd
	v_sub_co_ci_u32_e64 v2, null, v10, v2, vcc_lo
	s_delay_alu instid0(VALU_DEP_2) | instskip(SKIP_1) | instid1(VALU_DEP_2)
	v_add_co_u32 v11, vcc_lo, v3, v11
	s_wait_alu 0xfffd
	v_add_co_ci_u32_e64 v2, null, v4, v2, vcc_lo
	s_delay_alu instid0(VALU_DEP_2) | instskip(SKIP_1) | instid1(VALU_DEP_3)
	v_mul_lo_u32 v17, v11, s15
	v_mad_co_u64_u32 v[11:12], null, v11, s14, 0
	v_mul_lo_u32 v2, v2, s14
	s_delay_alu instid0(VALU_DEP_1) | instskip(SKIP_3) | instid1(VALU_DEP_3)
	v_add3_u32 v12, v12, v17, v2
	v_add_co_u32 v2, vcc_lo, s42, v13
	s_wait_alu 0xfffd
	v_add_co_ci_u32_e64 v13, null, s43, v14, vcc_lo
	v_lshlrev_b64_e32 v[11:12], 3, v[11:12]
	s_delay_alu instid0(VALU_DEP_1) | instskip(SKIP_1) | instid1(VALU_DEP_2)
	v_add_co_u32 v11, vcc_lo, v2, v11
	s_wait_alu 0xfffd
	v_add_co_ci_u32_e64 v12, null, v13, v12, vcc_lo
	v_add_co_u32 v2, vcc_lo, v15, 2
	s_wait_alu 0xfffd
	v_add_co_ci_u32_e64 v13, null, 0, v16, vcc_lo
	global_load_b64 v[11:12], v[11:12], off
	v_mul_lo_u32 v18, s5, v2
	v_mul_lo_u32 v17, s4, v13
	v_mad_co_u64_u32 v[13:14], null, s4, v2, 0
	s_delay_alu instid0(VALU_DEP_1) | instskip(NEXT) | instid1(VALU_DEP_2)
	v_add3_u32 v14, v14, v17, v18
	v_add_co_u32 v31, vcc_lo, v3, v13
                                        ; implicit-def: $vgpr17_vgpr18
	s_wait_alu 0xfffd
	s_delay_alu instid0(VALU_DEP_2) | instskip(NEXT) | instid1(VALU_DEP_1)
	v_add_co_ci_u32_e64 v32, null, v4, v14, vcc_lo
	v_or_b32_e32 v2, s45, v32
	v_ashrrev_i32_e32 v27, 31, v32
	s_delay_alu instid0(VALU_DEP_2)
	v_cmpx_ne_u64_e32 0, v[1:2]
	s_wait_alu 0xfffe
	s_xor_b32 s79, exec_lo, s0
	s_cbranch_execz .LBB19_18
; %bb.17:                               ;   in Loop: Header=BB19_4 Depth=1
	s_ashr_i32 s74, s45, 31
	v_add_co_u32 v2, vcc_lo, v31, v27
	s_wait_alu 0xfffe
	s_mov_b32 s75, s74
	s_wait_alu 0xfffd
	v_add_co_ci_u32_e64 v17, null, v32, v27, vcc_lo
	s_wait_alu 0xfffe
	s_add_nc_u64 s[0:1], s[44:45], s[74:75]
	v_xor_b32_e32 v2, v2, v27
	s_wait_alu 0xfffe
	s_xor_b64 s[76:77], s[0:1], s[74:75]
	v_xor_b32_e32 v30, v17, v27
	s_wait_alu 0xfffe
	s_cvt_f32_u32 s0, s76
	s_cvt_f32_u32 s1, s77
	s_sub_nc_u64 s[80:81], 0, s[76:77]
	s_wait_alu 0xfffe
	s_delay_alu instid0(SALU_CYCLE_1) | instskip(SKIP_1) | instid1(SALU_CYCLE_2)
	s_fmamk_f32 s0, s1, 0x4f800000, s0
	s_wait_alu 0xfffe
	v_s_rcp_f32 s0, s0
	s_delay_alu instid0(TRANS32_DEP_1) | instskip(SKIP_1) | instid1(SALU_CYCLE_2)
	s_mul_f32 s0, s0, 0x5f7ffffc
	s_wait_alu 0xfffe
	s_mul_f32 s1, s0, 0x2f800000
	s_wait_alu 0xfffe
	s_delay_alu instid0(SALU_CYCLE_2) | instskip(SKIP_1) | instid1(SALU_CYCLE_2)
	s_trunc_f32 s1, s1
	s_wait_alu 0xfffe
	s_fmamk_f32 s0, s1, 0xcf800000, s0
	s_cvt_u32_f32 s1, s1
	s_wait_alu 0xfffe
	s_delay_alu instid0(SALU_CYCLE_1) | instskip(SKIP_1) | instid1(SALU_CYCLE_2)
	s_cvt_u32_f32 s0, s0
	s_wait_alu 0xfffe
	s_mul_u64 s[82:83], s[80:81], s[0:1]
	s_delay_alu instid0(SALU_CYCLE_1)
	s_mul_hi_u32 s85, s0, s83
	s_mul_i32 s84, s0, s83
	s_mul_hi_u32 s2, s0, s82
	s_mul_i32 s86, s1, s82
	s_wait_alu 0xfffe
	s_add_nc_u64 s[84:85], s[2:3], s[84:85]
	s_mul_hi_u32 s75, s1, s82
	s_mul_hi_u32 s87, s1, s83
	s_add_co_u32 s2, s84, s86
	s_wait_alu 0xfffe
	s_add_co_ci_u32 s2, s85, s75
	s_mul_i32 s82, s1, s83
	s_add_co_ci_u32 s83, s87, 0
	s_wait_alu 0xfffe
	s_add_nc_u64 s[82:83], s[2:3], s[82:83]
	s_delay_alu instid0(SALU_CYCLE_1)
	s_add_co_u32 s0, s0, s82
	s_cselect_b32 s2, -1, 0
	s_wait_alu 0xfffe
	s_cmp_lg_u32 s2, 0
	s_add_co_ci_u32 s1, s1, s83
	s_wait_alu 0xfffe
	s_mul_u64 s[80:81], s[80:81], s[0:1]
	s_delay_alu instid0(SALU_CYCLE_1)
	s_mul_hi_u32 s83, s0, s81
	s_mul_i32 s82, s0, s81
	s_mul_hi_u32 s2, s0, s80
	s_mul_i32 s84, s1, s80
	s_wait_alu 0xfffe
	s_add_nc_u64 s[82:83], s[2:3], s[82:83]
	s_mul_hi_u32 s75, s1, s80
	s_mul_hi_u32 s85, s1, s81
	s_add_co_u32 s2, s82, s84
	s_wait_alu 0xfffe
	s_add_co_ci_u32 s2, s83, s75
	s_mul_i32 s80, s1, s81
	s_add_co_ci_u32 s81, s85, 0
	s_wait_alu 0xfffe
	s_add_nc_u64 s[80:81], s[2:3], s[80:81]
	s_delay_alu instid0(SALU_CYCLE_1)
	s_add_co_u32 s0, s0, s80
	s_cselect_b32 s2, -1, 0
	s_wait_alu 0xfffe
	v_mul_hi_u32 v33, v2, s0
	s_cmp_lg_u32 s2, 0
	v_mad_co_u64_u32 v[19:20], null, v30, s0, 0
	s_add_co_ci_u32 s1, s1, s81
	s_wait_alu 0xfffe
	v_mad_co_u64_u32 v[17:18], null, v2, s1, 0
	v_mad_co_u64_u32 v[21:22], null, v30, s1, 0
	s_delay_alu instid0(VALU_DEP_2) | instskip(SKIP_1) | instid1(VALU_DEP_3)
	v_add_co_u32 v17, vcc_lo, v33, v17
	s_wait_alu 0xfffd
	v_add_co_ci_u32_e64 v18, null, 0, v18, vcc_lo
	s_delay_alu instid0(VALU_DEP_2) | instskip(SKIP_1) | instid1(VALU_DEP_2)
	v_add_co_u32 v17, vcc_lo, v17, v19
	s_wait_alu 0xfffd
	v_add_co_ci_u32_e32 v17, vcc_lo, v18, v20, vcc_lo
	s_wait_alu 0xfffd
	v_add_co_ci_u32_e32 v18, vcc_lo, 0, v22, vcc_lo
	s_delay_alu instid0(VALU_DEP_2) | instskip(SKIP_1) | instid1(VALU_DEP_2)
	v_add_co_u32 v19, vcc_lo, v17, v21
	s_wait_alu 0xfffd
	v_add_co_ci_u32_e64 v20, null, 0, v18, vcc_lo
	s_delay_alu instid0(VALU_DEP_2) | instskip(SKIP_1) | instid1(VALU_DEP_3)
	v_mul_lo_u32 v21, s77, v19
	v_mad_co_u64_u32 v[17:18], null, s76, v19, 0
	v_mul_lo_u32 v22, s76, v20
	s_delay_alu instid0(VALU_DEP_2) | instskip(NEXT) | instid1(VALU_DEP_2)
	v_sub_co_u32 v2, vcc_lo, v2, v17
	v_add3_u32 v18, v18, v22, v21
	s_delay_alu instid0(VALU_DEP_2) | instskip(NEXT) | instid1(VALU_DEP_2)
	v_cmp_le_u32_e64 s1, s76, v2
	v_sub_nc_u32_e32 v21, v30, v18
	s_wait_alu 0xfffd
	v_sub_co_ci_u32_e64 v18, null, v30, v18, vcc_lo
	s_wait_alu 0xf1ff
	v_cndmask_b32_e64 v22, 0, -1, s1
	v_subrev_co_ci_u32_e64 v17, null, s77, v21, vcc_lo
	v_sub_co_u32 v21, s0, v2, s76
	v_cmp_le_u32_e64 s2, s77, v18
	s_wait_alu 0xf1ff
	s_delay_alu instid0(VALU_DEP_3) | instskip(NEXT) | instid1(VALU_DEP_3)
	v_subrev_co_ci_u32_e64 v17, null, 0, v17, s0
	v_cmp_le_u32_e32 vcc_lo, s76, v21
	v_cmp_eq_u32_e64 s1, s77, v18
	v_cndmask_b32_e64 v18, 0, -1, s2
	s_delay_alu instid0(VALU_DEP_4)
	v_cmp_le_u32_e64 s0, s77, v17
	s_wait_alu 0xfffd
	v_cndmask_b32_e64 v2, 0, -1, vcc_lo
	v_cmp_eq_u32_e32 vcc_lo, s77, v17
	s_wait_alu 0xf1ff
	v_cndmask_b32_e64 v18, v18, v22, s1
	v_cndmask_b32_e64 v17, 0, -1, s0
	v_add_co_u32 v21, s0, v19, 2
	s_wait_alu 0xfffd
	s_delay_alu instid0(VALU_DEP_2) | instskip(SKIP_3) | instid1(VALU_DEP_3)
	v_cndmask_b32_e32 v2, v17, v2, vcc_lo
	s_wait_alu 0xf1ff
	v_add_co_ci_u32_e64 v17, null, 0, v20, s0
	v_add_co_u32 v30, vcc_lo, v19, 1
	v_cmp_ne_u32_e64 s0, 0, v2
	s_wait_alu 0xfffd
	v_add_co_ci_u32_e64 v2, null, 0, v20, vcc_lo
	v_cmp_ne_u32_e32 vcc_lo, 0, v18
	s_wait_alu 0xf1ff
	v_cndmask_b32_e64 v18, v30, v21, s0
	s_delay_alu instid0(VALU_DEP_3) | instskip(SKIP_2) | instid1(VALU_DEP_3)
	v_cndmask_b32_e64 v2, v2, v17, s0
	v_xor_b32_e32 v21, s74, v27
	s_wait_alu 0xfffd
	v_cndmask_b32_e32 v17, v19, v18, vcc_lo
	s_delay_alu instid0(VALU_DEP_3) | instskip(NEXT) | instid1(VALU_DEP_2)
	v_cndmask_b32_e32 v2, v20, v2, vcc_lo
	v_xor_b32_e32 v17, v17, v21
	s_delay_alu instid0(VALU_DEP_2) | instskip(NEXT) | instid1(VALU_DEP_2)
	v_xor_b32_e32 v2, v2, v21
	v_sub_co_u32 v17, vcc_lo, v17, v21
	s_wait_alu 0xfffd
	s_delay_alu instid0(VALU_DEP_2)
	v_sub_co_ci_u32_e64 v18, null, v2, v21, vcc_lo
.LBB19_18:                              ;   in Loop: Header=BB19_4 Depth=1
	s_and_not1_saveexec_b32 s0, s79
	s_cbranch_execz .LBB19_20
; %bb.19:                               ;   in Loop: Header=BB19_4 Depth=1
	s_sub_co_i32 s1, 0, s44
	s_wait_alu 0xfffe
	v_mul_lo_u32 v2, s1, v39
	s_delay_alu instid0(VALU_DEP_1) | instskip(NEXT) | instid1(VALU_DEP_1)
	v_mul_hi_u32 v2, v39, v2
	v_add_nc_u32_e32 v2, v39, v2
	s_delay_alu instid0(VALU_DEP_1) | instskip(NEXT) | instid1(VALU_DEP_1)
	v_mul_hi_u32 v2, v31, v2
	v_mul_lo_u32 v17, v2, s44
	v_add_nc_u32_e32 v18, 1, v2
	s_delay_alu instid0(VALU_DEP_2) | instskip(NEXT) | instid1(VALU_DEP_1)
	v_sub_nc_u32_e32 v17, v31, v17
	v_cmp_le_u32_e32 vcc_lo, s44, v17
	v_subrev_nc_u32_e32 v19, s44, v17
	s_wait_alu 0xfffd
	s_delay_alu instid0(VALU_DEP_1) | instskip(NEXT) | instid1(VALU_DEP_1)
	v_dual_cndmask_b32 v2, v2, v18 :: v_dual_cndmask_b32 v17, v17, v19
	v_add_nc_u32_e32 v18, 1, v2
	s_delay_alu instid0(VALU_DEP_2) | instskip(SKIP_1) | instid1(VALU_DEP_2)
	v_cmp_le_u32_e32 vcc_lo, s44, v17
	s_wait_alu 0xfffd
	v_dual_cndmask_b32 v17, v2, v18 :: v_dual_mov_b32 v18, v1
.LBB19_20:                              ;   in Loop: Header=BB19_4 Depth=1
	s_wait_alu 0xfffe
	s_or_b32 exec_lo, exec_lo, s0
	s_delay_alu instid0(VALU_DEP_1) | instskip(NEXT) | instid1(VALU_DEP_2)
	v_mul_lo_u32 v2, v18, s12
	v_mul_lo_u32 v21, v17, s13
	v_mad_co_u64_u32 v[19:20], null, v17, s12, 0
	s_mov_b32 s0, exec_lo
	v_add3_u32 v20, v20, v21, v2
	v_mul_lo_u32 v2, v18, s44
	v_mul_lo_u32 v21, v17, s45
	v_mad_co_u64_u32 v[17:18], null, v17, s44, 0
	s_delay_alu instid0(VALU_DEP_4) | instskip(NEXT) | instid1(VALU_DEP_2)
	v_lshlrev_b64_e32 v[19:20], 3, v[19:20]
	v_add3_u32 v2, v18, v21, v2
	s_delay_alu instid0(VALU_DEP_3) | instskip(SKIP_1) | instid1(VALU_DEP_2)
	v_sub_co_u32 v17, vcc_lo, v13, v17
	s_wait_alu 0xfffd
	v_sub_co_ci_u32_e64 v2, null, v14, v2, vcc_lo
	s_delay_alu instid0(VALU_DEP_2) | instskip(SKIP_1) | instid1(VALU_DEP_2)
	v_add_co_u32 v17, vcc_lo, v3, v17
	s_wait_alu 0xfffd
	v_add_co_ci_u32_e64 v2, null, v4, v2, vcc_lo
	s_delay_alu instid0(VALU_DEP_2) | instskip(SKIP_1) | instid1(VALU_DEP_3)
	v_mul_lo_u32 v21, v17, s15
	v_mad_co_u64_u32 v[17:18], null, v17, s14, 0
	v_mul_lo_u32 v2, v2, s14
	s_delay_alu instid0(VALU_DEP_1) | instskip(SKIP_3) | instid1(VALU_DEP_3)
	v_add3_u32 v18, v18, v21, v2
	v_add_co_u32 v2, vcc_lo, s42, v19
	s_wait_alu 0xfffd
	v_add_co_ci_u32_e64 v19, null, s43, v20, vcc_lo
	v_lshlrev_b64_e32 v[17:18], 3, v[17:18]
	s_delay_alu instid0(VALU_DEP_1) | instskip(SKIP_1) | instid1(VALU_DEP_2)
	v_add_co_u32 v17, vcc_lo, v2, v17
	s_wait_alu 0xfffd
	v_add_co_ci_u32_e64 v18, null, v19, v18, vcc_lo
	v_add_co_u32 v2, vcc_lo, v15, 3
	s_wait_alu 0xfffd
	v_add_co_ci_u32_e64 v15, null, 0, v16, vcc_lo
	global_load_b64 v[17:18], v[17:18], off
	v_mul_lo_u32 v19, s5, v2
	v_mul_lo_u32 v20, s4, v15
	v_mad_co_u64_u32 v[15:16], null, s4, v2, 0
	s_delay_alu instid0(VALU_DEP_1) | instskip(NEXT) | instid1(VALU_DEP_2)
	v_add3_u32 v16, v16, v20, v19
	v_add_co_u32 v33, vcc_lo, v3, v15
                                        ; implicit-def: $vgpr19_vgpr20
	s_wait_alu 0xfffd
	s_delay_alu instid0(VALU_DEP_2) | instskip(NEXT) | instid1(VALU_DEP_1)
	v_add_co_ci_u32_e64 v34, null, v4, v16, vcc_lo
	v_or_b32_e32 v2, s45, v34
	v_ashrrev_i32_e32 v30, 31, v34
	s_delay_alu instid0(VALU_DEP_2)
	v_cmpx_ne_u64_e32 0, v[1:2]
	s_wait_alu 0xfffe
	s_xor_b32 s79, exec_lo, s0
	s_cbranch_execz .LBB19_22
; %bb.21:                               ;   in Loop: Header=BB19_4 Depth=1
	s_ashr_i32 s74, s45, 31
	v_add_co_u32 v2, vcc_lo, v33, v30
	s_wait_alu 0xfffe
	s_mov_b32 s75, s74
	s_wait_alu 0xfffd
	v_add_co_ci_u32_e64 v19, null, v34, v30, vcc_lo
	s_wait_alu 0xfffe
	s_add_nc_u64 s[0:1], s[44:45], s[74:75]
	v_xor_b32_e32 v2, v2, v30
	s_wait_alu 0xfffe
	s_xor_b64 s[76:77], s[0:1], s[74:75]
	v_xor_b32_e32 v37, v19, v30
	s_wait_alu 0xfffe
	s_cvt_f32_u32 s0, s76
	s_cvt_f32_u32 s1, s77
	s_sub_nc_u64 s[80:81], 0, s[76:77]
	s_wait_alu 0xfffe
	s_delay_alu instid0(SALU_CYCLE_1) | instskip(SKIP_1) | instid1(SALU_CYCLE_2)
	s_fmamk_f32 s0, s1, 0x4f800000, s0
	s_wait_alu 0xfffe
	v_s_rcp_f32 s0, s0
	s_delay_alu instid0(TRANS32_DEP_1) | instskip(SKIP_1) | instid1(SALU_CYCLE_2)
	s_mul_f32 s0, s0, 0x5f7ffffc
	s_wait_alu 0xfffe
	s_mul_f32 s1, s0, 0x2f800000
	s_wait_alu 0xfffe
	s_delay_alu instid0(SALU_CYCLE_2) | instskip(SKIP_1) | instid1(SALU_CYCLE_2)
	s_trunc_f32 s1, s1
	s_wait_alu 0xfffe
	s_fmamk_f32 s0, s1, 0xcf800000, s0
	s_cvt_u32_f32 s1, s1
	s_wait_alu 0xfffe
	s_delay_alu instid0(SALU_CYCLE_1) | instskip(SKIP_1) | instid1(SALU_CYCLE_2)
	s_cvt_u32_f32 s0, s0
	s_wait_alu 0xfffe
	s_mul_u64 s[82:83], s[80:81], s[0:1]
	s_delay_alu instid0(SALU_CYCLE_1)
	s_mul_hi_u32 s85, s0, s83
	s_mul_i32 s84, s0, s83
	s_mul_hi_u32 s2, s0, s82
	s_mul_i32 s86, s1, s82
	s_wait_alu 0xfffe
	s_add_nc_u64 s[84:85], s[2:3], s[84:85]
	s_mul_hi_u32 s75, s1, s82
	s_mul_hi_u32 s87, s1, s83
	s_add_co_u32 s2, s84, s86
	s_wait_alu 0xfffe
	s_add_co_ci_u32 s2, s85, s75
	s_mul_i32 s82, s1, s83
	s_add_co_ci_u32 s83, s87, 0
	s_wait_alu 0xfffe
	s_add_nc_u64 s[82:83], s[2:3], s[82:83]
	s_delay_alu instid0(SALU_CYCLE_1)
	s_add_co_u32 s0, s0, s82
	s_cselect_b32 s2, -1, 0
	s_wait_alu 0xfffe
	s_cmp_lg_u32 s2, 0
	s_add_co_ci_u32 s1, s1, s83
	s_wait_alu 0xfffe
	s_mul_u64 s[80:81], s[80:81], s[0:1]
	s_delay_alu instid0(SALU_CYCLE_1)
	s_mul_hi_u32 s83, s0, s81
	s_mul_i32 s82, s0, s81
	s_mul_hi_u32 s2, s0, s80
	s_mul_i32 s84, s1, s80
	s_wait_alu 0xfffe
	s_add_nc_u64 s[82:83], s[2:3], s[82:83]
	s_mul_hi_u32 s75, s1, s80
	s_mul_hi_u32 s85, s1, s81
	s_add_co_u32 s2, s82, s84
	s_wait_alu 0xfffe
	s_add_co_ci_u32 s2, s83, s75
	s_mul_i32 s80, s1, s81
	s_add_co_ci_u32 s81, s85, 0
	s_wait_alu 0xfffe
	s_add_nc_u64 s[80:81], s[2:3], s[80:81]
	s_delay_alu instid0(SALU_CYCLE_1)
	s_add_co_u32 s0, s0, s80
	s_cselect_b32 s2, -1, 0
	s_wait_alu 0xfffe
	v_mul_hi_u32 v38, v2, s0
	s_cmp_lg_u32 s2, 0
	v_mad_co_u64_u32 v[21:22], null, v37, s0, 0
	s_add_co_ci_u32 s1, s1, s81
	s_wait_alu 0xfffe
	v_mad_co_u64_u32 v[19:20], null, v2, s1, 0
	v_mad_co_u64_u32 v[35:36], null, v37, s1, 0
	s_delay_alu instid0(VALU_DEP_2) | instskip(SKIP_1) | instid1(VALU_DEP_3)
	v_add_co_u32 v19, vcc_lo, v38, v19
	s_wait_alu 0xfffd
	v_add_co_ci_u32_e64 v20, null, 0, v20, vcc_lo
	s_delay_alu instid0(VALU_DEP_2) | instskip(SKIP_1) | instid1(VALU_DEP_2)
	v_add_co_u32 v19, vcc_lo, v19, v21
	s_wait_alu 0xfffd
	v_add_co_ci_u32_e32 v19, vcc_lo, v20, v22, vcc_lo
	s_wait_alu 0xfffd
	v_add_co_ci_u32_e32 v20, vcc_lo, 0, v36, vcc_lo
	s_delay_alu instid0(VALU_DEP_2) | instskip(SKIP_1) | instid1(VALU_DEP_2)
	v_add_co_u32 v21, vcc_lo, v19, v35
	s_wait_alu 0xfffd
	v_add_co_ci_u32_e64 v22, null, 0, v20, vcc_lo
	s_delay_alu instid0(VALU_DEP_2) | instskip(SKIP_1) | instid1(VALU_DEP_3)
	v_mul_lo_u32 v35, s77, v21
	v_mad_co_u64_u32 v[19:20], null, s76, v21, 0
	v_mul_lo_u32 v36, s76, v22
	s_delay_alu instid0(VALU_DEP_2) | instskip(NEXT) | instid1(VALU_DEP_2)
	v_sub_co_u32 v2, vcc_lo, v2, v19
	v_add3_u32 v20, v20, v36, v35
	s_delay_alu instid0(VALU_DEP_2) | instskip(NEXT) | instid1(VALU_DEP_2)
	v_cmp_le_u32_e64 s1, s76, v2
	v_sub_nc_u32_e32 v35, v37, v20
	s_wait_alu 0xfffd
	v_sub_co_ci_u32_e64 v20, null, v37, v20, vcc_lo
	s_wait_alu 0xf1ff
	v_cndmask_b32_e64 v36, 0, -1, s1
	v_subrev_co_ci_u32_e64 v19, null, s77, v35, vcc_lo
	v_sub_co_u32 v35, s0, v2, s76
	v_cmp_le_u32_e64 s2, s77, v20
	s_wait_alu 0xf1ff
	s_delay_alu instid0(VALU_DEP_3) | instskip(NEXT) | instid1(VALU_DEP_3)
	v_subrev_co_ci_u32_e64 v19, null, 0, v19, s0
	v_cmp_le_u32_e32 vcc_lo, s76, v35
	v_cmp_eq_u32_e64 s1, s77, v20
	v_cndmask_b32_e64 v20, 0, -1, s2
	s_delay_alu instid0(VALU_DEP_4)
	v_cmp_le_u32_e64 s0, s77, v19
	s_wait_alu 0xfffd
	v_cndmask_b32_e64 v2, 0, -1, vcc_lo
	v_cmp_eq_u32_e32 vcc_lo, s77, v19
	s_wait_alu 0xf1ff
	v_cndmask_b32_e64 v20, v20, v36, s1
	v_cndmask_b32_e64 v19, 0, -1, s0
	v_add_co_u32 v35, s0, v21, 2
	s_wait_alu 0xfffd
	s_delay_alu instid0(VALU_DEP_2) | instskip(SKIP_3) | instid1(VALU_DEP_3)
	v_cndmask_b32_e32 v2, v19, v2, vcc_lo
	s_wait_alu 0xf1ff
	v_add_co_ci_u32_e64 v19, null, 0, v22, s0
	v_add_co_u32 v37, vcc_lo, v21, 1
	v_cmp_ne_u32_e64 s0, 0, v2
	s_wait_alu 0xfffd
	v_add_co_ci_u32_e64 v2, null, 0, v22, vcc_lo
	v_cmp_ne_u32_e32 vcc_lo, 0, v20
	s_wait_alu 0xf1ff
	v_cndmask_b32_e64 v20, v37, v35, s0
	s_delay_alu instid0(VALU_DEP_3) | instskip(SKIP_2) | instid1(VALU_DEP_2)
	v_cndmask_b32_e64 v2, v2, v19, s0
	v_xor_b32_e32 v35, s74, v30
	s_wait_alu 0xfffd
	v_dual_cndmask_b32 v19, v21, v20 :: v_dual_cndmask_b32 v2, v22, v2
	s_delay_alu instid0(VALU_DEP_1) | instskip(NEXT) | instid1(VALU_DEP_2)
	v_xor_b32_e32 v19, v19, v35
	v_xor_b32_e32 v2, v2, v35
	s_delay_alu instid0(VALU_DEP_2) | instskip(SKIP_1) | instid1(VALU_DEP_2)
	v_sub_co_u32 v19, vcc_lo, v19, v35
	s_wait_alu 0xfffd
	v_sub_co_ci_u32_e64 v20, null, v2, v35, vcc_lo
.LBB19_22:                              ;   in Loop: Header=BB19_4 Depth=1
	s_and_not1_saveexec_b32 s0, s79
	s_cbranch_execz .LBB19_24
; %bb.23:                               ;   in Loop: Header=BB19_4 Depth=1
	s_sub_co_i32 s1, 0, s44
	s_wait_alu 0xfffe
	v_mul_lo_u32 v2, s1, v39
	s_delay_alu instid0(VALU_DEP_1) | instskip(NEXT) | instid1(VALU_DEP_1)
	v_mul_hi_u32 v2, v39, v2
	v_add_nc_u32_e32 v2, v39, v2
	s_delay_alu instid0(VALU_DEP_1) | instskip(NEXT) | instid1(VALU_DEP_1)
	v_mul_hi_u32 v2, v33, v2
	v_mul_lo_u32 v19, v2, s44
	s_delay_alu instid0(VALU_DEP_1) | instskip(NEXT) | instid1(VALU_DEP_1)
	v_sub_nc_u32_e32 v19, v33, v19
	v_cmp_le_u32_e32 vcc_lo, s44, v19
	v_subrev_nc_u32_e32 v21, s44, v19
	s_wait_alu 0xfffd
	s_delay_alu instid0(VALU_DEP_1) | instskip(NEXT) | instid1(VALU_DEP_1)
	v_dual_cndmask_b32 v19, v19, v21 :: v_dual_add_nc_u32 v20, 1, v2
	v_cndmask_b32_e32 v2, v2, v20, vcc_lo
	s_delay_alu instid0(VALU_DEP_2) | instskip(NEXT) | instid1(VALU_DEP_2)
	v_cmp_le_u32_e32 vcc_lo, s44, v19
	v_add_nc_u32_e32 v20, 1, v2
	s_wait_alu 0xfffd
	s_delay_alu instid0(VALU_DEP_1)
	v_dual_cndmask_b32 v19, v2, v20 :: v_dual_mov_b32 v20, v1
.LBB19_24:                              ;   in Loop: Header=BB19_4 Depth=1
	s_wait_alu 0xfffe
	s_or_b32 exec_lo, exec_lo, s0
	s_delay_alu instid0(VALU_DEP_1) | instskip(NEXT) | instid1(VALU_DEP_2)
	v_mul_lo_u32 v2, v20, s44
	v_mul_lo_u32 v35, v19, s45
	v_mad_co_u64_u32 v[21:22], null, v19, s44, 0
	s_mov_b32 s0, exec_lo
	v_add3_u32 v2, v22, v35, v2
	v_sub_co_u32 v21, vcc_lo, v15, v21
	v_mul_lo_u32 v22, v20, s12
	v_mul_lo_u32 v35, v19, s13
	s_wait_alu 0xfffd
	v_sub_co_ci_u32_e64 v2, null, v16, v2, vcc_lo
	v_mad_co_u64_u32 v[19:20], null, v19, s12, 0
	v_add_co_u32 v21, vcc_lo, v3, v21
	s_wait_alu 0xfffd
	s_delay_alu instid0(VALU_DEP_3) | instskip(NEXT) | instid1(VALU_DEP_3)
	v_add_co_ci_u32_e64 v2, null, v4, v2, vcc_lo
	v_add3_u32 v20, v20, v35, v22
	s_delay_alu instid0(VALU_DEP_3) | instskip(SKIP_1) | instid1(VALU_DEP_4)
	v_mul_lo_u32 v35, v21, s15
	v_mad_co_u64_u32 v[21:22], null, v21, s14, 0
	v_mul_lo_u32 v2, v2, s14
	s_delay_alu instid0(VALU_DEP_4) | instskip(NEXT) | instid1(VALU_DEP_2)
	v_lshlrev_b64_e32 v[19:20], 3, v[19:20]
	v_add3_u32 v22, v22, v35, v2
	s_delay_alu instid0(VALU_DEP_2) | instskip(SKIP_1) | instid1(VALU_DEP_3)
	v_add_co_u32 v2, vcc_lo, s42, v19
	s_wait_alu 0xfffd
	v_add_co_ci_u32_e64 v20, null, s43, v20, vcc_lo
	s_delay_alu instid0(VALU_DEP_3) | instskip(NEXT) | instid1(VALU_DEP_1)
	v_lshlrev_b64_e32 v[21:22], 3, v[21:22]
	v_add_co_u32 v19, vcc_lo, v2, v21
	s_wait_alu 0xfffd
	s_delay_alu instid0(VALU_DEP_2)
	v_add_co_ci_u32_e64 v20, null, v20, v22, vcc_lo
	v_or_b32_e32 v2, s55, v26
                                        ; implicit-def: $vgpr21_vgpr22
	global_load_b64 v[19:20], v[19:20], off
	v_cmpx_ne_u64_e32 0, v[1:2]
	s_wait_alu 0xfffe
	s_xor_b32 s79, exec_lo, s0
	s_cbranch_execz .LBB19_26
; %bb.25:                               ;   in Loop: Header=BB19_4 Depth=1
	s_ashr_i32 s74, s55, 31
	v_add_co_u32 v2, vcc_lo, v24, v23
	s_wait_alu 0xfffe
	s_mov_b32 s75, s74
	s_wait_alu 0xfffd
	v_add_co_ci_u32_e64 v21, null, v26, v23, vcc_lo
	s_wait_alu 0xfffe
	s_add_nc_u64 s[0:1], s[54:55], s[74:75]
	v_xor_b32_e32 v2, v2, v23
	s_wait_alu 0xfffe
	s_xor_b64 s[76:77], s[0:1], s[74:75]
	v_xor_b32_e32 v24, v21, v23
	s_wait_alu 0xfffe
	s_cvt_f32_u32 s0, s76
	s_cvt_f32_u32 s1, s77
	s_sub_nc_u64 s[80:81], 0, s[76:77]
	v_xor_b32_e32 v23, s74, v23
	s_wait_alu 0xfffe
	s_fmamk_f32 s0, s1, 0x4f800000, s0
	s_wait_alu 0xfffe
	s_delay_alu instid0(SALU_CYCLE_2) | instskip(NEXT) | instid1(TRANS32_DEP_1)
	v_s_rcp_f32 s0, s0
	s_mul_f32 s0, s0, 0x5f7ffffc
	s_wait_alu 0xfffe
	s_delay_alu instid0(SALU_CYCLE_2) | instskip(SKIP_1) | instid1(SALU_CYCLE_2)
	s_mul_f32 s1, s0, 0x2f800000
	s_wait_alu 0xfffe
	s_trunc_f32 s1, s1
	s_wait_alu 0xfffe
	s_delay_alu instid0(SALU_CYCLE_2) | instskip(SKIP_2) | instid1(SALU_CYCLE_1)
	s_fmamk_f32 s0, s1, 0xcf800000, s0
	s_cvt_u32_f32 s1, s1
	s_wait_alu 0xfffe
	s_cvt_u32_f32 s0, s0
	s_wait_alu 0xfffe
	s_delay_alu instid0(SALU_CYCLE_2) | instskip(NEXT) | instid1(SALU_CYCLE_1)
	s_mul_u64 s[82:83], s[80:81], s[0:1]
	s_mul_hi_u32 s85, s0, s83
	s_mul_i32 s84, s0, s83
	s_mul_hi_u32 s2, s0, s82
	s_mul_i32 s86, s1, s82
	s_wait_alu 0xfffe
	s_add_nc_u64 s[84:85], s[2:3], s[84:85]
	s_mul_hi_u32 s75, s1, s82
	s_mul_hi_u32 s87, s1, s83
	s_add_co_u32 s2, s84, s86
	s_wait_alu 0xfffe
	s_add_co_ci_u32 s2, s85, s75
	s_mul_i32 s82, s1, s83
	s_add_co_ci_u32 s83, s87, 0
	s_wait_alu 0xfffe
	s_add_nc_u64 s[82:83], s[2:3], s[82:83]
	s_delay_alu instid0(SALU_CYCLE_1)
	s_add_co_u32 s0, s0, s82
	s_cselect_b32 s2, -1, 0
	s_wait_alu 0xfffe
	s_cmp_lg_u32 s2, 0
	s_add_co_ci_u32 s1, s1, s83
	s_wait_alu 0xfffe
	s_mul_u64 s[80:81], s[80:81], s[0:1]
	s_delay_alu instid0(SALU_CYCLE_1)
	s_mul_hi_u32 s83, s0, s81
	s_mul_i32 s82, s0, s81
	s_mul_hi_u32 s2, s0, s80
	s_mul_i32 s84, s1, s80
	s_wait_alu 0xfffe
	s_add_nc_u64 s[82:83], s[2:3], s[82:83]
	s_mul_hi_u32 s75, s1, s80
	s_mul_hi_u32 s85, s1, s81
	s_add_co_u32 s2, s82, s84
	s_wait_alu 0xfffe
	s_add_co_ci_u32 s2, s83, s75
	s_mul_i32 s80, s1, s81
	s_add_co_ci_u32 s81, s85, 0
	s_wait_alu 0xfffe
	s_add_nc_u64 s[80:81], s[2:3], s[80:81]
	s_delay_alu instid0(SALU_CYCLE_1)
	s_add_co_u32 s0, s0, s80
	s_cselect_b32 s2, -1, 0
	s_wait_alu 0xfffe
	v_mul_hi_u32 v26, v2, s0
	s_cmp_lg_u32 s2, 0
	v_mad_co_u64_u32 v[35:36], null, v24, s0, 0
	s_add_co_ci_u32 s1, s1, s81
	s_wait_alu 0xfffe
	v_mad_co_u64_u32 v[21:22], null, v2, s1, 0
	v_mad_co_u64_u32 v[37:38], null, v24, s1, 0
	s_delay_alu instid0(VALU_DEP_2) | instskip(SKIP_1) | instid1(VALU_DEP_3)
	v_add_co_u32 v21, vcc_lo, v26, v21
	s_wait_alu 0xfffd
	v_add_co_ci_u32_e64 v22, null, 0, v22, vcc_lo
	s_delay_alu instid0(VALU_DEP_2) | instskip(SKIP_1) | instid1(VALU_DEP_2)
	v_add_co_u32 v21, vcc_lo, v21, v35
	s_wait_alu 0xfffd
	v_add_co_ci_u32_e32 v21, vcc_lo, v22, v36, vcc_lo
	s_wait_alu 0xfffd
	v_add_co_ci_u32_e32 v22, vcc_lo, 0, v38, vcc_lo
	s_delay_alu instid0(VALU_DEP_2) | instskip(SKIP_1) | instid1(VALU_DEP_2)
	v_add_co_u32 v26, vcc_lo, v21, v37
	s_wait_alu 0xfffd
	v_add_co_ci_u32_e64 v35, null, 0, v22, vcc_lo
	s_delay_alu instid0(VALU_DEP_2) | instskip(SKIP_1) | instid1(VALU_DEP_3)
	v_mul_lo_u32 v36, s77, v26
	v_mad_co_u64_u32 v[21:22], null, s76, v26, 0
	v_mul_lo_u32 v37, s76, v35
	s_delay_alu instid0(VALU_DEP_2) | instskip(NEXT) | instid1(VALU_DEP_2)
	v_sub_co_u32 v2, vcc_lo, v2, v21
	v_add3_u32 v22, v22, v37, v36
	s_delay_alu instid0(VALU_DEP_2) | instskip(NEXT) | instid1(VALU_DEP_2)
	v_cmp_le_u32_e64 s1, s76, v2
	v_sub_nc_u32_e32 v36, v24, v22
	s_wait_alu 0xfffd
	v_sub_co_ci_u32_e64 v22, null, v24, v22, vcc_lo
	s_delay_alu instid0(VALU_DEP_2) | instskip(SKIP_1) | instid1(VALU_DEP_3)
	v_subrev_co_ci_u32_e64 v21, null, s77, v36, vcc_lo
	v_sub_co_u32 v36, s0, v2, s76
	v_cmp_le_u32_e64 s2, s77, v22
	s_wait_alu 0xf1ff
	s_delay_alu instid0(VALU_DEP_3) | instskip(NEXT) | instid1(VALU_DEP_3)
	v_subrev_co_ci_u32_e64 v21, null, 0, v21, s0
	v_cmp_le_u32_e32 vcc_lo, s76, v36
	v_cndmask_b32_e64 v36, 0, -1, s1
	v_cmp_eq_u32_e64 s1, s77, v22
	s_delay_alu instid0(VALU_DEP_4)
	v_cmp_le_u32_e64 s0, s77, v21
	v_cndmask_b32_e64 v22, 0, -1, s2
	s_wait_alu 0xfffd
	v_cndmask_b32_e64 v2, 0, -1, vcc_lo
	v_cmp_eq_u32_e32 vcc_lo, s77, v21
	s_wait_alu 0xf1ff
	v_cndmask_b32_e64 v21, 0, -1, s0
	v_add_co_u32 v24, s0, v26, 2
	v_cndmask_b32_e64 v22, v22, v36, s1
	s_wait_alu 0xfffd
	s_delay_alu instid0(VALU_DEP_3) | instskip(SKIP_3) | instid1(VALU_DEP_3)
	v_cndmask_b32_e32 v2, v21, v2, vcc_lo
	s_wait_alu 0xf1ff
	v_add_co_ci_u32_e64 v21, null, 0, v35, s0
	v_add_co_u32 v37, vcc_lo, v26, 1
	v_cmp_ne_u32_e64 s0, 0, v2
	s_wait_alu 0xfffd
	v_add_co_ci_u32_e64 v2, null, 0, v35, vcc_lo
	v_cmp_ne_u32_e32 vcc_lo, 0, v22
	s_wait_alu 0xf1ff
	v_cndmask_b32_e64 v22, v37, v24, s0
	s_delay_alu instid0(VALU_DEP_3) | instskip(SKIP_1) | instid1(VALU_DEP_2)
	v_cndmask_b32_e64 v2, v2, v21, s0
                                        ; implicit-def: $vgpr24
	s_wait_alu 0xfffd
	v_cndmask_b32_e32 v21, v26, v22, vcc_lo
	s_delay_alu instid0(VALU_DEP_2) | instskip(NEXT) | instid1(VALU_DEP_2)
	v_cndmask_b32_e32 v2, v35, v2, vcc_lo
	v_xor_b32_e32 v21, v21, v23
	s_delay_alu instid0(VALU_DEP_2) | instskip(NEXT) | instid1(VALU_DEP_2)
	v_xor_b32_e32 v2, v2, v23
	v_sub_co_u32 v21, vcc_lo, v21, v23
	s_wait_alu 0xfffd
	s_delay_alu instid0(VALU_DEP_2)
	v_sub_co_ci_u32_e64 v22, null, v2, v23, vcc_lo
.LBB19_26:                              ;   in Loop: Header=BB19_4 Depth=1
	s_or_saveexec_b32 s0, s79
	v_cvt_f32_u32_e32 v35, s54
	s_wait_alu 0xfffe
	s_xor_b32 exec_lo, exec_lo, s0
	s_cbranch_execz .LBB19_28
; %bb.27:                               ;   in Loop: Header=BB19_4 Depth=1
	s_delay_alu instid0(VALU_DEP_1) | instskip(SKIP_1) | instid1(TRANS32_DEP_1)
	v_rcp_iflag_f32_e32 v2, v35
	s_sub_co_i32 s1, 0, s54
	v_mul_f32_e32 v2, 0x4f7ffffe, v2
	s_delay_alu instid0(VALU_DEP_1) | instskip(SKIP_1) | instid1(VALU_DEP_1)
	v_cvt_u32_f32_e32 v2, v2
	s_wait_alu 0xfffe
	v_mul_lo_u32 v21, s1, v2
	s_delay_alu instid0(VALU_DEP_1) | instskip(NEXT) | instid1(VALU_DEP_1)
	v_mul_hi_u32 v21, v2, v21
	v_add_nc_u32_e32 v2, v2, v21
	s_delay_alu instid0(VALU_DEP_1) | instskip(NEXT) | instid1(VALU_DEP_1)
	v_mul_hi_u32 v2, v24, v2
	v_mul_lo_u32 v21, v2, s54
	v_add_nc_u32_e32 v22, 1, v2
	s_delay_alu instid0(VALU_DEP_2) | instskip(NEXT) | instid1(VALU_DEP_1)
	v_sub_nc_u32_e32 v21, v24, v21
	v_cmp_le_u32_e32 vcc_lo, s54, v21
	v_subrev_nc_u32_e32 v23, s54, v21
	s_wait_alu 0xfffd
	s_delay_alu instid0(VALU_DEP_1) | instskip(NEXT) | instid1(VALU_DEP_1)
	v_dual_cndmask_b32 v2, v2, v22 :: v_dual_cndmask_b32 v21, v21, v23
	v_add_nc_u32_e32 v22, 1, v2
	s_delay_alu instid0(VALU_DEP_2) | instskip(SKIP_1) | instid1(VALU_DEP_2)
	v_cmp_le_u32_e32 vcc_lo, s54, v21
	s_wait_alu 0xfffd
	v_dual_cndmask_b32 v21, v2, v22 :: v_dual_mov_b32 v22, v1
.LBB19_28:                              ;   in Loop: Header=BB19_4 Depth=1
	s_or_b32 exec_lo, exec_lo, s0
	v_or_b32_e32 v2, s55, v29
                                        ; implicit-def: $vgpr23_vgpr24
	s_mov_b32 s0, exec_lo
	s_delay_alu instid0(VALU_DEP_1)
	v_cmpx_ne_u64_e32 0, v[1:2]
	s_wait_alu 0xfffe
	s_xor_b32 s79, exec_lo, s0
	s_cbranch_execz .LBB19_30
; %bb.29:                               ;   in Loop: Header=BB19_4 Depth=1
	s_ashr_i32 s74, s55, 31
	v_add_co_u32 v2, vcc_lo, v28, v25
	s_wait_alu 0xfffe
	s_mov_b32 s75, s74
	s_wait_alu 0xfffd
	v_add_co_ci_u32_e64 v23, null, v29, v25, vcc_lo
	s_wait_alu 0xfffe
	s_add_nc_u64 s[0:1], s[54:55], s[74:75]
	v_xor_b32_e32 v2, v2, v25
	s_wait_alu 0xfffe
	s_xor_b64 s[76:77], s[0:1], s[74:75]
	v_xor_b32_e32 v26, v23, v25
	s_wait_alu 0xfffe
	s_cvt_f32_u32 s0, s76
	s_cvt_f32_u32 s1, s77
	s_sub_nc_u64 s[80:81], 0, s[76:77]
	v_xor_b32_e32 v25, s74, v25
	s_wait_alu 0xfffe
	s_fmamk_f32 s0, s1, 0x4f800000, s0
	s_wait_alu 0xfffe
	s_delay_alu instid0(SALU_CYCLE_2) | instskip(NEXT) | instid1(TRANS32_DEP_1)
	v_s_rcp_f32 s0, s0
	s_mul_f32 s0, s0, 0x5f7ffffc
	s_wait_alu 0xfffe
	s_delay_alu instid0(SALU_CYCLE_2) | instskip(SKIP_1) | instid1(SALU_CYCLE_2)
	s_mul_f32 s1, s0, 0x2f800000
	s_wait_alu 0xfffe
	s_trunc_f32 s1, s1
	s_wait_alu 0xfffe
	s_delay_alu instid0(SALU_CYCLE_2) | instskip(SKIP_2) | instid1(SALU_CYCLE_1)
	s_fmamk_f32 s0, s1, 0xcf800000, s0
	s_cvt_u32_f32 s1, s1
	s_wait_alu 0xfffe
	s_cvt_u32_f32 s0, s0
	s_wait_alu 0xfffe
	s_delay_alu instid0(SALU_CYCLE_2) | instskip(NEXT) | instid1(SALU_CYCLE_1)
	s_mul_u64 s[82:83], s[80:81], s[0:1]
	s_mul_hi_u32 s85, s0, s83
	s_mul_i32 s84, s0, s83
	s_mul_hi_u32 s2, s0, s82
	s_mul_i32 s86, s1, s82
	s_wait_alu 0xfffe
	s_add_nc_u64 s[84:85], s[2:3], s[84:85]
	s_mul_hi_u32 s75, s1, s82
	s_mul_hi_u32 s87, s1, s83
	s_add_co_u32 s2, s84, s86
	s_wait_alu 0xfffe
	s_add_co_ci_u32 s2, s85, s75
	s_mul_i32 s82, s1, s83
	s_add_co_ci_u32 s83, s87, 0
	s_wait_alu 0xfffe
	s_add_nc_u64 s[82:83], s[2:3], s[82:83]
	s_delay_alu instid0(SALU_CYCLE_1)
	s_add_co_u32 s0, s0, s82
	s_cselect_b32 s2, -1, 0
	s_wait_alu 0xfffe
	s_cmp_lg_u32 s2, 0
	s_add_co_ci_u32 s1, s1, s83
	s_wait_alu 0xfffe
	s_mul_u64 s[80:81], s[80:81], s[0:1]
	s_delay_alu instid0(SALU_CYCLE_1)
	s_mul_hi_u32 s83, s0, s81
	s_mul_i32 s82, s0, s81
	s_mul_hi_u32 s2, s0, s80
	s_mul_i32 s84, s1, s80
	s_wait_alu 0xfffe
	s_add_nc_u64 s[82:83], s[2:3], s[82:83]
	s_mul_hi_u32 s75, s1, s80
	s_mul_hi_u32 s85, s1, s81
	s_add_co_u32 s2, s82, s84
	s_wait_alu 0xfffe
	s_add_co_ci_u32 s2, s83, s75
	s_mul_i32 s80, s1, s81
	s_add_co_ci_u32 s81, s85, 0
	s_wait_alu 0xfffe
	s_add_nc_u64 s[80:81], s[2:3], s[80:81]
	s_delay_alu instid0(SALU_CYCLE_1)
	s_add_co_u32 s0, s0, s80
	s_cselect_b32 s2, -1, 0
	s_wait_alu 0xfffe
	v_mul_hi_u32 v38, v2, s0
	s_cmp_lg_u32 s2, 0
	v_mad_co_u64_u32 v[28:29], null, v26, s0, 0
	s_add_co_ci_u32 s1, s1, s81
	s_wait_alu 0xfffe
	v_mad_co_u64_u32 v[23:24], null, v2, s1, 0
	v_mad_co_u64_u32 v[36:37], null, v26, s1, 0
	s_delay_alu instid0(VALU_DEP_2) | instskip(SKIP_1) | instid1(VALU_DEP_3)
	v_add_co_u32 v23, vcc_lo, v38, v23
	s_wait_alu 0xfffd
	v_add_co_ci_u32_e64 v24, null, 0, v24, vcc_lo
	s_delay_alu instid0(VALU_DEP_2) | instskip(SKIP_1) | instid1(VALU_DEP_2)
	v_add_co_u32 v23, vcc_lo, v23, v28
	s_wait_alu 0xfffd
	v_add_co_ci_u32_e32 v23, vcc_lo, v24, v29, vcc_lo
	s_wait_alu 0xfffd
	v_add_co_ci_u32_e32 v24, vcc_lo, 0, v37, vcc_lo
	s_delay_alu instid0(VALU_DEP_2) | instskip(SKIP_1) | instid1(VALU_DEP_2)
	v_add_co_u32 v28, vcc_lo, v23, v36
	s_wait_alu 0xfffd
	v_add_co_ci_u32_e64 v29, null, 0, v24, vcc_lo
	s_delay_alu instid0(VALU_DEP_2) | instskip(SKIP_1) | instid1(VALU_DEP_3)
	v_mul_lo_u32 v36, s77, v28
	v_mad_co_u64_u32 v[23:24], null, s76, v28, 0
	v_mul_lo_u32 v37, s76, v29
	s_delay_alu instid0(VALU_DEP_2) | instskip(NEXT) | instid1(VALU_DEP_2)
	v_sub_co_u32 v2, vcc_lo, v2, v23
	v_add3_u32 v24, v24, v37, v36
	s_delay_alu instid0(VALU_DEP_2) | instskip(NEXT) | instid1(VALU_DEP_2)
	v_cmp_le_u32_e64 s1, s76, v2
	v_sub_nc_u32_e32 v36, v26, v24
	s_wait_alu 0xfffd
	v_sub_co_ci_u32_e64 v24, null, v26, v24, vcc_lo
	s_delay_alu instid0(VALU_DEP_2) | instskip(SKIP_1) | instid1(VALU_DEP_3)
	v_subrev_co_ci_u32_e64 v23, null, s77, v36, vcc_lo
	v_sub_co_u32 v36, s0, v2, s76
	v_cmp_le_u32_e64 s2, s77, v24
	s_wait_alu 0xf1ff
	s_delay_alu instid0(VALU_DEP_3) | instskip(NEXT) | instid1(VALU_DEP_3)
	v_subrev_co_ci_u32_e64 v23, null, 0, v23, s0
	v_cmp_le_u32_e32 vcc_lo, s76, v36
	v_cndmask_b32_e64 v36, 0, -1, s1
	v_cmp_eq_u32_e64 s1, s77, v24
	s_delay_alu instid0(VALU_DEP_4)
	v_cmp_le_u32_e64 s0, s77, v23
	v_cndmask_b32_e64 v24, 0, -1, s2
	s_wait_alu 0xfffd
	v_cndmask_b32_e64 v2, 0, -1, vcc_lo
	v_cmp_eq_u32_e32 vcc_lo, s77, v23
	s_wait_alu 0xf1ff
	v_cndmask_b32_e64 v23, 0, -1, s0
	v_add_co_u32 v26, s0, v28, 2
	v_cndmask_b32_e64 v24, v24, v36, s1
	s_wait_alu 0xfffd
	s_delay_alu instid0(VALU_DEP_3) | instskip(SKIP_3) | instid1(VALU_DEP_3)
	v_cndmask_b32_e32 v2, v23, v2, vcc_lo
	s_wait_alu 0xf1ff
	v_add_co_ci_u32_e64 v23, null, 0, v29, s0
	v_add_co_u32 v37, vcc_lo, v28, 1
	v_cmp_ne_u32_e64 s0, 0, v2
	s_wait_alu 0xfffd
	v_add_co_ci_u32_e64 v2, null, 0, v29, vcc_lo
	v_cmp_ne_u32_e32 vcc_lo, 0, v24
	s_wait_alu 0xf1ff
	v_cndmask_b32_e64 v24, v37, v26, s0
	s_delay_alu instid0(VALU_DEP_3) | instskip(SKIP_1) | instid1(VALU_DEP_1)
	v_cndmask_b32_e64 v2, v2, v23, s0
	s_wait_alu 0xfffd
	v_dual_cndmask_b32 v23, v28, v24 :: v_dual_cndmask_b32 v2, v29, v2
                                        ; implicit-def: $vgpr28
	s_delay_alu instid0(VALU_DEP_1) | instskip(NEXT) | instid1(VALU_DEP_2)
	v_xor_b32_e32 v23, v23, v25
	v_xor_b32_e32 v2, v2, v25
	s_delay_alu instid0(VALU_DEP_2) | instskip(SKIP_1) | instid1(VALU_DEP_2)
	v_sub_co_u32 v23, vcc_lo, v23, v25
	s_wait_alu 0xfffd
	v_sub_co_ci_u32_e64 v24, null, v2, v25, vcc_lo
.LBB19_30:                              ;   in Loop: Header=BB19_4 Depth=1
	s_and_not1_saveexec_b32 s0, s79
	s_cbranch_execz .LBB19_32
; %bb.31:                               ;   in Loop: Header=BB19_4 Depth=1
	v_rcp_iflag_f32_e32 v2, v35
	s_sub_co_i32 s1, 0, s54
	s_delay_alu instid0(TRANS32_DEP_1) | instskip(NEXT) | instid1(VALU_DEP_1)
	v_mul_f32_e32 v2, 0x4f7ffffe, v2
	v_cvt_u32_f32_e32 v2, v2
	s_wait_alu 0xfffe
	s_delay_alu instid0(VALU_DEP_1) | instskip(NEXT) | instid1(VALU_DEP_1)
	v_mul_lo_u32 v23, s1, v2
	v_mul_hi_u32 v23, v2, v23
	s_delay_alu instid0(VALU_DEP_1) | instskip(NEXT) | instid1(VALU_DEP_1)
	v_add_nc_u32_e32 v2, v2, v23
	v_mul_hi_u32 v2, v28, v2
	s_delay_alu instid0(VALU_DEP_1) | instskip(SKIP_1) | instid1(VALU_DEP_2)
	v_mul_lo_u32 v23, v2, s54
	v_add_nc_u32_e32 v24, 1, v2
	v_sub_nc_u32_e32 v23, v28, v23
	s_delay_alu instid0(VALU_DEP_1) | instskip(SKIP_2) | instid1(VALU_DEP_1)
	v_cmp_le_u32_e32 vcc_lo, s54, v23
	v_subrev_nc_u32_e32 v25, s54, v23
	s_wait_alu 0xfffd
	v_dual_cndmask_b32 v2, v2, v24 :: v_dual_cndmask_b32 v23, v23, v25
	s_delay_alu instid0(VALU_DEP_1) | instskip(NEXT) | instid1(VALU_DEP_2)
	v_add_nc_u32_e32 v24, 1, v2
	v_cmp_le_u32_e32 vcc_lo, s54, v23
	s_wait_alu 0xfffd
	s_delay_alu instid0(VALU_DEP_2)
	v_dual_cndmask_b32 v23, v2, v24 :: v_dual_mov_b32 v24, v1
.LBB19_32:                              ;   in Loop: Header=BB19_4 Depth=1
	s_wait_alu 0xfffe
	s_or_b32 exec_lo, exec_lo, s0
	v_or_b32_e32 v2, s55, v32
                                        ; implicit-def: $vgpr25_vgpr26
	s_mov_b32 s0, exec_lo
	s_delay_alu instid0(VALU_DEP_1)
	v_cmpx_ne_u64_e32 0, v[1:2]
	s_wait_alu 0xfffe
	s_xor_b32 s79, exec_lo, s0
	s_cbranch_execz .LBB19_34
; %bb.33:                               ;   in Loop: Header=BB19_4 Depth=1
	s_ashr_i32 s74, s55, 31
	v_add_co_u32 v2, vcc_lo, v31, v27
	s_wait_alu 0xfffe
	s_mov_b32 s75, s74
	s_wait_alu 0xfffd
	v_add_co_ci_u32_e64 v25, null, v32, v27, vcc_lo
	s_wait_alu 0xfffe
	s_add_nc_u64 s[0:1], s[54:55], s[74:75]
	v_xor_b32_e32 v2, v2, v27
	s_wait_alu 0xfffe
	s_xor_b64 s[76:77], s[0:1], s[74:75]
	v_xor_b32_e32 v36, v25, v27
	s_wait_alu 0xfffe
	s_cvt_f32_u32 s0, s76
	s_cvt_f32_u32 s1, s77
	s_sub_nc_u64 s[80:81], 0, s[76:77]
	v_xor_b32_e32 v27, s74, v27
	s_wait_alu 0xfffe
	s_fmamk_f32 s0, s1, 0x4f800000, s0
	s_wait_alu 0xfffe
	s_delay_alu instid0(SALU_CYCLE_2) | instskip(NEXT) | instid1(TRANS32_DEP_1)
	v_s_rcp_f32 s0, s0
	s_mul_f32 s0, s0, 0x5f7ffffc
	s_wait_alu 0xfffe
	s_delay_alu instid0(SALU_CYCLE_2) | instskip(SKIP_1) | instid1(SALU_CYCLE_2)
	s_mul_f32 s1, s0, 0x2f800000
	s_wait_alu 0xfffe
	s_trunc_f32 s1, s1
	s_wait_alu 0xfffe
	s_delay_alu instid0(SALU_CYCLE_2) | instskip(SKIP_2) | instid1(SALU_CYCLE_1)
	s_fmamk_f32 s0, s1, 0xcf800000, s0
	s_cvt_u32_f32 s1, s1
	s_wait_alu 0xfffe
	s_cvt_u32_f32 s0, s0
	s_wait_alu 0xfffe
	s_delay_alu instid0(SALU_CYCLE_2) | instskip(NEXT) | instid1(SALU_CYCLE_1)
	s_mul_u64 s[82:83], s[80:81], s[0:1]
	s_mul_hi_u32 s85, s0, s83
	s_mul_i32 s84, s0, s83
	s_mul_hi_u32 s2, s0, s82
	s_mul_i32 s86, s1, s82
	s_wait_alu 0xfffe
	s_add_nc_u64 s[84:85], s[2:3], s[84:85]
	s_mul_hi_u32 s75, s1, s82
	s_mul_hi_u32 s87, s1, s83
	s_add_co_u32 s2, s84, s86
	s_wait_alu 0xfffe
	s_add_co_ci_u32 s2, s85, s75
	s_mul_i32 s82, s1, s83
	s_add_co_ci_u32 s83, s87, 0
	s_wait_alu 0xfffe
	s_add_nc_u64 s[82:83], s[2:3], s[82:83]
	s_delay_alu instid0(SALU_CYCLE_1)
	s_add_co_u32 s0, s0, s82
	s_cselect_b32 s2, -1, 0
	s_wait_alu 0xfffe
	s_cmp_lg_u32 s2, 0
	s_add_co_ci_u32 s1, s1, s83
	s_wait_alu 0xfffe
	s_mul_u64 s[80:81], s[80:81], s[0:1]
	s_delay_alu instid0(SALU_CYCLE_1)
	s_mul_hi_u32 s83, s0, s81
	s_mul_i32 s82, s0, s81
	s_mul_hi_u32 s2, s0, s80
	s_mul_i32 s84, s1, s80
	s_wait_alu 0xfffe
	s_add_nc_u64 s[82:83], s[2:3], s[82:83]
	s_mul_hi_u32 s75, s1, s80
	s_mul_hi_u32 s85, s1, s81
	s_add_co_u32 s2, s82, s84
	s_wait_alu 0xfffe
	s_add_co_ci_u32 s2, s83, s75
	s_mul_i32 s80, s1, s81
	s_add_co_ci_u32 s81, s85, 0
	s_wait_alu 0xfffe
	s_add_nc_u64 s[80:81], s[2:3], s[80:81]
	s_delay_alu instid0(SALU_CYCLE_1)
	s_add_co_u32 s0, s0, s80
	s_cselect_b32 s2, -1, 0
	s_wait_alu 0xfffe
	v_mul_hi_u32 v37, v2, s0
	s_cmp_lg_u32 s2, 0
	v_mad_co_u64_u32 v[28:29], null, v36, s0, 0
	s_add_co_ci_u32 s1, s1, s81
	s_wait_alu 0xfffe
	v_mad_co_u64_u32 v[25:26], null, v2, s1, 0
	v_mad_co_u64_u32 v[31:32], null, v36, s1, 0
	s_delay_alu instid0(VALU_DEP_2) | instskip(SKIP_1) | instid1(VALU_DEP_3)
	v_add_co_u32 v25, vcc_lo, v37, v25
	s_wait_alu 0xfffd
	v_add_co_ci_u32_e64 v26, null, 0, v26, vcc_lo
	s_delay_alu instid0(VALU_DEP_2) | instskip(SKIP_1) | instid1(VALU_DEP_2)
	v_add_co_u32 v25, vcc_lo, v25, v28
	s_wait_alu 0xfffd
	v_add_co_ci_u32_e32 v25, vcc_lo, v26, v29, vcc_lo
	s_wait_alu 0xfffd
	v_add_co_ci_u32_e32 v26, vcc_lo, 0, v32, vcc_lo
	s_delay_alu instid0(VALU_DEP_2) | instskip(SKIP_1) | instid1(VALU_DEP_2)
	v_add_co_u32 v28, vcc_lo, v25, v31
	s_wait_alu 0xfffd
	v_add_co_ci_u32_e64 v29, null, 0, v26, vcc_lo
	s_delay_alu instid0(VALU_DEP_2) | instskip(SKIP_1) | instid1(VALU_DEP_3)
	v_mul_lo_u32 v31, s77, v28
	v_mad_co_u64_u32 v[25:26], null, s76, v28, 0
	v_mul_lo_u32 v32, s76, v29
	s_delay_alu instid0(VALU_DEP_2) | instskip(NEXT) | instid1(VALU_DEP_2)
	v_sub_co_u32 v2, vcc_lo, v2, v25
	v_add3_u32 v26, v26, v32, v31
	s_delay_alu instid0(VALU_DEP_2) | instskip(NEXT) | instid1(VALU_DEP_2)
	v_cmp_le_u32_e64 s1, s76, v2
	v_sub_nc_u32_e32 v31, v36, v26
	s_wait_alu 0xfffd
	v_sub_co_ci_u32_e64 v26, null, v36, v26, vcc_lo
	s_wait_alu 0xf1ff
	v_cndmask_b32_e64 v32, 0, -1, s1
	v_subrev_co_ci_u32_e64 v25, null, s77, v31, vcc_lo
	v_sub_co_u32 v31, s0, v2, s76
	v_cmp_le_u32_e64 s2, s77, v26
	s_wait_alu 0xf1ff
	s_delay_alu instid0(VALU_DEP_3) | instskip(NEXT) | instid1(VALU_DEP_3)
	v_subrev_co_ci_u32_e64 v25, null, 0, v25, s0
	v_cmp_le_u32_e32 vcc_lo, s76, v31
	v_cmp_eq_u32_e64 s1, s77, v26
	v_cndmask_b32_e64 v26, 0, -1, s2
	s_delay_alu instid0(VALU_DEP_4)
	v_cmp_le_u32_e64 s0, s77, v25
	s_wait_alu 0xfffd
	v_cndmask_b32_e64 v2, 0, -1, vcc_lo
	v_cmp_eq_u32_e32 vcc_lo, s77, v25
	s_wait_alu 0xf1ff
	v_cndmask_b32_e64 v26, v26, v32, s1
	v_cndmask_b32_e64 v25, 0, -1, s0
	v_add_co_u32 v31, s0, v28, 2
	s_wait_alu 0xfffd
	s_delay_alu instid0(VALU_DEP_2) | instskip(SKIP_3) | instid1(VALU_DEP_3)
	v_cndmask_b32_e32 v2, v25, v2, vcc_lo
	s_wait_alu 0xf1ff
	v_add_co_ci_u32_e64 v25, null, 0, v29, s0
	v_add_co_u32 v36, vcc_lo, v28, 1
	v_cmp_ne_u32_e64 s0, 0, v2
	s_wait_alu 0xfffd
	v_add_co_ci_u32_e64 v2, null, 0, v29, vcc_lo
	v_cmp_ne_u32_e32 vcc_lo, 0, v26
	s_wait_alu 0xf1ff
	v_cndmask_b32_e64 v26, v36, v31, s0
	s_delay_alu instid0(VALU_DEP_3) | instskip(SKIP_1) | instid1(VALU_DEP_2)
	v_cndmask_b32_e64 v2, v2, v25, s0
                                        ; implicit-def: $vgpr31
	s_wait_alu 0xfffd
	v_cndmask_b32_e32 v25, v28, v26, vcc_lo
	s_delay_alu instid0(VALU_DEP_2) | instskip(NEXT) | instid1(VALU_DEP_2)
	v_cndmask_b32_e32 v2, v29, v2, vcc_lo
	v_xor_b32_e32 v25, v25, v27
	s_delay_alu instid0(VALU_DEP_2) | instskip(NEXT) | instid1(VALU_DEP_2)
	v_xor_b32_e32 v2, v2, v27
	v_sub_co_u32 v25, vcc_lo, v25, v27
	s_wait_alu 0xfffd
	s_delay_alu instid0(VALU_DEP_2)
	v_sub_co_ci_u32_e64 v26, null, v2, v27, vcc_lo
.LBB19_34:                              ;   in Loop: Header=BB19_4 Depth=1
	s_and_not1_saveexec_b32 s0, s79
	s_cbranch_execz .LBB19_36
; %bb.35:                               ;   in Loop: Header=BB19_4 Depth=1
	v_rcp_iflag_f32_e32 v2, v35
	s_sub_co_i32 s1, 0, s54
	s_delay_alu instid0(TRANS32_DEP_1) | instskip(NEXT) | instid1(VALU_DEP_1)
	v_mul_f32_e32 v2, 0x4f7ffffe, v2
	v_cvt_u32_f32_e32 v2, v2
	s_wait_alu 0xfffe
	s_delay_alu instid0(VALU_DEP_1) | instskip(NEXT) | instid1(VALU_DEP_1)
	v_mul_lo_u32 v25, s1, v2
	v_mul_hi_u32 v25, v2, v25
	s_delay_alu instid0(VALU_DEP_1) | instskip(NEXT) | instid1(VALU_DEP_1)
	v_add_nc_u32_e32 v2, v2, v25
	v_mul_hi_u32 v2, v31, v2
	s_delay_alu instid0(VALU_DEP_1) | instskip(SKIP_1) | instid1(VALU_DEP_2)
	v_mul_lo_u32 v25, v2, s54
	v_add_nc_u32_e32 v26, 1, v2
	v_sub_nc_u32_e32 v25, v31, v25
	s_delay_alu instid0(VALU_DEP_1) | instskip(SKIP_2) | instid1(VALU_DEP_1)
	v_cmp_le_u32_e32 vcc_lo, s54, v25
	v_subrev_nc_u32_e32 v27, s54, v25
	s_wait_alu 0xfffd
	v_dual_cndmask_b32 v2, v2, v26 :: v_dual_cndmask_b32 v25, v25, v27
	s_delay_alu instid0(VALU_DEP_1) | instskip(NEXT) | instid1(VALU_DEP_2)
	v_add_nc_u32_e32 v26, 1, v2
	v_cmp_le_u32_e32 vcc_lo, s54, v25
	s_wait_alu 0xfffd
	s_delay_alu instid0(VALU_DEP_2)
	v_dual_cndmask_b32 v25, v2, v26 :: v_dual_mov_b32 v26, v1
.LBB19_36:                              ;   in Loop: Header=BB19_4 Depth=1
	s_wait_alu 0xfffe
	s_or_b32 exec_lo, exec_lo, s0
	v_or_b32_e32 v2, s55, v34
                                        ; implicit-def: $vgpr27_vgpr28
	s_mov_b32 s0, exec_lo
	s_delay_alu instid0(VALU_DEP_1)
	v_cmpx_ne_u64_e32 0, v[1:2]
	s_wait_alu 0xfffe
	s_xor_b32 s79, exec_lo, s0
	s_cbranch_execz .LBB19_38
; %bb.37:                               ;   in Loop: Header=BB19_4 Depth=1
	s_ashr_i32 s74, s55, 31
	v_add_co_u32 v2, vcc_lo, v33, v30
	s_wait_alu 0xfffe
	s_mov_b32 s75, s74
	s_wait_alu 0xfffd
	v_add_co_ci_u32_e64 v27, null, v34, v30, vcc_lo
	s_wait_alu 0xfffe
	s_add_nc_u64 s[0:1], s[54:55], s[74:75]
	v_xor_b32_e32 v2, v2, v30
	s_wait_alu 0xfffe
	s_xor_b64 s[76:77], s[0:1], s[74:75]
	v_xor_b32_e32 v29, v27, v30
	s_wait_alu 0xfffe
	s_cvt_f32_u32 s0, s76
	s_cvt_f32_u32 s1, s77
	s_sub_nc_u64 s[80:81], 0, s[76:77]
	s_wait_alu 0xfffe
	s_delay_alu instid0(SALU_CYCLE_1) | instskip(SKIP_1) | instid1(SALU_CYCLE_2)
	s_fmamk_f32 s0, s1, 0x4f800000, s0
	s_wait_alu 0xfffe
	v_s_rcp_f32 s0, s0
	s_delay_alu instid0(TRANS32_DEP_1) | instskip(SKIP_1) | instid1(SALU_CYCLE_2)
	s_mul_f32 s0, s0, 0x5f7ffffc
	s_wait_alu 0xfffe
	s_mul_f32 s1, s0, 0x2f800000
	s_wait_alu 0xfffe
	s_delay_alu instid0(SALU_CYCLE_2) | instskip(SKIP_1) | instid1(SALU_CYCLE_2)
	s_trunc_f32 s1, s1
	s_wait_alu 0xfffe
	s_fmamk_f32 s0, s1, 0xcf800000, s0
	s_cvt_u32_f32 s1, s1
	s_wait_alu 0xfffe
	s_delay_alu instid0(SALU_CYCLE_1) | instskip(SKIP_1) | instid1(SALU_CYCLE_2)
	s_cvt_u32_f32 s0, s0
	s_wait_alu 0xfffe
	s_mul_u64 s[82:83], s[80:81], s[0:1]
	s_delay_alu instid0(SALU_CYCLE_1)
	s_mul_hi_u32 s85, s0, s83
	s_mul_i32 s84, s0, s83
	s_mul_hi_u32 s2, s0, s82
	s_mul_i32 s86, s1, s82
	s_wait_alu 0xfffe
	s_add_nc_u64 s[84:85], s[2:3], s[84:85]
	s_mul_hi_u32 s75, s1, s82
	s_mul_hi_u32 s87, s1, s83
	s_add_co_u32 s2, s84, s86
	s_wait_alu 0xfffe
	s_add_co_ci_u32 s2, s85, s75
	s_mul_i32 s82, s1, s83
	s_add_co_ci_u32 s83, s87, 0
	s_wait_alu 0xfffe
	s_add_nc_u64 s[82:83], s[2:3], s[82:83]
	s_delay_alu instid0(SALU_CYCLE_1)
	s_add_co_u32 s0, s0, s82
	s_cselect_b32 s2, -1, 0
	s_wait_alu 0xfffe
	s_cmp_lg_u32 s2, 0
	s_add_co_ci_u32 s1, s1, s83
	s_wait_alu 0xfffe
	s_mul_u64 s[80:81], s[80:81], s[0:1]
	s_delay_alu instid0(SALU_CYCLE_1)
	s_mul_hi_u32 s83, s0, s81
	s_mul_i32 s82, s0, s81
	s_mul_hi_u32 s2, s0, s80
	s_mul_i32 s84, s1, s80
	s_wait_alu 0xfffe
	s_add_nc_u64 s[82:83], s[2:3], s[82:83]
	s_mul_hi_u32 s75, s1, s80
	s_mul_hi_u32 s85, s1, s81
	s_add_co_u32 s2, s82, s84
	s_wait_alu 0xfffe
	s_add_co_ci_u32 s2, s83, s75
	s_mul_i32 s80, s1, s81
	s_add_co_ci_u32 s81, s85, 0
	s_wait_alu 0xfffe
	s_add_nc_u64 s[80:81], s[2:3], s[80:81]
	s_delay_alu instid0(SALU_CYCLE_1)
	s_add_co_u32 s0, s0, s80
	s_cselect_b32 s2, -1, 0
	s_wait_alu 0xfffe
	v_mul_hi_u32 v35, v2, s0
	s_cmp_lg_u32 s2, 0
	v_mad_co_u64_u32 v[31:32], null, v29, s0, 0
	s_add_co_ci_u32 s1, s1, s81
	s_wait_alu 0xfffe
	v_mad_co_u64_u32 v[27:28], null, v2, s1, 0
	v_mad_co_u64_u32 v[33:34], null, v29, s1, 0
	s_delay_alu instid0(VALU_DEP_2) | instskip(SKIP_1) | instid1(VALU_DEP_3)
	v_add_co_u32 v27, vcc_lo, v35, v27
	s_wait_alu 0xfffd
	v_add_co_ci_u32_e64 v28, null, 0, v28, vcc_lo
                                        ; implicit-def: $vgpr35
	s_delay_alu instid0(VALU_DEP_2) | instskip(SKIP_1) | instid1(VALU_DEP_2)
	v_add_co_u32 v27, vcc_lo, v27, v31
	s_wait_alu 0xfffd
	v_add_co_ci_u32_e32 v27, vcc_lo, v28, v32, vcc_lo
	s_wait_alu 0xfffd
	v_add_co_ci_u32_e32 v28, vcc_lo, 0, v34, vcc_lo
	s_delay_alu instid0(VALU_DEP_2) | instskip(SKIP_1) | instid1(VALU_DEP_2)
	v_add_co_u32 v31, vcc_lo, v27, v33
	s_wait_alu 0xfffd
	v_add_co_ci_u32_e64 v32, null, 0, v28, vcc_lo
	s_delay_alu instid0(VALU_DEP_2) | instskip(SKIP_1) | instid1(VALU_DEP_3)
	v_mul_lo_u32 v33, s77, v31
	v_mad_co_u64_u32 v[27:28], null, s76, v31, 0
	v_mul_lo_u32 v34, s76, v32
	s_delay_alu instid0(VALU_DEP_2) | instskip(NEXT) | instid1(VALU_DEP_2)
	v_sub_co_u32 v2, vcc_lo, v2, v27
	v_add3_u32 v28, v28, v34, v33
	s_delay_alu instid0(VALU_DEP_2) | instskip(NEXT) | instid1(VALU_DEP_2)
	v_cmp_le_u32_e64 s1, s76, v2
	v_sub_nc_u32_e32 v33, v29, v28
	s_wait_alu 0xfffd
	v_sub_co_ci_u32_e64 v28, null, v29, v28, vcc_lo
	s_delay_alu instid0(VALU_DEP_2) | instskip(SKIP_1) | instid1(VALU_DEP_3)
	v_subrev_co_ci_u32_e64 v27, null, s77, v33, vcc_lo
	v_sub_co_u32 v33, s0, v2, s76
	v_cmp_le_u32_e64 s2, s77, v28
	s_wait_alu 0xf1ff
	s_delay_alu instid0(VALU_DEP_3) | instskip(NEXT) | instid1(VALU_DEP_3)
	v_subrev_co_ci_u32_e64 v27, null, 0, v27, s0
	v_cmp_le_u32_e32 vcc_lo, s76, v33
	v_cndmask_b32_e64 v33, 0, -1, s1
	v_cmp_eq_u32_e64 s1, s77, v28
	s_delay_alu instid0(VALU_DEP_4)
	v_cmp_le_u32_e64 s0, s77, v27
	v_cndmask_b32_e64 v28, 0, -1, s2
	s_wait_alu 0xfffd
	v_cndmask_b32_e64 v2, 0, -1, vcc_lo
	v_cmp_eq_u32_e32 vcc_lo, s77, v27
	s_wait_alu 0xf1ff
	v_cndmask_b32_e64 v27, 0, -1, s0
	v_add_co_u32 v29, s0, v31, 2
	v_cndmask_b32_e64 v28, v28, v33, s1
                                        ; implicit-def: $vgpr33
	s_wait_alu 0xfffd
	s_delay_alu instid0(VALU_DEP_3) | instskip(SKIP_3) | instid1(VALU_DEP_3)
	v_cndmask_b32_e32 v2, v27, v2, vcc_lo
	s_wait_alu 0xf1ff
	v_add_co_ci_u32_e64 v27, null, 0, v32, s0
	v_add_co_u32 v34, vcc_lo, v31, 1
	v_cmp_ne_u32_e64 s0, 0, v2
	s_wait_alu 0xfffd
	v_add_co_ci_u32_e64 v2, null, 0, v32, vcc_lo
	v_cmp_ne_u32_e32 vcc_lo, 0, v28
	s_wait_alu 0xf1ff
	v_cndmask_b32_e64 v28, v34, v29, s0
	s_delay_alu instid0(VALU_DEP_3) | instskip(SKIP_2) | instid1(VALU_DEP_2)
	v_cndmask_b32_e64 v2, v2, v27, s0
	v_xor_b32_e32 v29, s74, v30
	s_wait_alu 0xfffd
	v_dual_cndmask_b32 v27, v31, v28 :: v_dual_cndmask_b32 v2, v32, v2
	s_delay_alu instid0(VALU_DEP_1) | instskip(NEXT) | instid1(VALU_DEP_2)
	v_xor_b32_e32 v27, v27, v29
	v_xor_b32_e32 v2, v2, v29
	s_delay_alu instid0(VALU_DEP_2) | instskip(SKIP_1) | instid1(VALU_DEP_2)
	v_sub_co_u32 v27, vcc_lo, v27, v29
	s_wait_alu 0xfffd
	v_sub_co_ci_u32_e64 v28, null, v2, v29, vcc_lo
.LBB19_38:                              ;   in Loop: Header=BB19_4 Depth=1
	s_and_not1_saveexec_b32 s0, s79
	s_cbranch_execz .LBB19_40
; %bb.39:                               ;   in Loop: Header=BB19_4 Depth=1
	v_rcp_iflag_f32_e32 v2, v35
	s_sub_co_i32 s1, 0, s54
	s_delay_alu instid0(TRANS32_DEP_1) | instskip(NEXT) | instid1(VALU_DEP_1)
	v_mul_f32_e32 v2, 0x4f7ffffe, v2
	v_cvt_u32_f32_e32 v2, v2
	s_wait_alu 0xfffe
	s_delay_alu instid0(VALU_DEP_1) | instskip(NEXT) | instid1(VALU_DEP_1)
	v_mul_lo_u32 v27, s1, v2
	v_mul_hi_u32 v27, v2, v27
	s_delay_alu instid0(VALU_DEP_1) | instskip(NEXT) | instid1(VALU_DEP_1)
	v_add_nc_u32_e32 v2, v2, v27
	v_mul_hi_u32 v2, v33, v2
	s_delay_alu instid0(VALU_DEP_1) | instskip(SKIP_1) | instid1(VALU_DEP_2)
	v_mul_lo_u32 v27, v2, s54
	v_add_nc_u32_e32 v28, 1, v2
	v_sub_nc_u32_e32 v27, v33, v27
	s_delay_alu instid0(VALU_DEP_1) | instskip(SKIP_2) | instid1(VALU_DEP_1)
	v_cmp_le_u32_e32 vcc_lo, s54, v27
	v_subrev_nc_u32_e32 v29, s54, v27
	s_wait_alu 0xfffd
	v_dual_cndmask_b32 v2, v2, v28 :: v_dual_cndmask_b32 v27, v27, v29
	s_delay_alu instid0(VALU_DEP_1) | instskip(NEXT) | instid1(VALU_DEP_2)
	v_add_nc_u32_e32 v28, 1, v2
	v_cmp_le_u32_e32 vcc_lo, s54, v27
	s_wait_alu 0xfffd
	s_delay_alu instid0(VALU_DEP_2)
	v_dual_cndmask_b32 v27, v2, v28 :: v_dual_mov_b32 v28, v1
.LBB19_40:                              ;   in Loop: Header=BB19_4 Depth=1
	s_wait_alu 0xfffe
	s_or_b32 exec_lo, exec_lo, s0
	v_or_b32_e32 v2, s51, v4
                                        ; implicit-def: $vgpr29_vgpr30
	s_mov_b32 s0, exec_lo
	s_delay_alu instid0(VALU_DEP_1)
	v_cmpx_ne_u64_e32 0, v[1:2]
	s_wait_alu 0xfffe
	s_xor_b32 s79, exec_lo, s0
	s_cbranch_execz .LBB19_42
; %bb.41:                               ;   in Loop: Header=BB19_4 Depth=1
	s_ashr_i32 s74, s51, 31
	v_ashrrev_i32_e32 v2, 31, v4
	s_wait_alu 0xfffe
	s_mov_b32 s75, s74
	s_wait_alu 0xfffe
	s_add_nc_u64 s[0:1], s[50:51], s[74:75]
	v_add_co_u32 v29, vcc_lo, v3, v2
	s_wait_alu 0xfffe
	s_xor_b64 s[76:77], s[0:1], s[74:75]
	s_wait_alu 0xfffd
	v_add_co_ci_u32_e64 v30, null, v4, v2, vcc_lo
	s_wait_alu 0xfffe
	s_cvt_f32_u32 s0, s76
	s_cvt_f32_u32 s1, s77
	s_sub_nc_u64 s[80:81], 0, s[76:77]
	v_xor_b32_e32 v35, v29, v2
	v_xor_b32_e32 v36, v30, v2
	s_wait_alu 0xfffe
	s_fmamk_f32 s0, s1, 0x4f800000, s0
	v_xor_b32_e32 v2, s74, v2
	s_wait_alu 0xfffe
	s_delay_alu instid0(SALU_CYCLE_1) | instskip(NEXT) | instid1(TRANS32_DEP_1)
	v_s_rcp_f32 s0, s0
	s_mul_f32 s0, s0, 0x5f7ffffc
	s_wait_alu 0xfffe
	s_delay_alu instid0(SALU_CYCLE_2) | instskip(SKIP_1) | instid1(SALU_CYCLE_2)
	s_mul_f32 s1, s0, 0x2f800000
	s_wait_alu 0xfffe
	s_trunc_f32 s1, s1
	s_wait_alu 0xfffe
	s_delay_alu instid0(SALU_CYCLE_2) | instskip(SKIP_2) | instid1(SALU_CYCLE_1)
	s_fmamk_f32 s0, s1, 0xcf800000, s0
	s_cvt_u32_f32 s1, s1
	s_wait_alu 0xfffe
	s_cvt_u32_f32 s0, s0
	s_wait_alu 0xfffe
	s_delay_alu instid0(SALU_CYCLE_2) | instskip(NEXT) | instid1(SALU_CYCLE_1)
	s_mul_u64 s[82:83], s[80:81], s[0:1]
	s_mul_hi_u32 s85, s0, s83
	s_mul_i32 s84, s0, s83
	s_mul_hi_u32 s2, s0, s82
	s_mul_i32 s86, s1, s82
	s_wait_alu 0xfffe
	s_add_nc_u64 s[84:85], s[2:3], s[84:85]
	s_mul_hi_u32 s75, s1, s82
	s_mul_hi_u32 s87, s1, s83
	s_add_co_u32 s2, s84, s86
	s_wait_alu 0xfffe
	s_add_co_ci_u32 s2, s85, s75
	s_mul_i32 s82, s1, s83
	s_add_co_ci_u32 s83, s87, 0
	s_wait_alu 0xfffe
	s_add_nc_u64 s[82:83], s[2:3], s[82:83]
	s_delay_alu instid0(SALU_CYCLE_1)
	s_add_co_u32 s0, s0, s82
	s_cselect_b32 s2, -1, 0
	s_wait_alu 0xfffe
	s_cmp_lg_u32 s2, 0
	s_add_co_ci_u32 s1, s1, s83
	s_wait_alu 0xfffe
	s_mul_u64 s[80:81], s[80:81], s[0:1]
	s_delay_alu instid0(SALU_CYCLE_1)
	s_mul_hi_u32 s83, s0, s81
	s_mul_i32 s82, s0, s81
	s_mul_hi_u32 s2, s0, s80
	s_mul_i32 s84, s1, s80
	s_wait_alu 0xfffe
	s_add_nc_u64 s[82:83], s[2:3], s[82:83]
	s_mul_hi_u32 s75, s1, s80
	s_mul_hi_u32 s85, s1, s81
	s_add_co_u32 s2, s82, s84
	s_wait_alu 0xfffe
	s_add_co_ci_u32 s2, s83, s75
	s_mul_i32 s80, s1, s81
	s_add_co_ci_u32 s81, s85, 0
	s_wait_alu 0xfffe
	s_add_nc_u64 s[80:81], s[2:3], s[80:81]
	s_delay_alu instid0(SALU_CYCLE_1)
	s_add_co_u32 s0, s0, s80
	s_cselect_b32 s2, -1, 0
	s_wait_alu 0xfffe
	v_mul_hi_u32 v37, v35, s0
	s_cmp_lg_u32 s2, 0
	v_mad_co_u64_u32 v[31:32], null, v36, s0, 0
	s_add_co_ci_u32 s1, s1, s81
	s_wait_alu 0xfffe
	v_mad_co_u64_u32 v[29:30], null, v35, s1, 0
	v_mad_co_u64_u32 v[33:34], null, v36, s1, 0
	s_delay_alu instid0(VALU_DEP_2) | instskip(SKIP_1) | instid1(VALU_DEP_3)
	v_add_co_u32 v29, vcc_lo, v37, v29
	s_wait_alu 0xfffd
	v_add_co_ci_u32_e64 v30, null, 0, v30, vcc_lo
	s_delay_alu instid0(VALU_DEP_2) | instskip(SKIP_1) | instid1(VALU_DEP_2)
	v_add_co_u32 v29, vcc_lo, v29, v31
	s_wait_alu 0xfffd
	v_add_co_ci_u32_e32 v29, vcc_lo, v30, v32, vcc_lo
	s_wait_alu 0xfffd
	v_add_co_ci_u32_e32 v30, vcc_lo, 0, v34, vcc_lo
	s_delay_alu instid0(VALU_DEP_2) | instskip(SKIP_1) | instid1(VALU_DEP_2)
	v_add_co_u32 v31, vcc_lo, v29, v33
	s_wait_alu 0xfffd
	v_add_co_ci_u32_e64 v32, null, 0, v30, vcc_lo
	s_delay_alu instid0(VALU_DEP_2) | instskip(SKIP_1) | instid1(VALU_DEP_3)
	v_mul_lo_u32 v33, s77, v31
	v_mad_co_u64_u32 v[29:30], null, s76, v31, 0
	v_mul_lo_u32 v34, s76, v32
	s_delay_alu instid0(VALU_DEP_2) | instskip(NEXT) | instid1(VALU_DEP_2)
	v_sub_co_u32 v29, vcc_lo, v35, v29
	v_add3_u32 v30, v30, v34, v33
	s_delay_alu instid0(VALU_DEP_2) | instskip(NEXT) | instid1(VALU_DEP_2)
	v_sub_co_u32 v34, s0, v29, s76
	v_sub_nc_u32_e32 v33, v36, v30
	s_wait_alu 0xfffd
	v_sub_co_ci_u32_e64 v30, null, v36, v30, vcc_lo
	v_cmp_le_u32_e64 s1, s76, v29
	s_delay_alu instid0(VALU_DEP_3) | instskip(SKIP_1) | instid1(VALU_DEP_4)
	v_subrev_co_ci_u32_e64 v33, null, s77, v33, vcc_lo
	v_cmp_le_u32_e32 vcc_lo, s76, v34
	v_cmp_le_u32_e64 s2, s77, v30
	s_wait_alu 0xf1ff
	v_cndmask_b32_e64 v35, 0, -1, s1
	v_subrev_co_ci_u32_e64 v33, null, 0, v33, s0
	s_wait_alu 0xfffd
	v_cndmask_b32_e64 v29, 0, -1, vcc_lo
	v_cmp_eq_u32_e64 s1, s77, v30
	v_cndmask_b32_e64 v30, 0, -1, s2
	v_cmp_le_u32_e64 s0, s77, v33
	v_cmp_eq_u32_e32 vcc_lo, s77, v33
	s_wait_alu 0xf1ff
	s_delay_alu instid0(VALU_DEP_3) | instskip(NEXT) | instid1(VALU_DEP_3)
	v_cndmask_b32_e64 v30, v30, v35, s1
	v_cndmask_b32_e64 v33, 0, -1, s0
	v_add_co_u32 v34, s0, v31, 2
	s_wait_alu 0xfffd
	s_delay_alu instid0(VALU_DEP_2) | instskip(SKIP_3) | instid1(VALU_DEP_3)
	v_cndmask_b32_e32 v29, v33, v29, vcc_lo
	s_wait_alu 0xf1ff
	v_add_co_ci_u32_e64 v33, null, 0, v32, s0
	v_add_co_u32 v36, vcc_lo, v31, 1
	v_cmp_ne_u32_e64 s0, 0, v29
	s_wait_alu 0xfffd
	v_add_co_ci_u32_e64 v29, null, 0, v32, vcc_lo
	v_cmp_ne_u32_e32 vcc_lo, 0, v30
	s_wait_alu 0xf1ff
	v_cndmask_b32_e64 v30, v36, v34, s0
	s_delay_alu instid0(VALU_DEP_3) | instskip(SKIP_1) | instid1(VALU_DEP_1)
	v_cndmask_b32_e64 v29, v29, v33, s0
	s_wait_alu 0xfffd
	v_dual_cndmask_b32 v30, v31, v30 :: v_dual_cndmask_b32 v29, v32, v29
	s_delay_alu instid0(VALU_DEP_1) | instskip(NEXT) | instid1(VALU_DEP_2)
	v_xor_b32_e32 v30, v30, v2
	v_xor_b32_e32 v31, v29, v2
	s_delay_alu instid0(VALU_DEP_2) | instskip(SKIP_1) | instid1(VALU_DEP_2)
	v_sub_co_u32 v29, vcc_lo, v30, v2
	s_wait_alu 0xfffd
	v_sub_co_ci_u32_e64 v30, null, v31, v2, vcc_lo
.LBB19_42:                              ;   in Loop: Header=BB19_4 Depth=1
	s_and_not1_saveexec_b32 s0, s79
	s_cbranch_execz .LBB19_44
; %bb.43:                               ;   in Loop: Header=BB19_4 Depth=1
	v_cvt_f32_u32_e32 v2, s50
	s_sub_co_i32 s1, 0, s50
	s_delay_alu instid0(VALU_DEP_1) | instskip(NEXT) | instid1(TRANS32_DEP_1)
	v_rcp_iflag_f32_e32 v2, v2
	v_mul_f32_e32 v2, 0x4f7ffffe, v2
	s_delay_alu instid0(VALU_DEP_1) | instskip(SKIP_1) | instid1(VALU_DEP_1)
	v_cvt_u32_f32_e32 v2, v2
	s_wait_alu 0xfffe
	v_mul_lo_u32 v29, s1, v2
	s_delay_alu instid0(VALU_DEP_1) | instskip(NEXT) | instid1(VALU_DEP_1)
	v_mul_hi_u32 v29, v2, v29
	v_add_nc_u32_e32 v2, v2, v29
	s_delay_alu instid0(VALU_DEP_1) | instskip(NEXT) | instid1(VALU_DEP_1)
	v_mul_hi_u32 v2, v3, v2
	v_mul_lo_u32 v29, v2, s50
	v_add_nc_u32_e32 v30, 1, v2
	s_delay_alu instid0(VALU_DEP_2) | instskip(NEXT) | instid1(VALU_DEP_1)
	v_sub_nc_u32_e32 v29, v3, v29
	v_cmp_le_u32_e32 vcc_lo, s50, v29
	v_subrev_nc_u32_e32 v31, s50, v29
	s_wait_alu 0xfffd
	s_delay_alu instid0(VALU_DEP_1) | instskip(NEXT) | instid1(VALU_DEP_1)
	v_dual_cndmask_b32 v2, v2, v30 :: v_dual_cndmask_b32 v29, v29, v31
	v_add_nc_u32_e32 v30, 1, v2
	s_delay_alu instid0(VALU_DEP_2) | instskip(SKIP_1) | instid1(VALU_DEP_2)
	v_cmp_le_u32_e32 vcc_lo, s50, v29
	s_wait_alu 0xfffd
	v_dual_cndmask_b32 v29, v2, v30 :: v_dual_mov_b32 v30, v1
.LBB19_44:                              ;   in Loop: Header=BB19_4 Depth=1
	s_wait_alu 0xfffe
	s_or_b32 exec_lo, exec_lo, s0
	s_delay_alu instid0(VALU_DEP_1) | instskip(NEXT) | instid1(VALU_DEP_2)
	v_mad_co_u64_u32 v[31:32], null, s68, v29, v[3:4]
	v_mul_lo_u32 v2, s68, v30
	v_mul_lo_u32 v33, s69, v29
	v_mul_lo_u32 v34, v30, s20
	v_mul_lo_u32 v35, v29, s21
	v_mad_co_u64_u32 v[29:30], null, v29, s20, 0
	s_mov_b32 s0, exec_lo
	v_add3_u32 v2, v33, v32, v2
	v_mul_lo_u32 v33, v31, s23
	v_mad_co_u64_u32 v[31:32], null, v31, s22, 0
	v_add3_u32 v30, v30, v35, v34
	s_delay_alu instid0(VALU_DEP_4) | instskip(NEXT) | instid1(VALU_DEP_2)
	v_mul_lo_u32 v2, v2, s22
	v_lshlrev_b64_e32 v[29:30], 3, v[29:30]
	s_delay_alu instid0(VALU_DEP_2) | instskip(NEXT) | instid1(VALU_DEP_2)
	v_add3_u32 v32, v32, v33, v2
	v_add_co_u32 v2, vcc_lo, s48, v29
	s_wait_alu 0xfffd
	s_delay_alu instid0(VALU_DEP_3) | instskip(NEXT) | instid1(VALU_DEP_3)
	v_add_co_ci_u32_e64 v30, null, s49, v30, vcc_lo
	v_lshlrev_b64_e32 v[31:32], 3, v[31:32]
	s_delay_alu instid0(VALU_DEP_1) | instskip(SKIP_1) | instid1(VALU_DEP_2)
	v_add_co_u32 v29, vcc_lo, v2, v31
	s_wait_alu 0xfffd
	v_add_co_ci_u32_e64 v30, null, v30, v32, vcc_lo
	v_or_b32_e32 v2, s53, v4
                                        ; implicit-def: $vgpr31_vgpr32
	global_load_b64 v[29:30], v[29:30], off
	v_cmpx_ne_u64_e32 0, v[1:2]
	s_wait_alu 0xfffe
	s_xor_b32 s79, exec_lo, s0
	s_cbranch_execz .LBB19_46
; %bb.45:                               ;   in Loop: Header=BB19_4 Depth=1
	s_ashr_i32 s74, s53, 31
	v_ashrrev_i32_e32 v2, 31, v4
	s_wait_alu 0xfffe
	s_mov_b32 s75, s74
	s_wait_alu 0xfffe
	s_add_nc_u64 s[0:1], s[52:53], s[74:75]
	v_add_co_u32 v31, vcc_lo, v3, v2
	s_wait_alu 0xfffe
	s_xor_b64 s[76:77], s[0:1], s[74:75]
	s_wait_alu 0xfffd
	v_add_co_ci_u32_e64 v32, null, v4, v2, vcc_lo
	s_wait_alu 0xfffe
	s_cvt_f32_u32 s0, s76
	s_cvt_f32_u32 s1, s77
	s_sub_nc_u64 s[80:81], 0, s[76:77]
	v_xor_b32_e32 v37, v31, v2
	v_xor_b32_e32 v38, v32, v2
	s_wait_alu 0xfffe
	s_fmamk_f32 s0, s1, 0x4f800000, s0
	v_xor_b32_e32 v2, s74, v2
	s_wait_alu 0xfffe
	s_delay_alu instid0(SALU_CYCLE_1) | instskip(NEXT) | instid1(TRANS32_DEP_1)
	v_s_rcp_f32 s0, s0
	s_mul_f32 s0, s0, 0x5f7ffffc
	s_wait_alu 0xfffe
	s_delay_alu instid0(SALU_CYCLE_2) | instskip(SKIP_1) | instid1(SALU_CYCLE_2)
	s_mul_f32 s1, s0, 0x2f800000
	s_wait_alu 0xfffe
	s_trunc_f32 s1, s1
	s_wait_alu 0xfffe
	s_delay_alu instid0(SALU_CYCLE_2) | instskip(SKIP_2) | instid1(SALU_CYCLE_1)
	s_fmamk_f32 s0, s1, 0xcf800000, s0
	s_cvt_u32_f32 s1, s1
	s_wait_alu 0xfffe
	s_cvt_u32_f32 s0, s0
	s_wait_alu 0xfffe
	s_delay_alu instid0(SALU_CYCLE_2) | instskip(NEXT) | instid1(SALU_CYCLE_1)
	s_mul_u64 s[82:83], s[80:81], s[0:1]
	s_mul_hi_u32 s85, s0, s83
	s_mul_i32 s84, s0, s83
	s_mul_hi_u32 s2, s0, s82
	s_mul_i32 s86, s1, s82
	s_wait_alu 0xfffe
	s_add_nc_u64 s[84:85], s[2:3], s[84:85]
	s_mul_hi_u32 s75, s1, s82
	s_mul_hi_u32 s87, s1, s83
	s_add_co_u32 s2, s84, s86
	s_wait_alu 0xfffe
	s_add_co_ci_u32 s2, s85, s75
	s_mul_i32 s82, s1, s83
	s_add_co_ci_u32 s83, s87, 0
	s_wait_alu 0xfffe
	s_add_nc_u64 s[82:83], s[2:3], s[82:83]
	s_delay_alu instid0(SALU_CYCLE_1)
	s_add_co_u32 s0, s0, s82
	s_cselect_b32 s2, -1, 0
	s_wait_alu 0xfffe
	s_cmp_lg_u32 s2, 0
	s_add_co_ci_u32 s1, s1, s83
	s_wait_alu 0xfffe
	s_mul_u64 s[80:81], s[80:81], s[0:1]
	s_delay_alu instid0(SALU_CYCLE_1)
	s_mul_hi_u32 s83, s0, s81
	s_mul_i32 s82, s0, s81
	s_mul_hi_u32 s2, s0, s80
	s_mul_i32 s84, s1, s80
	s_wait_alu 0xfffe
	s_add_nc_u64 s[82:83], s[2:3], s[82:83]
	s_mul_hi_u32 s75, s1, s80
	s_mul_hi_u32 s85, s1, s81
	s_add_co_u32 s2, s82, s84
	s_wait_alu 0xfffe
	s_add_co_ci_u32 s2, s83, s75
	s_mul_i32 s80, s1, s81
	s_add_co_ci_u32 s81, s85, 0
	s_wait_alu 0xfffe
	s_add_nc_u64 s[80:81], s[2:3], s[80:81]
	s_delay_alu instid0(SALU_CYCLE_1)
	s_add_co_u32 s0, s0, s80
	s_cselect_b32 s2, -1, 0
	s_wait_alu 0xfffe
	v_mul_hi_u32 v40, v37, s0
	s_cmp_lg_u32 s2, 0
	v_mad_co_u64_u32 v[33:34], null, v38, s0, 0
	s_add_co_ci_u32 s1, s1, s81
	s_wait_alu 0xfffe
	v_mad_co_u64_u32 v[31:32], null, v37, s1, 0
	v_mad_co_u64_u32 v[35:36], null, v38, s1, 0
	s_delay_alu instid0(VALU_DEP_2) | instskip(SKIP_1) | instid1(VALU_DEP_3)
	v_add_co_u32 v31, vcc_lo, v40, v31
	s_wait_alu 0xfffd
	v_add_co_ci_u32_e64 v32, null, 0, v32, vcc_lo
	s_delay_alu instid0(VALU_DEP_2) | instskip(SKIP_1) | instid1(VALU_DEP_2)
	v_add_co_u32 v31, vcc_lo, v31, v33
	s_wait_alu 0xfffd
	v_add_co_ci_u32_e32 v31, vcc_lo, v32, v34, vcc_lo
	s_wait_alu 0xfffd
	v_add_co_ci_u32_e32 v32, vcc_lo, 0, v36, vcc_lo
	s_delay_alu instid0(VALU_DEP_2) | instskip(SKIP_1) | instid1(VALU_DEP_2)
	v_add_co_u32 v33, vcc_lo, v31, v35
	s_wait_alu 0xfffd
	v_add_co_ci_u32_e64 v34, null, 0, v32, vcc_lo
	s_delay_alu instid0(VALU_DEP_2) | instskip(SKIP_1) | instid1(VALU_DEP_3)
	v_mul_lo_u32 v35, s77, v33
	v_mad_co_u64_u32 v[31:32], null, s76, v33, 0
	v_mul_lo_u32 v36, s76, v34
	s_delay_alu instid0(VALU_DEP_2) | instskip(NEXT) | instid1(VALU_DEP_2)
	v_sub_co_u32 v31, vcc_lo, v37, v31
	v_add3_u32 v32, v32, v36, v35
	s_delay_alu instid0(VALU_DEP_2) | instskip(NEXT) | instid1(VALU_DEP_2)
	v_sub_co_u32 v36, s0, v31, s76
	v_sub_nc_u32_e32 v35, v38, v32
	s_wait_alu 0xfffd
	v_sub_co_ci_u32_e64 v32, null, v38, v32, vcc_lo
	v_cmp_le_u32_e64 s1, s76, v31
	s_delay_alu instid0(VALU_DEP_3) | instskip(SKIP_1) | instid1(VALU_DEP_4)
	v_subrev_co_ci_u32_e64 v35, null, s77, v35, vcc_lo
	v_cmp_le_u32_e32 vcc_lo, s76, v36
	v_cmp_le_u32_e64 s2, s77, v32
	s_wait_alu 0xf1ff
	v_cndmask_b32_e64 v37, 0, -1, s1
	v_subrev_co_ci_u32_e64 v35, null, 0, v35, s0
	s_wait_alu 0xfffd
	v_cndmask_b32_e64 v31, 0, -1, vcc_lo
	v_cmp_eq_u32_e64 s1, s77, v32
	v_cndmask_b32_e64 v32, 0, -1, s2
	v_cmp_le_u32_e64 s0, s77, v35
	v_cmp_eq_u32_e32 vcc_lo, s77, v35
	s_wait_alu 0xf1ff
	s_delay_alu instid0(VALU_DEP_3) | instskip(NEXT) | instid1(VALU_DEP_3)
	v_cndmask_b32_e64 v32, v32, v37, s1
	v_cndmask_b32_e64 v35, 0, -1, s0
	v_add_co_u32 v36, s0, v33, 2
	s_wait_alu 0xfffd
	s_delay_alu instid0(VALU_DEP_2) | instskip(SKIP_3) | instid1(VALU_DEP_3)
	v_cndmask_b32_e32 v31, v35, v31, vcc_lo
	s_wait_alu 0xf1ff
	v_add_co_ci_u32_e64 v35, null, 0, v34, s0
	v_add_co_u32 v38, vcc_lo, v33, 1
	v_cmp_ne_u32_e64 s0, 0, v31
	s_wait_alu 0xfffd
	v_add_co_ci_u32_e64 v31, null, 0, v34, vcc_lo
	v_cmp_ne_u32_e32 vcc_lo, 0, v32
	s_wait_alu 0xf1ff
	v_cndmask_b32_e64 v32, v38, v36, s0
	s_delay_alu instid0(VALU_DEP_3) | instskip(SKIP_1) | instid1(VALU_DEP_1)
	v_cndmask_b32_e64 v31, v31, v35, s0
	s_wait_alu 0xfffd
	v_dual_cndmask_b32 v32, v33, v32 :: v_dual_cndmask_b32 v31, v34, v31
	s_delay_alu instid0(VALU_DEP_1) | instskip(NEXT) | instid1(VALU_DEP_2)
	v_xor_b32_e32 v32, v32, v2
	v_xor_b32_e32 v33, v31, v2
	s_delay_alu instid0(VALU_DEP_2) | instskip(SKIP_1) | instid1(VALU_DEP_2)
	v_sub_co_u32 v31, vcc_lo, v32, v2
	s_wait_alu 0xfffd
	v_sub_co_ci_u32_e64 v32, null, v33, v2, vcc_lo
.LBB19_46:                              ;   in Loop: Header=BB19_4 Depth=1
	s_and_not1_saveexec_b32 s0, s79
	s_cbranch_execz .LBB19_48
; %bb.47:                               ;   in Loop: Header=BB19_4 Depth=1
	v_cvt_f32_u32_e32 v2, s52
	s_sub_co_i32 s1, 0, s52
	s_delay_alu instid0(VALU_DEP_1) | instskip(NEXT) | instid1(TRANS32_DEP_1)
	v_rcp_iflag_f32_e32 v2, v2
	v_mul_f32_e32 v2, 0x4f7ffffe, v2
	s_delay_alu instid0(VALU_DEP_1) | instskip(SKIP_1) | instid1(VALU_DEP_1)
	v_cvt_u32_f32_e32 v2, v2
	s_wait_alu 0xfffe
	v_mul_lo_u32 v31, s1, v2
	s_delay_alu instid0(VALU_DEP_1) | instskip(NEXT) | instid1(VALU_DEP_1)
	v_mul_hi_u32 v31, v2, v31
	v_add_nc_u32_e32 v2, v2, v31
	s_delay_alu instid0(VALU_DEP_1) | instskip(NEXT) | instid1(VALU_DEP_1)
	v_mul_hi_u32 v2, v3, v2
	v_mul_lo_u32 v31, v2, s52
	v_add_nc_u32_e32 v32, 1, v2
	s_delay_alu instid0(VALU_DEP_2) | instskip(NEXT) | instid1(VALU_DEP_1)
	v_sub_nc_u32_e32 v31, v3, v31
	v_cmp_le_u32_e32 vcc_lo, s52, v31
	v_subrev_nc_u32_e32 v33, s52, v31
	s_wait_alu 0xfffd
	s_delay_alu instid0(VALU_DEP_1) | instskip(NEXT) | instid1(VALU_DEP_1)
	v_dual_cndmask_b32 v2, v2, v32 :: v_dual_cndmask_b32 v31, v31, v33
	v_add_nc_u32_e32 v32, 1, v2
	s_delay_alu instid0(VALU_DEP_2) | instskip(SKIP_1) | instid1(VALU_DEP_2)
	v_cmp_le_u32_e32 vcc_lo, s52, v31
	s_wait_alu 0xfffd
	v_dual_cndmask_b32 v31, v2, v32 :: v_dual_mov_b32 v32, v1
.LBB19_48:                              ;   in Loop: Header=BB19_4 Depth=1
	s_wait_alu 0xfffe
	s_or_b32 exec_lo, exec_lo, s0
	s_delay_alu instid0(VALU_DEP_1) | instskip(NEXT) | instid1(VALU_DEP_2)
	v_mad_co_u64_u32 v[33:34], null, s70, v31, v[3:4]
	v_mul_lo_u32 v2, s70, v32
	v_mul_lo_u32 v35, s71, v31
	;; [unrolled: 1-line block ×4, first 2 shown]
	v_mad_co_u64_u32 v[31:32], null, v31, s24, 0
	s_mov_b32 s0, exec_lo
	v_add3_u32 v2, v35, v34, v2
	v_mul_lo_u32 v35, v33, s27
	v_mad_co_u64_u32 v[33:34], null, v33, s26, 0
	v_add3_u32 v32, v32, v37, v36
	s_delay_alu instid0(VALU_DEP_4) | instskip(NEXT) | instid1(VALU_DEP_2)
	v_mul_lo_u32 v2, v2, s26
	v_lshlrev_b64_e32 v[31:32], 3, v[31:32]
	s_delay_alu instid0(VALU_DEP_2) | instskip(NEXT) | instid1(VALU_DEP_2)
	v_add3_u32 v34, v34, v35, v2
	v_add_co_u32 v2, vcc_lo, s56, v31
	s_wait_alu 0xfffd
	s_delay_alu instid0(VALU_DEP_3) | instskip(NEXT) | instid1(VALU_DEP_3)
	v_add_co_ci_u32_e64 v32, null, s57, v32, vcc_lo
	v_lshlrev_b64_e32 v[33:34], 3, v[33:34]
	s_delay_alu instid0(VALU_DEP_1) | instskip(SKIP_1) | instid1(VALU_DEP_2)
	v_add_co_u32 v31, vcc_lo, v2, v33
	s_wait_alu 0xfffd
	v_add_co_ci_u32_e64 v32, null, v32, v34, vcc_lo
	v_or_b32_e32 v2, s65, v4
	global_load_b64 v[33:34], v[31:32], off
                                        ; implicit-def: $vgpr31_vgpr32
	v_cmpx_ne_u64_e32 0, v[1:2]
	s_wait_alu 0xfffe
	s_xor_b32 s79, exec_lo, s0
	s_cbranch_execnz .LBB19_60
; %bb.49:                               ;   in Loop: Header=BB19_4 Depth=1
	s_and_not1_saveexec_b32 s0, s79
	s_cbranch_execnz .LBB19_61
.LBB19_50:                              ;   in Loop: Header=BB19_4 Depth=1
	s_wait_alu 0xfffe
	s_or_b32 exec_lo, exec_lo, s0
	s_delay_alu instid0(SALU_CYCLE_1)
	s_and_not1_b32 vcc_lo, exec_lo, s33
	s_wait_alu 0xfffe
	s_cbranch_vccnz .LBB19_62
.LBB19_51:                              ;   in Loop: Header=BB19_4 Depth=1
	v_or_b32_e32 v2, s59, v4
                                        ; implicit-def: $vgpr35_vgpr36
	s_mov_b32 s0, exec_lo
	s_delay_alu instid0(VALU_DEP_1)
	v_cmpx_ne_u64_e32 0, v[1:2]
	s_wait_alu 0xfffe
	s_xor_b32 s79, exec_lo, s0
	s_cbranch_execz .LBB19_53
; %bb.52:                               ;   in Loop: Header=BB19_4 Depth=1
	s_ashr_i32 s74, s59, 31
	v_ashrrev_i32_e32 v2, 31, v4
	s_wait_alu 0xfffe
	s_mov_b32 s75, s74
	s_wait_alu 0xfffe
	s_add_nc_u64 s[0:1], s[58:59], s[74:75]
	v_add_co_u32 v35, vcc_lo, v3, v2
	s_wait_alu 0xfffe
	s_xor_b64 s[76:77], s[0:1], s[74:75]
	s_wait_alu 0xfffd
	v_add_co_ci_u32_e64 v36, null, v4, v2, vcc_lo
	s_wait_alu 0xfffe
	s_cvt_f32_u32 s0, s76
	s_cvt_f32_u32 s1, s77
	s_sub_nc_u64 s[80:81], 0, s[76:77]
	v_xor_b32_e32 v42, v35, v2
	v_xor_b32_e32 v43, v36, v2
	s_wait_alu 0xfffe
	s_fmamk_f32 s0, s1, 0x4f800000, s0
	v_xor_b32_e32 v2, s74, v2
	s_wait_alu 0xfffe
	s_delay_alu instid0(SALU_CYCLE_1) | instskip(NEXT) | instid1(TRANS32_DEP_1)
	v_s_rcp_f32 s0, s0
	s_mul_f32 s0, s0, 0x5f7ffffc
	s_wait_alu 0xfffe
	s_delay_alu instid0(SALU_CYCLE_2) | instskip(SKIP_1) | instid1(SALU_CYCLE_2)
	s_mul_f32 s1, s0, 0x2f800000
	s_wait_alu 0xfffe
	s_trunc_f32 s1, s1
	s_wait_alu 0xfffe
	s_delay_alu instid0(SALU_CYCLE_2) | instskip(SKIP_2) | instid1(SALU_CYCLE_1)
	s_fmamk_f32 s0, s1, 0xcf800000, s0
	s_cvt_u32_f32 s1, s1
	s_wait_alu 0xfffe
	s_cvt_u32_f32 s0, s0
	s_wait_alu 0xfffe
	s_delay_alu instid0(SALU_CYCLE_2) | instskip(NEXT) | instid1(SALU_CYCLE_1)
	s_mul_u64 s[82:83], s[80:81], s[0:1]
	s_mul_hi_u32 s85, s0, s83
	s_mul_i32 s84, s0, s83
	s_mul_hi_u32 s2, s0, s82
	s_mul_i32 s86, s1, s82
	s_wait_alu 0xfffe
	s_add_nc_u64 s[84:85], s[2:3], s[84:85]
	s_mul_hi_u32 s75, s1, s82
	s_mul_hi_u32 s87, s1, s83
	s_add_co_u32 s2, s84, s86
	s_wait_alu 0xfffe
	s_add_co_ci_u32 s2, s85, s75
	s_mul_i32 s82, s1, s83
	s_add_co_ci_u32 s83, s87, 0
	s_wait_alu 0xfffe
	s_add_nc_u64 s[82:83], s[2:3], s[82:83]
	s_delay_alu instid0(SALU_CYCLE_1)
	s_add_co_u32 s0, s0, s82
	s_cselect_b32 s2, -1, 0
	s_wait_alu 0xfffe
	s_cmp_lg_u32 s2, 0
	s_add_co_ci_u32 s1, s1, s83
	s_wait_alu 0xfffe
	s_mul_u64 s[80:81], s[80:81], s[0:1]
	s_delay_alu instid0(SALU_CYCLE_1)
	s_mul_hi_u32 s83, s0, s81
	s_mul_i32 s82, s0, s81
	s_mul_hi_u32 s2, s0, s80
	s_mul_i32 s84, s1, s80
	s_wait_alu 0xfffe
	s_add_nc_u64 s[82:83], s[2:3], s[82:83]
	s_mul_hi_u32 s75, s1, s80
	s_mul_hi_u32 s85, s1, s81
	s_add_co_u32 s2, s82, s84
	s_wait_alu 0xfffe
	s_add_co_ci_u32 s2, s83, s75
	s_mul_i32 s80, s1, s81
	s_add_co_ci_u32 s81, s85, 0
	s_wait_alu 0xfffe
	s_add_nc_u64 s[80:81], s[2:3], s[80:81]
	s_delay_alu instid0(SALU_CYCLE_1)
	s_add_co_u32 s0, s0, s80
	s_cselect_b32 s2, -1, 0
	s_wait_alu 0xfffe
	v_mul_hi_u32 v44, v42, s0
	s_cmp_lg_u32 s2, 0
	v_mad_co_u64_u32 v[37:38], null, v43, s0, 0
	s_add_co_ci_u32 s1, s1, s81
	s_wait_alu 0xfffe
	v_mad_co_u64_u32 v[35:36], null, v42, s1, 0
	v_mad_co_u64_u32 v[40:41], null, v43, s1, 0
	s_delay_alu instid0(VALU_DEP_2) | instskip(SKIP_1) | instid1(VALU_DEP_3)
	v_add_co_u32 v35, vcc_lo, v44, v35
	s_wait_alu 0xfffd
	v_add_co_ci_u32_e64 v36, null, 0, v36, vcc_lo
	s_delay_alu instid0(VALU_DEP_2) | instskip(SKIP_1) | instid1(VALU_DEP_2)
	v_add_co_u32 v35, vcc_lo, v35, v37
	s_wait_alu 0xfffd
	v_add_co_ci_u32_e32 v35, vcc_lo, v36, v38, vcc_lo
	s_wait_alu 0xfffd
	v_add_co_ci_u32_e32 v36, vcc_lo, 0, v41, vcc_lo
	s_delay_alu instid0(VALU_DEP_2) | instskip(SKIP_1) | instid1(VALU_DEP_2)
	v_add_co_u32 v37, vcc_lo, v35, v40
	s_wait_alu 0xfffd
	v_add_co_ci_u32_e64 v38, null, 0, v36, vcc_lo
	s_delay_alu instid0(VALU_DEP_2) | instskip(SKIP_1) | instid1(VALU_DEP_3)
	v_mul_lo_u32 v40, s77, v37
	v_mad_co_u64_u32 v[35:36], null, s76, v37, 0
	v_mul_lo_u32 v41, s76, v38
	s_delay_alu instid0(VALU_DEP_2) | instskip(NEXT) | instid1(VALU_DEP_2)
	v_sub_co_u32 v35, vcc_lo, v42, v35
	v_add3_u32 v36, v36, v41, v40
	s_delay_alu instid0(VALU_DEP_2) | instskip(NEXT) | instid1(VALU_DEP_2)
	v_sub_co_u32 v41, s0, v35, s76
	v_sub_nc_u32_e32 v40, v43, v36
	s_wait_alu 0xfffd
	v_sub_co_ci_u32_e64 v36, null, v43, v36, vcc_lo
	v_cmp_le_u32_e64 s1, s76, v35
	s_delay_alu instid0(VALU_DEP_3) | instskip(SKIP_1) | instid1(VALU_DEP_4)
	v_subrev_co_ci_u32_e64 v40, null, s77, v40, vcc_lo
	v_cmp_le_u32_e32 vcc_lo, s76, v41
	v_cmp_le_u32_e64 s2, s77, v36
	s_wait_alu 0xf1ff
	v_cndmask_b32_e64 v42, 0, -1, s1
	v_subrev_co_ci_u32_e64 v40, null, 0, v40, s0
	s_wait_alu 0xfffd
	v_cndmask_b32_e64 v35, 0, -1, vcc_lo
	v_cmp_eq_u32_e64 s1, s77, v36
	v_cndmask_b32_e64 v36, 0, -1, s2
	v_cmp_le_u32_e64 s0, s77, v40
	v_cmp_eq_u32_e32 vcc_lo, s77, v40
	s_wait_alu 0xf1ff
	s_delay_alu instid0(VALU_DEP_3) | instskip(NEXT) | instid1(VALU_DEP_3)
	v_cndmask_b32_e64 v36, v36, v42, s1
	v_cndmask_b32_e64 v40, 0, -1, s0
	v_add_co_u32 v41, s0, v37, 2
	s_wait_alu 0xfffd
	s_delay_alu instid0(VALU_DEP_2) | instskip(SKIP_3) | instid1(VALU_DEP_3)
	v_cndmask_b32_e32 v35, v40, v35, vcc_lo
	s_wait_alu 0xf1ff
	v_add_co_ci_u32_e64 v40, null, 0, v38, s0
	v_add_co_u32 v43, vcc_lo, v37, 1
	v_cmp_ne_u32_e64 s0, 0, v35
	s_wait_alu 0xfffd
	v_add_co_ci_u32_e64 v35, null, 0, v38, vcc_lo
	v_cmp_ne_u32_e32 vcc_lo, 0, v36
	s_wait_alu 0xf1ff
	v_cndmask_b32_e64 v36, v43, v41, s0
	s_delay_alu instid0(VALU_DEP_3) | instskip(SKIP_1) | instid1(VALU_DEP_1)
	v_cndmask_b32_e64 v35, v35, v40, s0
	s_wait_alu 0xfffd
	v_dual_cndmask_b32 v36, v37, v36 :: v_dual_cndmask_b32 v35, v38, v35
	s_delay_alu instid0(VALU_DEP_1) | instskip(NEXT) | instid1(VALU_DEP_2)
	v_xor_b32_e32 v36, v36, v2
	v_xor_b32_e32 v37, v35, v2
	s_delay_alu instid0(VALU_DEP_2) | instskip(SKIP_1) | instid1(VALU_DEP_2)
	v_sub_co_u32 v35, vcc_lo, v36, v2
	s_wait_alu 0xfffd
	v_sub_co_ci_u32_e64 v36, null, v37, v2, vcc_lo
.LBB19_53:                              ;   in Loop: Header=BB19_4 Depth=1
	s_and_not1_saveexec_b32 s0, s79
	s_cbranch_execz .LBB19_55
; %bb.54:                               ;   in Loop: Header=BB19_4 Depth=1
	v_cvt_f32_u32_e32 v2, s58
	s_sub_co_i32 s1, 0, s58
	s_delay_alu instid0(VALU_DEP_1) | instskip(NEXT) | instid1(TRANS32_DEP_1)
	v_rcp_iflag_f32_e32 v2, v2
	v_mul_f32_e32 v2, 0x4f7ffffe, v2
	s_delay_alu instid0(VALU_DEP_1) | instskip(SKIP_1) | instid1(VALU_DEP_1)
	v_cvt_u32_f32_e32 v2, v2
	s_wait_alu 0xfffe
	v_mul_lo_u32 v35, s1, v2
	s_delay_alu instid0(VALU_DEP_1) | instskip(NEXT) | instid1(VALU_DEP_1)
	v_mul_hi_u32 v35, v2, v35
	v_add_nc_u32_e32 v2, v2, v35
	s_delay_alu instid0(VALU_DEP_1) | instskip(NEXT) | instid1(VALU_DEP_1)
	v_mul_hi_u32 v2, v3, v2
	v_mul_lo_u32 v35, v2, s58
	v_add_nc_u32_e32 v36, 1, v2
	s_delay_alu instid0(VALU_DEP_2) | instskip(NEXT) | instid1(VALU_DEP_1)
	v_sub_nc_u32_e32 v35, v3, v35
	v_cmp_le_u32_e32 vcc_lo, s58, v35
	v_subrev_nc_u32_e32 v37, s58, v35
	s_wait_alu 0xfffd
	s_delay_alu instid0(VALU_DEP_1) | instskip(NEXT) | instid1(VALU_DEP_1)
	v_dual_cndmask_b32 v2, v2, v36 :: v_dual_cndmask_b32 v35, v35, v37
	v_add_nc_u32_e32 v36, 1, v2
	s_delay_alu instid0(VALU_DEP_2) | instskip(SKIP_1) | instid1(VALU_DEP_2)
	v_cmp_le_u32_e32 vcc_lo, s58, v35
	s_wait_alu 0xfffd
	v_dual_cndmask_b32 v35, v2, v36 :: v_dual_mov_b32 v36, v1
.LBB19_55:                              ;   in Loop: Header=BB19_4 Depth=1
	s_wait_alu 0xfffe
	s_or_b32 exec_lo, exec_lo, s0
	s_delay_alu instid0(VALU_DEP_1) | instskip(NEXT) | instid1(VALU_DEP_2)
	v_mad_co_u64_u32 v[37:38], null, s102, v35, v[3:4]
	v_mul_lo_u32 v2, s102, v36
	v_mul_lo_u32 v40, s103, v35
	;; [unrolled: 1-line block ×4, first 2 shown]
	v_mad_co_u64_u32 v[35:36], null, v35, s8, 0
	s_delay_alu instid0(VALU_DEP_4) | instskip(SKIP_2) | instid1(VALU_DEP_4)
	v_add3_u32 v2, v40, v38, v2
	v_mul_lo_u32 v40, v37, s11
	v_mad_co_u64_u32 v[37:38], null, v37, s10, 0
	v_add3_u32 v36, v36, v42, v41
	s_delay_alu instid0(VALU_DEP_4) | instskip(NEXT) | instid1(VALU_DEP_2)
	v_mul_lo_u32 v2, v2, s10
	v_lshlrev_b64_e32 v[35:36], 3, v[35:36]
	s_delay_alu instid0(VALU_DEP_2) | instskip(NEXT) | instid1(VALU_DEP_2)
	v_add3_u32 v38, v38, v40, v2
	v_add_co_u32 v2, vcc_lo, s34, v35
	s_wait_alu 0xfffd
	s_delay_alu instid0(VALU_DEP_3) | instskip(NEXT) | instid1(VALU_DEP_3)
	v_add_co_ci_u32_e64 v36, null, s35, v36, vcc_lo
	v_lshlrev_b64_e32 v[37:38], 3, v[37:38]
	s_delay_alu instid0(VALU_DEP_1) | instskip(SKIP_1) | instid1(VALU_DEP_2)
	v_add_co_u32 v35, vcc_lo, v2, v37
	s_wait_alu 0xfffd
	v_add_co_ci_u32_e64 v36, null, v36, v38, vcc_lo
	global_load_b64 v[35:36], v[35:36], off
	s_and_not1_b32 vcc_lo, exec_lo, s104
	s_wait_alu 0xfffe
	s_cbranch_vccnz .LBB19_63
.LBB19_56:                              ;   in Loop: Header=BB19_4 Depth=1
	v_or_b32_e32 v2, s61, v4
                                        ; implicit-def: $vgpr37_vgpr38
	s_mov_b32 s0, exec_lo
	s_delay_alu instid0(VALU_DEP_1)
	v_cmpx_ne_u64_e32 0, v[1:2]
	s_wait_alu 0xfffe
	s_xor_b32 s79, exec_lo, s0
	s_cbranch_execz .LBB19_58
; %bb.57:                               ;   in Loop: Header=BB19_4 Depth=1
	s_ashr_i32 s74, s61, 31
	v_ashrrev_i32_e32 v2, 31, v4
	s_wait_alu 0xfffe
	s_mov_b32 s75, s74
	s_wait_alu 0xfffe
	s_add_nc_u64 s[0:1], s[60:61], s[74:75]
	v_add_co_u32 v37, vcc_lo, v3, v2
	s_wait_alu 0xfffe
	s_xor_b64 s[76:77], s[0:1], s[74:75]
	s_wait_alu 0xfffd
	v_add_co_ci_u32_e64 v38, null, v4, v2, vcc_lo
	s_wait_alu 0xfffe
	s_cvt_f32_u32 s0, s76
	s_cvt_f32_u32 s1, s77
	s_sub_nc_u64 s[80:81], 0, s[76:77]
	v_xor_b32_e32 v44, v37, v2
	v_xor_b32_e32 v45, v38, v2
	s_wait_alu 0xfffe
	s_fmamk_f32 s0, s1, 0x4f800000, s0
	v_xor_b32_e32 v2, s74, v2
	s_wait_alu 0xfffe
	s_delay_alu instid0(SALU_CYCLE_1) | instskip(NEXT) | instid1(TRANS32_DEP_1)
	v_s_rcp_f32 s0, s0
	s_mul_f32 s0, s0, 0x5f7ffffc
	s_wait_alu 0xfffe
	s_delay_alu instid0(SALU_CYCLE_2) | instskip(SKIP_1) | instid1(SALU_CYCLE_2)
	s_mul_f32 s1, s0, 0x2f800000
	s_wait_alu 0xfffe
	s_trunc_f32 s1, s1
	s_wait_alu 0xfffe
	s_delay_alu instid0(SALU_CYCLE_2) | instskip(SKIP_2) | instid1(SALU_CYCLE_1)
	s_fmamk_f32 s0, s1, 0xcf800000, s0
	s_cvt_u32_f32 s1, s1
	s_wait_alu 0xfffe
	s_cvt_u32_f32 s0, s0
	s_wait_alu 0xfffe
	s_delay_alu instid0(SALU_CYCLE_2) | instskip(NEXT) | instid1(SALU_CYCLE_1)
	s_mul_u64 s[82:83], s[80:81], s[0:1]
	s_mul_hi_u32 s85, s0, s83
	s_mul_i32 s84, s0, s83
	s_mul_hi_u32 s2, s0, s82
	s_mul_i32 s86, s1, s82
	s_wait_alu 0xfffe
	s_add_nc_u64 s[84:85], s[2:3], s[84:85]
	s_mul_hi_u32 s75, s1, s82
	s_mul_hi_u32 s87, s1, s83
	s_add_co_u32 s2, s84, s86
	s_wait_alu 0xfffe
	s_add_co_ci_u32 s2, s85, s75
	s_mul_i32 s82, s1, s83
	s_add_co_ci_u32 s83, s87, 0
	s_wait_alu 0xfffe
	s_add_nc_u64 s[82:83], s[2:3], s[82:83]
	s_delay_alu instid0(SALU_CYCLE_1)
	s_add_co_u32 s0, s0, s82
	s_cselect_b32 s2, -1, 0
	s_wait_alu 0xfffe
	s_cmp_lg_u32 s2, 0
	s_add_co_ci_u32 s1, s1, s83
	s_wait_alu 0xfffe
	s_mul_u64 s[80:81], s[80:81], s[0:1]
	s_delay_alu instid0(SALU_CYCLE_1)
	s_mul_hi_u32 s83, s0, s81
	s_mul_i32 s82, s0, s81
	s_mul_hi_u32 s2, s0, s80
	s_mul_i32 s84, s1, s80
	s_wait_alu 0xfffe
	s_add_nc_u64 s[82:83], s[2:3], s[82:83]
	s_mul_hi_u32 s75, s1, s80
	s_mul_hi_u32 s85, s1, s81
	s_add_co_u32 s2, s82, s84
	s_wait_alu 0xfffe
	s_add_co_ci_u32 s2, s83, s75
	s_mul_i32 s80, s1, s81
	s_add_co_ci_u32 s81, s85, 0
	s_wait_alu 0xfffe
	s_add_nc_u64 s[80:81], s[2:3], s[80:81]
	s_delay_alu instid0(SALU_CYCLE_1)
	s_add_co_u32 s0, s0, s80
	s_cselect_b32 s2, -1, 0
	s_wait_alu 0xfffe
	v_mul_hi_u32 v46, v44, s0
	s_cmp_lg_u32 s2, 0
	v_mad_co_u64_u32 v[40:41], null, v45, s0, 0
	s_add_co_ci_u32 s1, s1, s81
	s_wait_alu 0xfffe
	v_mad_co_u64_u32 v[37:38], null, v44, s1, 0
	v_mad_co_u64_u32 v[42:43], null, v45, s1, 0
	s_delay_alu instid0(VALU_DEP_2) | instskip(SKIP_1) | instid1(VALU_DEP_3)
	v_add_co_u32 v37, vcc_lo, v46, v37
	s_wait_alu 0xfffd
	v_add_co_ci_u32_e64 v38, null, 0, v38, vcc_lo
	s_delay_alu instid0(VALU_DEP_2) | instskip(SKIP_1) | instid1(VALU_DEP_2)
	v_add_co_u32 v37, vcc_lo, v37, v40
	s_wait_alu 0xfffd
	v_add_co_ci_u32_e32 v37, vcc_lo, v38, v41, vcc_lo
	s_wait_alu 0xfffd
	v_add_co_ci_u32_e32 v38, vcc_lo, 0, v43, vcc_lo
	s_delay_alu instid0(VALU_DEP_2) | instskip(SKIP_1) | instid1(VALU_DEP_2)
	v_add_co_u32 v40, vcc_lo, v37, v42
	s_wait_alu 0xfffd
	v_add_co_ci_u32_e64 v41, null, 0, v38, vcc_lo
	s_delay_alu instid0(VALU_DEP_2) | instskip(SKIP_1) | instid1(VALU_DEP_3)
	v_mul_lo_u32 v42, s77, v40
	v_mad_co_u64_u32 v[37:38], null, s76, v40, 0
	v_mul_lo_u32 v43, s76, v41
	s_delay_alu instid0(VALU_DEP_2) | instskip(NEXT) | instid1(VALU_DEP_2)
	v_sub_co_u32 v37, vcc_lo, v44, v37
	v_add3_u32 v38, v38, v43, v42
	s_delay_alu instid0(VALU_DEP_2) | instskip(NEXT) | instid1(VALU_DEP_2)
	v_sub_co_u32 v43, s0, v37, s76
	v_sub_nc_u32_e32 v42, v45, v38
	s_wait_alu 0xfffd
	v_sub_co_ci_u32_e64 v38, null, v45, v38, vcc_lo
	v_cmp_le_u32_e64 s1, s76, v37
	s_delay_alu instid0(VALU_DEP_3) | instskip(SKIP_1) | instid1(VALU_DEP_4)
	v_subrev_co_ci_u32_e64 v42, null, s77, v42, vcc_lo
	v_cmp_le_u32_e32 vcc_lo, s76, v43
	v_cmp_le_u32_e64 s2, s77, v38
	s_wait_alu 0xf1ff
	v_cndmask_b32_e64 v44, 0, -1, s1
	v_subrev_co_ci_u32_e64 v42, null, 0, v42, s0
	s_wait_alu 0xfffd
	v_cndmask_b32_e64 v37, 0, -1, vcc_lo
	v_cmp_eq_u32_e64 s1, s77, v38
	v_cndmask_b32_e64 v38, 0, -1, s2
	v_cmp_le_u32_e64 s0, s77, v42
	v_cmp_eq_u32_e32 vcc_lo, s77, v42
	s_wait_alu 0xf1ff
	s_delay_alu instid0(VALU_DEP_3) | instskip(NEXT) | instid1(VALU_DEP_3)
	v_cndmask_b32_e64 v38, v38, v44, s1
	v_cndmask_b32_e64 v42, 0, -1, s0
	v_add_co_u32 v43, s0, v40, 2
	s_wait_alu 0xfffd
	s_delay_alu instid0(VALU_DEP_2) | instskip(SKIP_3) | instid1(VALU_DEP_3)
	v_cndmask_b32_e32 v37, v42, v37, vcc_lo
	s_wait_alu 0xf1ff
	v_add_co_ci_u32_e64 v42, null, 0, v41, s0
	v_add_co_u32 v45, vcc_lo, v40, 1
	v_cmp_ne_u32_e64 s0, 0, v37
	s_wait_alu 0xfffd
	v_add_co_ci_u32_e64 v37, null, 0, v41, vcc_lo
	v_cmp_ne_u32_e32 vcc_lo, 0, v38
	s_wait_alu 0xf1ff
	v_cndmask_b32_e64 v38, v45, v43, s0
	s_delay_alu instid0(VALU_DEP_3) | instskip(SKIP_1) | instid1(VALU_DEP_1)
	v_cndmask_b32_e64 v37, v37, v42, s0
	s_wait_alu 0xfffd
	v_dual_cndmask_b32 v38, v40, v38 :: v_dual_cndmask_b32 v37, v41, v37
	s_delay_alu instid0(VALU_DEP_1) | instskip(NEXT) | instid1(VALU_DEP_2)
	v_xor_b32_e32 v38, v38, v2
	v_xor_b32_e32 v40, v37, v2
	s_delay_alu instid0(VALU_DEP_2) | instskip(SKIP_1) | instid1(VALU_DEP_2)
	v_sub_co_u32 v37, vcc_lo, v38, v2
	s_wait_alu 0xfffd
	v_sub_co_ci_u32_e64 v38, null, v40, v2, vcc_lo
.LBB19_58:                              ;   in Loop: Header=BB19_4 Depth=1
	s_and_not1_saveexec_b32 s0, s79
	s_cbranch_execz .LBB19_2
; %bb.59:                               ;   in Loop: Header=BB19_4 Depth=1
	v_cvt_f32_u32_e32 v2, s60
	s_sub_co_i32 s1, 0, s60
	s_delay_alu instid0(VALU_DEP_1) | instskip(NEXT) | instid1(TRANS32_DEP_1)
	v_rcp_iflag_f32_e32 v2, v2
	v_mul_f32_e32 v2, 0x4f7ffffe, v2
	s_delay_alu instid0(VALU_DEP_1) | instskip(SKIP_1) | instid1(VALU_DEP_1)
	v_cvt_u32_f32_e32 v2, v2
	s_wait_alu 0xfffe
	v_mul_lo_u32 v37, s1, v2
	s_delay_alu instid0(VALU_DEP_1) | instskip(NEXT) | instid1(VALU_DEP_1)
	v_mul_hi_u32 v37, v2, v37
	v_add_nc_u32_e32 v2, v2, v37
	s_delay_alu instid0(VALU_DEP_1) | instskip(NEXT) | instid1(VALU_DEP_1)
	v_mul_hi_u32 v2, v3, v2
	v_mul_lo_u32 v37, v2, s60
	v_add_nc_u32_e32 v38, 1, v2
	s_delay_alu instid0(VALU_DEP_2) | instskip(NEXT) | instid1(VALU_DEP_1)
	v_sub_nc_u32_e32 v37, v3, v37
	v_cmp_le_u32_e32 vcc_lo, s60, v37
	v_subrev_nc_u32_e32 v40, s60, v37
	s_wait_alu 0xfffd
	s_delay_alu instid0(VALU_DEP_1) | instskip(NEXT) | instid1(VALU_DEP_1)
	v_dual_cndmask_b32 v2, v2, v38 :: v_dual_cndmask_b32 v37, v37, v40
	v_add_nc_u32_e32 v38, 1, v2
	s_delay_alu instid0(VALU_DEP_2) | instskip(SKIP_1) | instid1(VALU_DEP_2)
	v_cmp_le_u32_e32 vcc_lo, s60, v37
	s_wait_alu 0xfffd
	v_dual_cndmask_b32 v37, v2, v38 :: v_dual_mov_b32 v38, v1
	s_branch .LBB19_2
.LBB19_60:                              ;   in Loop: Header=BB19_4 Depth=1
	s_ashr_i32 s74, s65, 31
	v_ashrrev_i32_e32 v2, 31, v4
	s_wait_alu 0xfffe
	s_mov_b32 s75, s74
	s_wait_alu 0xfffe
	s_add_nc_u64 s[0:1], s[64:65], s[74:75]
	v_add_co_u32 v31, vcc_lo, v3, v2
	s_wait_alu 0xfffe
	s_xor_b64 s[76:77], s[0:1], s[74:75]
	s_wait_alu 0xfffd
	v_add_co_ci_u32_e64 v32, null, v4, v2, vcc_lo
	s_wait_alu 0xfffe
	s_cvt_f32_u32 s0, s76
	s_cvt_f32_u32 s1, s77
	s_sub_nc_u64 s[80:81], 0, s[76:77]
	v_xor_b32_e32 v40, v31, v2
	v_xor_b32_e32 v41, v32, v2
	s_wait_alu 0xfffe
	s_fmamk_f32 s0, s1, 0x4f800000, s0
	v_xor_b32_e32 v2, s74, v2
	s_wait_alu 0xfffe
	s_delay_alu instid0(SALU_CYCLE_1) | instskip(NEXT) | instid1(TRANS32_DEP_1)
	v_s_rcp_f32 s0, s0
	s_mul_f32 s0, s0, 0x5f7ffffc
	s_wait_alu 0xfffe
	s_delay_alu instid0(SALU_CYCLE_2) | instskip(SKIP_1) | instid1(SALU_CYCLE_2)
	s_mul_f32 s1, s0, 0x2f800000
	s_wait_alu 0xfffe
	s_trunc_f32 s1, s1
	s_wait_alu 0xfffe
	s_delay_alu instid0(SALU_CYCLE_2) | instskip(SKIP_2) | instid1(SALU_CYCLE_1)
	s_fmamk_f32 s0, s1, 0xcf800000, s0
	s_cvt_u32_f32 s1, s1
	s_wait_alu 0xfffe
	s_cvt_u32_f32 s0, s0
	s_wait_alu 0xfffe
	s_delay_alu instid0(SALU_CYCLE_2) | instskip(NEXT) | instid1(SALU_CYCLE_1)
	s_mul_u64 s[82:83], s[80:81], s[0:1]
	s_mul_hi_u32 s85, s0, s83
	s_mul_i32 s84, s0, s83
	s_mul_hi_u32 s2, s0, s82
	s_mul_i32 s86, s1, s82
	s_wait_alu 0xfffe
	s_add_nc_u64 s[84:85], s[2:3], s[84:85]
	s_mul_hi_u32 s75, s1, s82
	s_mul_hi_u32 s87, s1, s83
	s_add_co_u32 s2, s84, s86
	s_wait_alu 0xfffe
	s_add_co_ci_u32 s2, s85, s75
	s_mul_i32 s82, s1, s83
	s_add_co_ci_u32 s83, s87, 0
	s_wait_alu 0xfffe
	s_add_nc_u64 s[82:83], s[2:3], s[82:83]
	s_delay_alu instid0(SALU_CYCLE_1)
	s_add_co_u32 s0, s0, s82
	s_cselect_b32 s2, -1, 0
	s_wait_alu 0xfffe
	s_cmp_lg_u32 s2, 0
	s_add_co_ci_u32 s1, s1, s83
	s_wait_alu 0xfffe
	s_mul_u64 s[80:81], s[80:81], s[0:1]
	s_delay_alu instid0(SALU_CYCLE_1)
	s_mul_hi_u32 s83, s0, s81
	s_mul_i32 s82, s0, s81
	s_mul_hi_u32 s2, s0, s80
	s_mul_i32 s84, s1, s80
	s_wait_alu 0xfffe
	s_add_nc_u64 s[82:83], s[2:3], s[82:83]
	s_mul_hi_u32 s75, s1, s80
	s_mul_hi_u32 s85, s1, s81
	s_add_co_u32 s2, s82, s84
	s_wait_alu 0xfffe
	s_add_co_ci_u32 s2, s83, s75
	s_mul_i32 s80, s1, s81
	s_add_co_ci_u32 s81, s85, 0
	s_wait_alu 0xfffe
	s_add_nc_u64 s[80:81], s[2:3], s[80:81]
	s_delay_alu instid0(SALU_CYCLE_1)
	s_add_co_u32 s0, s0, s80
	s_cselect_b32 s2, -1, 0
	s_wait_alu 0xfffe
	v_mul_hi_u32 v42, v40, s0
	s_cmp_lg_u32 s2, 0
	v_mad_co_u64_u32 v[35:36], null, v41, s0, 0
	s_add_co_ci_u32 s1, s1, s81
	s_wait_alu 0xfffe
	v_mad_co_u64_u32 v[31:32], null, v40, s1, 0
	v_mad_co_u64_u32 v[37:38], null, v41, s1, 0
	s_delay_alu instid0(VALU_DEP_2) | instskip(SKIP_1) | instid1(VALU_DEP_3)
	v_add_co_u32 v31, vcc_lo, v42, v31
	s_wait_alu 0xfffd
	v_add_co_ci_u32_e64 v32, null, 0, v32, vcc_lo
	s_delay_alu instid0(VALU_DEP_2) | instskip(SKIP_1) | instid1(VALU_DEP_2)
	v_add_co_u32 v31, vcc_lo, v31, v35
	s_wait_alu 0xfffd
	v_add_co_ci_u32_e32 v31, vcc_lo, v32, v36, vcc_lo
	s_wait_alu 0xfffd
	v_add_co_ci_u32_e32 v32, vcc_lo, 0, v38, vcc_lo
	s_delay_alu instid0(VALU_DEP_2) | instskip(SKIP_1) | instid1(VALU_DEP_2)
	v_add_co_u32 v35, vcc_lo, v31, v37
	s_wait_alu 0xfffd
	v_add_co_ci_u32_e64 v36, null, 0, v32, vcc_lo
	s_delay_alu instid0(VALU_DEP_2) | instskip(SKIP_1) | instid1(VALU_DEP_3)
	v_mul_lo_u32 v37, s77, v35
	v_mad_co_u64_u32 v[31:32], null, s76, v35, 0
	v_mul_lo_u32 v38, s76, v36
	s_delay_alu instid0(VALU_DEP_2) | instskip(NEXT) | instid1(VALU_DEP_2)
	v_sub_co_u32 v31, vcc_lo, v40, v31
	v_add3_u32 v32, v32, v38, v37
	s_delay_alu instid0(VALU_DEP_2) | instskip(NEXT) | instid1(VALU_DEP_2)
	v_sub_co_u32 v38, s0, v31, s76
	v_sub_nc_u32_e32 v37, v41, v32
	s_wait_alu 0xfffd
	v_sub_co_ci_u32_e64 v32, null, v41, v32, vcc_lo
	v_cmp_le_u32_e64 s1, s76, v31
	s_delay_alu instid0(VALU_DEP_3) | instskip(SKIP_1) | instid1(VALU_DEP_4)
	v_subrev_co_ci_u32_e64 v37, null, s77, v37, vcc_lo
	v_cmp_le_u32_e32 vcc_lo, s76, v38
	v_cmp_le_u32_e64 s2, s77, v32
	s_wait_alu 0xf1ff
	v_cndmask_b32_e64 v40, 0, -1, s1
	v_subrev_co_ci_u32_e64 v37, null, 0, v37, s0
	s_wait_alu 0xfffd
	v_cndmask_b32_e64 v31, 0, -1, vcc_lo
	v_cmp_eq_u32_e64 s1, s77, v32
	v_cndmask_b32_e64 v32, 0, -1, s2
	v_cmp_le_u32_e64 s0, s77, v37
	v_cmp_eq_u32_e32 vcc_lo, s77, v37
	s_wait_alu 0xf1ff
	s_delay_alu instid0(VALU_DEP_3) | instskip(NEXT) | instid1(VALU_DEP_3)
	v_cndmask_b32_e64 v32, v32, v40, s1
	v_cndmask_b32_e64 v37, 0, -1, s0
	v_add_co_u32 v38, s0, v35, 2
	s_wait_alu 0xfffd
	s_delay_alu instid0(VALU_DEP_2) | instskip(SKIP_3) | instid1(VALU_DEP_3)
	v_cndmask_b32_e32 v31, v37, v31, vcc_lo
	s_wait_alu 0xf1ff
	v_add_co_ci_u32_e64 v37, null, 0, v36, s0
	v_add_co_u32 v41, vcc_lo, v35, 1
	v_cmp_ne_u32_e64 s0, 0, v31
	s_wait_alu 0xfffd
	v_add_co_ci_u32_e64 v31, null, 0, v36, vcc_lo
	v_cmp_ne_u32_e32 vcc_lo, 0, v32
	s_wait_alu 0xf1ff
	v_cndmask_b32_e64 v32, v41, v38, s0
	s_delay_alu instid0(VALU_DEP_3) | instskip(SKIP_1) | instid1(VALU_DEP_1)
	v_cndmask_b32_e64 v31, v31, v37, s0
	s_wait_alu 0xfffd
	v_dual_cndmask_b32 v32, v35, v32 :: v_dual_cndmask_b32 v31, v36, v31
	s_delay_alu instid0(VALU_DEP_1) | instskip(NEXT) | instid1(VALU_DEP_2)
	v_xor_b32_e32 v32, v32, v2
	v_xor_b32_e32 v35, v31, v2
	s_delay_alu instid0(VALU_DEP_2) | instskip(SKIP_1) | instid1(VALU_DEP_2)
	v_sub_co_u32 v31, vcc_lo, v32, v2
	s_wait_alu 0xfffd
	v_sub_co_ci_u32_e64 v32, null, v35, v2, vcc_lo
	s_and_not1_saveexec_b32 s0, s79
	s_cbranch_execz .LBB19_50
.LBB19_61:                              ;   in Loop: Header=BB19_4 Depth=1
	v_cvt_f32_u32_e32 v2, s64
	s_sub_co_i32 s1, 0, s64
	s_delay_alu instid0(VALU_DEP_1) | instskip(NEXT) | instid1(TRANS32_DEP_1)
	v_rcp_iflag_f32_e32 v2, v2
	v_mul_f32_e32 v2, 0x4f7ffffe, v2
	s_delay_alu instid0(VALU_DEP_1) | instskip(SKIP_1) | instid1(VALU_DEP_1)
	v_cvt_u32_f32_e32 v2, v2
	s_wait_alu 0xfffe
	v_mul_lo_u32 v31, s1, v2
	s_delay_alu instid0(VALU_DEP_1) | instskip(NEXT) | instid1(VALU_DEP_1)
	v_mul_hi_u32 v31, v2, v31
	v_add_nc_u32_e32 v2, v2, v31
	s_delay_alu instid0(VALU_DEP_1) | instskip(NEXT) | instid1(VALU_DEP_1)
	v_mul_hi_u32 v2, v3, v2
	v_mul_lo_u32 v31, v2, s64
	v_add_nc_u32_e32 v32, 1, v2
	s_delay_alu instid0(VALU_DEP_2) | instskip(NEXT) | instid1(VALU_DEP_1)
	v_sub_nc_u32_e32 v31, v3, v31
	v_cmp_le_u32_e32 vcc_lo, s64, v31
	v_subrev_nc_u32_e32 v35, s64, v31
	s_wait_alu 0xfffd
	s_delay_alu instid0(VALU_DEP_1) | instskip(NEXT) | instid1(VALU_DEP_1)
	v_dual_cndmask_b32 v2, v2, v32 :: v_dual_cndmask_b32 v31, v31, v35
	v_add_nc_u32_e32 v32, 1, v2
	s_delay_alu instid0(VALU_DEP_2) | instskip(SKIP_1) | instid1(VALU_DEP_2)
	v_cmp_le_u32_e32 vcc_lo, s64, v31
	s_wait_alu 0xfffd
	v_dual_cndmask_b32 v31, v2, v32 :: v_dual_mov_b32 v32, v1
	s_or_b32 exec_lo, exec_lo, s0
	s_delay_alu instid0(SALU_CYCLE_1)
	s_and_not1_b32 vcc_lo, exec_lo, s33
	s_wait_alu 0xfffe
	s_cbranch_vccz .LBB19_51
.LBB19_62:                              ;   in Loop: Header=BB19_4 Depth=1
	v_mov_b32_e32 v35, 0
	v_mov_b32_e32 v36, 0
	s_and_not1_b32 vcc_lo, exec_lo, s104
	s_wait_alu 0xfffe
	s_cbranch_vccz .LBB19_56
.LBB19_63:                              ;   in Loop: Header=BB19_4 Depth=1
	v_mov_b32_e32 v37, 0
	v_mov_b32_e32 v38, 0
	s_branch .LBB19_3
.LBB19_64:
	s_endpgm
	.section	.rodata,"a",@progbits
	.p2align	6, 0x0
	.amdhsa_kernel _ZN2at6native12_GLOBAL__N_16kernel18lstm_cell_backwardIddlLi2EEEvNS_4cuda6detail10TensorInfoIT_T1_EES9_S9_S9_S9_S9_S9_S8_S8_
		.amdhsa_group_segment_fixed_size 0
		.amdhsa_private_segment_fixed_size 0
		.amdhsa_kernarg_size 3184
		.amdhsa_user_sgpr_count 2
		.amdhsa_user_sgpr_dispatch_ptr 0
		.amdhsa_user_sgpr_queue_ptr 0
		.amdhsa_user_sgpr_kernarg_segment_ptr 1
		.amdhsa_user_sgpr_dispatch_id 0
		.amdhsa_user_sgpr_private_segment_size 0
		.amdhsa_wavefront_size32 1
		.amdhsa_uses_dynamic_stack 0
		.amdhsa_enable_private_segment 0
		.amdhsa_system_sgpr_workgroup_id_x 1
		.amdhsa_system_sgpr_workgroup_id_y 0
		.amdhsa_system_sgpr_workgroup_id_z 0
		.amdhsa_system_sgpr_workgroup_info 0
		.amdhsa_system_vgpr_workitem_id 0
		.amdhsa_next_free_vgpr 60
		.amdhsa_next_free_sgpr 105
		.amdhsa_reserve_vcc 1
		.amdhsa_float_round_mode_32 0
		.amdhsa_float_round_mode_16_64 0
		.amdhsa_float_denorm_mode_32 3
		.amdhsa_float_denorm_mode_16_64 3
		.amdhsa_fp16_overflow 0
		.amdhsa_workgroup_processor_mode 1
		.amdhsa_memory_ordered 1
		.amdhsa_forward_progress 1
		.amdhsa_inst_pref_size 146
		.amdhsa_round_robin_scheduling 0
		.amdhsa_exception_fp_ieee_invalid_op 0
		.amdhsa_exception_fp_denorm_src 0
		.amdhsa_exception_fp_ieee_div_zero 0
		.amdhsa_exception_fp_ieee_overflow 0
		.amdhsa_exception_fp_ieee_underflow 0
		.amdhsa_exception_fp_ieee_inexact 0
		.amdhsa_exception_int_div_zero 0
	.end_amdhsa_kernel
	.section	.text._ZN2at6native12_GLOBAL__N_16kernel18lstm_cell_backwardIddlLi2EEEvNS_4cuda6detail10TensorInfoIT_T1_EES9_S9_S9_S9_S9_S9_S8_S8_,"axG",@progbits,_ZN2at6native12_GLOBAL__N_16kernel18lstm_cell_backwardIddlLi2EEEvNS_4cuda6detail10TensorInfoIT_T1_EES9_S9_S9_S9_S9_S9_S8_S8_,comdat
.Lfunc_end19:
	.size	_ZN2at6native12_GLOBAL__N_16kernel18lstm_cell_backwardIddlLi2EEEvNS_4cuda6detail10TensorInfoIT_T1_EES9_S9_S9_S9_S9_S9_S8_S8_, .Lfunc_end19-_ZN2at6native12_GLOBAL__N_16kernel18lstm_cell_backwardIddlLi2EEEvNS_4cuda6detail10TensorInfoIT_T1_EES9_S9_S9_S9_S9_S9_S8_S8_
                                        ; -- End function
	.set _ZN2at6native12_GLOBAL__N_16kernel18lstm_cell_backwardIddlLi2EEEvNS_4cuda6detail10TensorInfoIT_T1_EES9_S9_S9_S9_S9_S9_S8_S8_.num_vgpr, 60
	.set _ZN2at6native12_GLOBAL__N_16kernel18lstm_cell_backwardIddlLi2EEEvNS_4cuda6detail10TensorInfoIT_T1_EES9_S9_S9_S9_S9_S9_S8_S8_.num_agpr, 0
	.set _ZN2at6native12_GLOBAL__N_16kernel18lstm_cell_backwardIddlLi2EEEvNS_4cuda6detail10TensorInfoIT_T1_EES9_S9_S9_S9_S9_S9_S8_S8_.numbered_sgpr, 105
	.set _ZN2at6native12_GLOBAL__N_16kernel18lstm_cell_backwardIddlLi2EEEvNS_4cuda6detail10TensorInfoIT_T1_EES9_S9_S9_S9_S9_S9_S8_S8_.num_named_barrier, 0
	.set _ZN2at6native12_GLOBAL__N_16kernel18lstm_cell_backwardIddlLi2EEEvNS_4cuda6detail10TensorInfoIT_T1_EES9_S9_S9_S9_S9_S9_S8_S8_.private_seg_size, 0
	.set _ZN2at6native12_GLOBAL__N_16kernel18lstm_cell_backwardIddlLi2EEEvNS_4cuda6detail10TensorInfoIT_T1_EES9_S9_S9_S9_S9_S9_S8_S8_.uses_vcc, 1
	.set _ZN2at6native12_GLOBAL__N_16kernel18lstm_cell_backwardIddlLi2EEEvNS_4cuda6detail10TensorInfoIT_T1_EES9_S9_S9_S9_S9_S9_S8_S8_.uses_flat_scratch, 0
	.set _ZN2at6native12_GLOBAL__N_16kernel18lstm_cell_backwardIddlLi2EEEvNS_4cuda6detail10TensorInfoIT_T1_EES9_S9_S9_S9_S9_S9_S8_S8_.has_dyn_sized_stack, 0
	.set _ZN2at6native12_GLOBAL__N_16kernel18lstm_cell_backwardIddlLi2EEEvNS_4cuda6detail10TensorInfoIT_T1_EES9_S9_S9_S9_S9_S9_S8_S8_.has_recursion, 0
	.set _ZN2at6native12_GLOBAL__N_16kernel18lstm_cell_backwardIddlLi2EEEvNS_4cuda6detail10TensorInfoIT_T1_EES9_S9_S9_S9_S9_S9_S8_S8_.has_indirect_call, 0
	.section	.AMDGPU.csdata,"",@progbits
; Kernel info:
; codeLenInByte = 18688
; TotalNumSgprs: 107
; NumVgprs: 60
; ScratchSize: 0
; MemoryBound: 0
; FloatMode: 240
; IeeeMode: 1
; LDSByteSize: 0 bytes/workgroup (compile time only)
; SGPRBlocks: 0
; VGPRBlocks: 7
; NumSGPRsForWavesPerEU: 107
; NumVGPRsForWavesPerEU: 60
; Occupancy: 16
; WaveLimiterHint : 1
; COMPUTE_PGM_RSRC2:SCRATCH_EN: 0
; COMPUTE_PGM_RSRC2:USER_SGPR: 2
; COMPUTE_PGM_RSRC2:TRAP_HANDLER: 0
; COMPUTE_PGM_RSRC2:TGID_X_EN: 1
; COMPUTE_PGM_RSRC2:TGID_Y_EN: 0
; COMPUTE_PGM_RSRC2:TGID_Z_EN: 0
; COMPUTE_PGM_RSRC2:TIDIG_COMP_CNT: 0
	.section	.text._ZN2at6native12_GLOBAL__N_16kernel18lstm_cell_backwardIffiLi1EEEvNS_4cuda6detail10TensorInfoIT_T1_EES9_S9_S9_S9_S9_S9_S8_S8_,"axG",@progbits,_ZN2at6native12_GLOBAL__N_16kernel18lstm_cell_backwardIffiLi1EEEvNS_4cuda6detail10TensorInfoIT_T1_EES9_S9_S9_S9_S9_S9_S8_S8_,comdat
	.globl	_ZN2at6native12_GLOBAL__N_16kernel18lstm_cell_backwardIffiLi1EEEvNS_4cuda6detail10TensorInfoIT_T1_EES9_S9_S9_S9_S9_S9_S8_S8_ ; -- Begin function _ZN2at6native12_GLOBAL__N_16kernel18lstm_cell_backwardIffiLi1EEEvNS_4cuda6detail10TensorInfoIT_T1_EES9_S9_S9_S9_S9_S9_S8_S8_
	.p2align	8
	.type	_ZN2at6native12_GLOBAL__N_16kernel18lstm_cell_backwardIffiLi1EEEvNS_4cuda6detail10TensorInfoIT_T1_EES9_S9_S9_S9_S9_S9_S8_S8_,@function
_ZN2at6native12_GLOBAL__N_16kernel18lstm_cell_backwardIffiLi1EEEvNS_4cuda6detail10TensorInfoIT_T1_EES9_S9_S9_S9_S9_S9_S8_S8_: ; @_ZN2at6native12_GLOBAL__N_16kernel18lstm_cell_backwardIffiLi1EEEvNS_4cuda6detail10TensorInfoIT_T1_EES9_S9_S9_S9_S9_S9_S8_S8_
; %bb.0:
	s_clause 0x1
	s_load_b32 s4, s[0:1], 0x5fc
	s_load_b64 s[2:3], s[0:1], 0x5e8
	s_wait_kmcnt 0x0
	s_and_b32 s23, s4, 0xffff
	s_mov_b32 s4, exec_lo
	v_mad_co_u64_u32 v[0:1], null, ttmp9, s23, v[0:1]
	s_delay_alu instid0(VALU_DEP_1)
	v_cmpx_gt_i32_e64 s3, v0
	s_cbranch_execz .LBB20_11
; %bb.1:
	s_clause 0x6
	s_load_b64 s[4:5], s[0:1], 0x360
	s_load_b64 s[6:7], s[0:1], 0x438
	s_load_b32 s25, s[0:1], 0x21c
	s_load_b32 s26, s[0:1], 0x2f4
	;; [unrolled: 1-line block ×5, first 2 shown]
	s_add_nc_u64 s[8:9], s[0:1], 0x5f0
	s_mul_i32 s22, s2, 3
	s_load_b32 s24, s[8:9], 0x0
	s_clause 0x2
	s_load_b64 s[8:9], s[0:1], 0x1b0
	s_load_b64 s[10:11], s[0:1], 0x288
	;; [unrolled: 1-line block ×3, first 2 shown]
	s_wait_kmcnt 0x0
	v_mul_lo_u32 v1, v0, s25
	s_cmp_lg_u64 s[4:5], 0
	v_mul_lo_u32 v3, v0, s26
	s_cselect_b32 s18, -1, 0
	s_cmp_lg_u64 s[6:7], 0
	v_mul_lo_u32 v5, v0, s27
	s_cselect_b32 s19, -1, 0
	s_abs_i32 s20, s2
	v_mul_lo_u32 v7, v0, s28
	s_cvt_f32_u32 s14, s20
	v_mul_lo_u32 v9, v0, s29
	s_sub_co_i32 s31, 0, s20
	s_mul_i32 s23, s24, s23
	v_rcp_iflag_f32_e32 v2, s14
	s_clause 0x3
	s_load_b64 s[14:15], s[0:1], 0x0
	s_load_b32 s21, s[0:1], 0x6c
	s_load_b64 s[16:17], s[0:1], 0xd8
	s_load_b32 s0, s[0:1], 0x144
	s_mov_b32 s1, 0
	s_ashr_i32 s24, s2, 31
	s_mul_i32 s25, s23, s25
	s_mul_i32 s26, s23, s26
	;; [unrolled: 1-line block ×5, first 2 shown]
	v_readfirstlane_b32 s30, v2
	s_mul_f32 s30, s30, 0x4f7ffffe
	s_delay_alu instid0(SALU_CYCLE_3) | instskip(NEXT) | instid1(SALU_CYCLE_3)
	s_cvt_u32_f32 s30, s30
	s_mul_i32 s31, s31, s30
	s_delay_alu instid0(SALU_CYCLE_1) | instskip(NEXT) | instid1(SALU_CYCLE_1)
	s_mul_hi_u32 s31, s30, s31
	s_add_co_i32 s30, s30, s31
	s_mov_b32 s31, 0xbbbac73d
	s_branch .LBB20_3
.LBB20_2:                               ;   in Loop: Header=BB20_3 Depth=1
	s_or_b32 exec_lo, exec_lo, s33
	v_mul_lo_u32 v11, v11, s0
	v_mul_lo_u32 v19, v6, s0
	;; [unrolled: 1-line block ×4, first 2 shown]
	v_ashrrev_i32_e32 v6, 31, v5
	v_bfi_b32 v14, 0x7fffffff, v18, v17
	v_add_nc_u32_e32 v0, s23, v0
	v_add_nc_u32_e32 v7, s28, v7
	v_ashrrev_i32_e32 v12, 31, v11
	v_ashrrev_i32_e32 v20, 31, v19
	;; [unrolled: 1-line block ×3, first 2 shown]
	v_fma_f32 v25, -v14, v14, 1.0
	v_ashrrev_i32_e32 v24, 31, v23
	v_lshlrev_b64_e32 v[11:12], 2, v[11:12]
	v_lshlrev_b64_e32 v[19:20], 2, v[19:20]
	v_lshlrev_b64_e32 v[21:22], 2, v[21:22]
	v_add_nc_u32_e32 v3, s26, v3
	v_lshlrev_b64_e32 v[23:24], 2, v[23:24]
	v_add_nc_u32_e32 v1, s25, v1
	v_add_co_u32 v11, vcc_lo, s16, v11
	s_wait_alu 0xfffd
	v_add_co_ci_u32_e64 v12, null, s17, v12, vcc_lo
	v_add_co_u32 v19, vcc_lo, s16, v19
	s_wait_alu 0xfffd
	v_add_co_ci_u32_e64 v20, null, s17, v20, vcc_lo
	;; [unrolled: 3-line block ×3, first 2 shown]
	v_lshlrev_b64_e32 v[21:22], 2, v[5:6]
	v_mul_f32_e32 v6, v13, v8
	v_mul_f32_e32 v8, v8, v14
	v_sub_f32_e32 v14, 1.0, v13
	v_add_co_u32 v23, vcc_lo, s16, v23
	s_delay_alu instid0(VALU_DEP_4) | instskip(SKIP_1) | instid1(VALU_DEP_4)
	v_dual_fmac_f32 v10, v6, v25 :: v_dual_sub_f32 v25, 1.0, v2
	v_sub_f32_e32 v26, 1.0, v4
	v_mul_f32_e32 v8, v14, v8
	s_wait_alu 0xfffd
	v_add_co_ci_u32_e64 v24, null, s17, v24, vcc_lo
	v_mul_f32_e32 v6, v15, v10
	v_dual_mul_f32 v16, v16, v10 :: v_dual_add_nc_u32 v5, s27, v5
	v_mul_f32_e32 v27, v2, v10
	v_fma_f32 v15, -v15, v15, 1.0
	s_delay_alu instid0(VALU_DEP_4)
	v_dual_mul_f32 v6, v25, v6 :: v_dual_add_nc_u32 v9, s29, v9
	v_add_co_u32 v21, vcc_lo, s12, v21
	v_mul_f32_e32 v16, v26, v16
	s_wait_alu 0xfffd
	v_add_co_ci_u32_e64 v22, null, s13, v22, vcc_lo
	v_cmp_le_i32_e32 vcc_lo, s3, v0
	v_mul_f32_e32 v2, v2, v6
	v_mul_f32_e32 v6, v15, v27
	;; [unrolled: 1-line block ×5, first 2 shown]
	s_or_b32 s1, vcc_lo, s1
	s_clause 0x3
	global_store_b32 v[11:12], v2, off
	global_store_b32 v[19:20], v4, off
	global_store_b32 v[17:18], v6, off
	global_store_b32 v[23:24], v8, off
	global_store_b32 v[21:22], v10, off
	s_wait_alu 0xfffe
	s_and_not1_b32 exec_lo, exec_lo, s1
	s_cbranch_execz .LBB20_11
.LBB20_3:                               ; =>This Inner Loop Header: Depth=1
	v_sub_nc_u32_e32 v2, 0, v0
	v_mov_b32_e32 v10, 0
	s_delay_alu instid0(VALU_DEP_2) | instskip(NEXT) | instid1(VALU_DEP_1)
	v_max_i32_e32 v2, v0, v2
	v_mul_hi_u32 v4, v2, s30
	s_delay_alu instid0(VALU_DEP_1) | instskip(NEXT) | instid1(VALU_DEP_1)
	v_mul_lo_u32 v6, v4, s20
	v_sub_nc_u32_e32 v2, v2, v6
	v_add_nc_u32_e32 v6, 1, v4
	s_delay_alu instid0(VALU_DEP_2) | instskip(SKIP_2) | instid1(VALU_DEP_3)
	v_subrev_nc_u32_e32 v8, s20, v2
	v_cmp_le_u32_e32 vcc_lo, s20, v2
	s_wait_alu 0xfffd
	v_cndmask_b32_e32 v4, v4, v6, vcc_lo
	s_delay_alu instid0(VALU_DEP_3) | instskip(SKIP_1) | instid1(VALU_DEP_3)
	v_cndmask_b32_e32 v2, v2, v8, vcc_lo
	v_ashrrev_i32_e32 v6, 31, v0
	v_add_nc_u32_e32 v8, 1, v4
	s_delay_alu instid0(VALU_DEP_3) | instskip(SKIP_1) | instid1(VALU_DEP_3)
	v_cmp_le_u32_e32 vcc_lo, s20, v2
	s_wait_alu 0xfffe
	v_xor_b32_e32 v6, s24, v6
	s_wait_alu 0xfffd
	v_cndmask_b32_e32 v2, v4, v8, vcc_lo
	s_delay_alu instid0(VALU_DEP_2) | instskip(NEXT) | instid1(VALU_DEP_2)
	v_mul_i32_i24_e32 v4, 3, v6
	v_xor_b32_e32 v2, v2, v6
	s_delay_alu instid0(VALU_DEP_1) | instskip(SKIP_1) | instid1(VALU_DEP_2)
	v_lshl_add_u32 v8, v2, 1, v2
	v_sub_nc_u32_e32 v2, v2, v6
	v_sub_nc_u32_e32 v6, v8, v4
	s_delay_alu instid0(VALU_DEP_2) | instskip(SKIP_2) | instid1(VALU_DEP_4)
	v_mad_co_u64_u32 v[11:12], null, s22, v2, v[0:1]
	v_ashrrev_i32_e32 v2, 31, v1
	v_ashrrev_i32_e32 v4, 31, v3
	v_mul_lo_u32 v8, s2, v6
	s_delay_alu instid0(VALU_DEP_3) | instskip(SKIP_1) | instid1(VALU_DEP_4)
	v_lshlrev_b64_e32 v[16:17], 2, v[1:2]
	v_add_nc_u32_e32 v2, 2, v6
	v_lshlrev_b64_e32 v[20:21], 2, v[3:4]
	v_add_nc_u32_e32 v4, 3, v6
	s_wait_kmcnt 0x0
	v_mul_lo_u32 v18, v11, s21
	v_add3_u32 v6, v8, s2, v0
	v_mad_co_u64_u32 v[14:15], null, s2, v2, v[0:1]
	v_mad_co_u64_u32 v[12:13], null, s2, v4, v[0:1]
	s_delay_alu instid0(VALU_DEP_3)
	v_mul_lo_u32 v15, v6, s21
	v_add_co_u32 v22, vcc_lo, s8, v16
	s_wait_alu 0xfffd
	v_add_co_ci_u32_e64 v23, null, s9, v17, vcc_lo
	v_mul_lo_u32 v17, v14, s21
	v_mul_lo_u32 v24, v12, s21
	v_ashrrev_i32_e32 v19, 31, v18
	v_ashrrev_i32_e32 v16, 31, v15
	v_mov_b32_e32 v8, 0
	s_delay_alu instid0(VALU_DEP_3) | instskip(SKIP_4) | instid1(VALU_DEP_4)
	v_lshlrev_b64_e32 v[26:27], 2, v[18:19]
	v_ashrrev_i32_e32 v18, 31, v17
	v_ashrrev_i32_e32 v25, 31, v24
	v_lshlrev_b64_e32 v[15:16], 2, v[15:16]
	v_add_co_u32 v19, vcc_lo, s10, v20
	v_lshlrev_b64_e32 v[17:18], 2, v[17:18]
	s_wait_alu 0xfffd
	v_add_co_ci_u32_e64 v20, null, s11, v21, vcc_lo
	v_add_co_u32 v26, vcc_lo, s14, v26
	v_lshlrev_b64_e32 v[24:25], 2, v[24:25]
	s_wait_alu 0xfffd
	v_add_co_ci_u32_e64 v27, null, s15, v27, vcc_lo
	v_add_co_u32 v28, vcc_lo, s14, v15
	s_wait_alu 0xfffd
	v_add_co_ci_u32_e64 v29, null, s15, v16, vcc_lo
	v_add_co_u32 v17, vcc_lo, s14, v17
	;; [unrolled: 3-line block ×3, first 2 shown]
	s_wait_alu 0xfffd
	v_add_co_ci_u32_e64 v25, null, s15, v25, vcc_lo
	global_load_b32 v16, v[22:23], off
	s_clause 0x3
	global_load_b32 v2, v[26:27], off
	global_load_b32 v4, v[28:29], off
	;; [unrolled: 1-line block ×5, first 2 shown]
	s_and_not1_b32 vcc_lo, exec_lo, s18
	s_wait_alu 0xfffe
	s_cbranch_vccnz .LBB20_5
; %bb.4:                                ;   in Loop: Header=BB20_3 Depth=1
	v_ashrrev_i32_e32 v8, 31, v7
	s_delay_alu instid0(VALU_DEP_1) | instskip(NEXT) | instid1(VALU_DEP_1)
	v_lshlrev_b64_e32 v[18:19], 2, v[7:8]
	v_add_co_u32 v18, vcc_lo, s4, v18
	s_wait_alu 0xfffd
	s_delay_alu instid0(VALU_DEP_2)
	v_add_co_ci_u32_e64 v19, null, s5, v19, vcc_lo
	global_load_b32 v8, v[18:19], off
.LBB20_5:                               ;   in Loop: Header=BB20_3 Depth=1
	s_and_not1_b32 vcc_lo, exec_lo, s19
	s_wait_alu 0xfffe
	s_cbranch_vccnz .LBB20_7
; %bb.6:                                ;   in Loop: Header=BB20_3 Depth=1
	v_ashrrev_i32_e32 v10, 31, v9
	s_delay_alu instid0(VALU_DEP_1) | instskip(NEXT) | instid1(VALU_DEP_1)
	v_lshlrev_b64_e32 v[18:19], 2, v[9:10]
	v_add_co_u32 v18, vcc_lo, s6, v18
	s_wait_alu 0xfffd
	s_delay_alu instid0(VALU_DEP_2)
	v_add_co_ci_u32_e64 v19, null, s7, v19, vcc_lo
	global_load_b32 v10, v[18:19], off
.LBB20_7:                               ;   in Loop: Header=BB20_3 Depth=1
	s_wait_loadcnt 0x0
	v_cmp_ngt_f32_e64 s33, 0x3f200000, |v17|
                                        ; implicit-def: $vgpr18
	s_and_saveexec_b32 s34, s33
	s_delay_alu instid0(SALU_CYCLE_1)
	s_xor_b32 s33, exec_lo, s34
	s_cbranch_execz .LBB20_9
; %bb.8:                                ;   in Loop: Header=BB20_3 Depth=1
	v_add_f32_e64 v18, |v17|, |v17|
	s_delay_alu instid0(VALU_DEP_1) | instskip(SKIP_1) | instid1(VALU_DEP_2)
	v_mul_f32_e32 v19, 0x3fb8aa3b, v18
	v_cmp_ngt_f32_e32 vcc_lo, 0xc2ce8ed0, v18
	v_rndne_f32_e32 v20, v19
	v_fma_f32 v21, 0x3fb8aa3b, v18, -v19
	s_delay_alu instid0(VALU_DEP_2) | instskip(NEXT) | instid1(VALU_DEP_2)
	v_sub_f32_e32 v19, v19, v20
	v_fmac_f32_e32 v21, 0x32a5705f, v18
	v_cvt_i32_f32_e32 v20, v20
	s_delay_alu instid0(VALU_DEP_2) | instskip(NEXT) | instid1(VALU_DEP_1)
	v_add_f32_e32 v19, v19, v21
	v_exp_f32_e32 v19, v19
	s_delay_alu instid0(TRANS32_DEP_1) | instskip(SKIP_1) | instid1(VALU_DEP_1)
	v_ldexp_f32 v19, v19, v20
	s_wait_alu 0xfffd
	v_cndmask_b32_e32 v19, 0, v19, vcc_lo
	v_cmp_nlt_f32_e32 vcc_lo, 0x42b17218, v18
	s_wait_alu 0xfffd
	s_delay_alu instid0(VALU_DEP_2) | instskip(NEXT) | instid1(VALU_DEP_1)
	v_cndmask_b32_e32 v18, 0x7f800000, v19, vcc_lo
	v_add_f32_e32 v18, 1.0, v18
	s_delay_alu instid0(VALU_DEP_1) | instskip(NEXT) | instid1(TRANS32_DEP_1)
	v_rcp_f32_e32 v18, v18
	v_fma_f32 v18, v18, -2.0, 1.0
.LBB20_9:                               ;   in Loop: Header=BB20_3 Depth=1
	s_and_not1_saveexec_b32 s33, s33
	s_cbranch_execz .LBB20_2
; %bb.10:                               ;   in Loop: Header=BB20_3 Depth=1
	v_mul_f32_e32 v18, v17, v17
	s_delay_alu instid0(VALU_DEP_1) | instskip(NEXT) | instid1(VALU_DEP_1)
	v_fmaak_f32 v19, s31, v18, 0x3ca908c9
	v_fmaak_f32 v19, v18, v19, 0xbd5c1c4e
	s_delay_alu instid0(VALU_DEP_1) | instskip(NEXT) | instid1(VALU_DEP_1)
	v_fmaak_f32 v19, v18, v19, 0x3e088382
	v_fmaak_f32 v19, v18, v19, 0xbeaaaa99
	s_delay_alu instid0(VALU_DEP_1) | instskip(NEXT) | instid1(VALU_DEP_1)
	v_mul_f32_e64 v19, |v17|, v19
	v_fma_f32 v18, v18, v19, |v17|
	s_branch .LBB20_2
.LBB20_11:
	s_endpgm
	.section	.rodata,"a",@progbits
	.p2align	6, 0x0
	.amdhsa_kernel _ZN2at6native12_GLOBAL__N_16kernel18lstm_cell_backwardIffiLi1EEEvNS_4cuda6detail10TensorInfoIT_T1_EES9_S9_S9_S9_S9_S9_S8_S8_
		.amdhsa_group_segment_fixed_size 0
		.amdhsa_private_segment_fixed_size 0
		.amdhsa_kernarg_size 1776
		.amdhsa_user_sgpr_count 2
		.amdhsa_user_sgpr_dispatch_ptr 0
		.amdhsa_user_sgpr_queue_ptr 0
		.amdhsa_user_sgpr_kernarg_segment_ptr 1
		.amdhsa_user_sgpr_dispatch_id 0
		.amdhsa_user_sgpr_private_segment_size 0
		.amdhsa_wavefront_size32 1
		.amdhsa_uses_dynamic_stack 0
		.amdhsa_enable_private_segment 0
		.amdhsa_system_sgpr_workgroup_id_x 1
		.amdhsa_system_sgpr_workgroup_id_y 0
		.amdhsa_system_sgpr_workgroup_id_z 0
		.amdhsa_system_sgpr_workgroup_info 0
		.amdhsa_system_vgpr_workitem_id 0
		.amdhsa_next_free_vgpr 30
		.amdhsa_next_free_sgpr 35
		.amdhsa_reserve_vcc 1
		.amdhsa_float_round_mode_32 0
		.amdhsa_float_round_mode_16_64 0
		.amdhsa_float_denorm_mode_32 3
		.amdhsa_float_denorm_mode_16_64 3
		.amdhsa_fp16_overflow 0
		.amdhsa_workgroup_processor_mode 1
		.amdhsa_memory_ordered 1
		.amdhsa_forward_progress 1
		.amdhsa_inst_pref_size 13
		.amdhsa_round_robin_scheduling 0
		.amdhsa_exception_fp_ieee_invalid_op 0
		.amdhsa_exception_fp_denorm_src 0
		.amdhsa_exception_fp_ieee_div_zero 0
		.amdhsa_exception_fp_ieee_overflow 0
		.amdhsa_exception_fp_ieee_underflow 0
		.amdhsa_exception_fp_ieee_inexact 0
		.amdhsa_exception_int_div_zero 0
	.end_amdhsa_kernel
	.section	.text._ZN2at6native12_GLOBAL__N_16kernel18lstm_cell_backwardIffiLi1EEEvNS_4cuda6detail10TensorInfoIT_T1_EES9_S9_S9_S9_S9_S9_S8_S8_,"axG",@progbits,_ZN2at6native12_GLOBAL__N_16kernel18lstm_cell_backwardIffiLi1EEEvNS_4cuda6detail10TensorInfoIT_T1_EES9_S9_S9_S9_S9_S9_S8_S8_,comdat
.Lfunc_end20:
	.size	_ZN2at6native12_GLOBAL__N_16kernel18lstm_cell_backwardIffiLi1EEEvNS_4cuda6detail10TensorInfoIT_T1_EES9_S9_S9_S9_S9_S9_S8_S8_, .Lfunc_end20-_ZN2at6native12_GLOBAL__N_16kernel18lstm_cell_backwardIffiLi1EEEvNS_4cuda6detail10TensorInfoIT_T1_EES9_S9_S9_S9_S9_S9_S8_S8_
                                        ; -- End function
	.set _ZN2at6native12_GLOBAL__N_16kernel18lstm_cell_backwardIffiLi1EEEvNS_4cuda6detail10TensorInfoIT_T1_EES9_S9_S9_S9_S9_S9_S8_S8_.num_vgpr, 30
	.set _ZN2at6native12_GLOBAL__N_16kernel18lstm_cell_backwardIffiLi1EEEvNS_4cuda6detail10TensorInfoIT_T1_EES9_S9_S9_S9_S9_S9_S8_S8_.num_agpr, 0
	.set _ZN2at6native12_GLOBAL__N_16kernel18lstm_cell_backwardIffiLi1EEEvNS_4cuda6detail10TensorInfoIT_T1_EES9_S9_S9_S9_S9_S9_S8_S8_.numbered_sgpr, 35
	.set _ZN2at6native12_GLOBAL__N_16kernel18lstm_cell_backwardIffiLi1EEEvNS_4cuda6detail10TensorInfoIT_T1_EES9_S9_S9_S9_S9_S9_S8_S8_.num_named_barrier, 0
	.set _ZN2at6native12_GLOBAL__N_16kernel18lstm_cell_backwardIffiLi1EEEvNS_4cuda6detail10TensorInfoIT_T1_EES9_S9_S9_S9_S9_S9_S8_S8_.private_seg_size, 0
	.set _ZN2at6native12_GLOBAL__N_16kernel18lstm_cell_backwardIffiLi1EEEvNS_4cuda6detail10TensorInfoIT_T1_EES9_S9_S9_S9_S9_S9_S8_S8_.uses_vcc, 1
	.set _ZN2at6native12_GLOBAL__N_16kernel18lstm_cell_backwardIffiLi1EEEvNS_4cuda6detail10TensorInfoIT_T1_EES9_S9_S9_S9_S9_S9_S8_S8_.uses_flat_scratch, 0
	.set _ZN2at6native12_GLOBAL__N_16kernel18lstm_cell_backwardIffiLi1EEEvNS_4cuda6detail10TensorInfoIT_T1_EES9_S9_S9_S9_S9_S9_S8_S8_.has_dyn_sized_stack, 0
	.set _ZN2at6native12_GLOBAL__N_16kernel18lstm_cell_backwardIffiLi1EEEvNS_4cuda6detail10TensorInfoIT_T1_EES9_S9_S9_S9_S9_S9_S8_S8_.has_recursion, 0
	.set _ZN2at6native12_GLOBAL__N_16kernel18lstm_cell_backwardIffiLi1EEEvNS_4cuda6detail10TensorInfoIT_T1_EES9_S9_S9_S9_S9_S9_S8_S8_.has_indirect_call, 0
	.section	.AMDGPU.csdata,"",@progbits
; Kernel info:
; codeLenInByte = 1604
; TotalNumSgprs: 37
; NumVgprs: 30
; ScratchSize: 0
; MemoryBound: 0
; FloatMode: 240
; IeeeMode: 1
; LDSByteSize: 0 bytes/workgroup (compile time only)
; SGPRBlocks: 0
; VGPRBlocks: 3
; NumSGPRsForWavesPerEU: 37
; NumVGPRsForWavesPerEU: 30
; Occupancy: 16
; WaveLimiterHint : 1
; COMPUTE_PGM_RSRC2:SCRATCH_EN: 0
; COMPUTE_PGM_RSRC2:USER_SGPR: 2
; COMPUTE_PGM_RSRC2:TRAP_HANDLER: 0
; COMPUTE_PGM_RSRC2:TGID_X_EN: 1
; COMPUTE_PGM_RSRC2:TGID_Y_EN: 0
; COMPUTE_PGM_RSRC2:TGID_Z_EN: 0
; COMPUTE_PGM_RSRC2:TIDIG_COMP_CNT: 0
	.section	.text._ZN2at6native12_GLOBAL__N_16kernel18lstm_cell_backwardIffiLi2EEEvNS_4cuda6detail10TensorInfoIT_T1_EES9_S9_S9_S9_S9_S9_S8_S8_,"axG",@progbits,_ZN2at6native12_GLOBAL__N_16kernel18lstm_cell_backwardIffiLi2EEEvNS_4cuda6detail10TensorInfoIT_T1_EES9_S9_S9_S9_S9_S9_S8_S8_,comdat
	.globl	_ZN2at6native12_GLOBAL__N_16kernel18lstm_cell_backwardIffiLi2EEEvNS_4cuda6detail10TensorInfoIT_T1_EES9_S9_S9_S9_S9_S9_S8_S8_ ; -- Begin function _ZN2at6native12_GLOBAL__N_16kernel18lstm_cell_backwardIffiLi2EEEvNS_4cuda6detail10TensorInfoIT_T1_EES9_S9_S9_S9_S9_S9_S8_S8_
	.p2align	8
	.type	_ZN2at6native12_GLOBAL__N_16kernel18lstm_cell_backwardIffiLi2EEEvNS_4cuda6detail10TensorInfoIT_T1_EES9_S9_S9_S9_S9_S9_S8_S8_,@function
_ZN2at6native12_GLOBAL__N_16kernel18lstm_cell_backwardIffiLi2EEEvNS_4cuda6detail10TensorInfoIT_T1_EES9_S9_S9_S9_S9_S9_S8_S8_: ; @_ZN2at6native12_GLOBAL__N_16kernel18lstm_cell_backwardIffiLi2EEEvNS_4cuda6detail10TensorInfoIT_T1_EES9_S9_S9_S9_S9_S9_S8_S8_
; %bb.0:
	s_clause 0x1
	s_load_b32 s4, s[0:1], 0x5fc
	s_load_b64 s[2:3], s[0:1], 0x5e8
	s_wait_kmcnt 0x0
	s_and_b32 s41, s4, 0xffff
	s_mov_b32 s4, exec_lo
	v_mad_co_u64_u32 v[0:1], null, ttmp9, s41, v[0:1]
	s_delay_alu instid0(VALU_DEP_1)
	v_cmpx_gt_i32_e64 s3, v0
	s_cbranch_execz .LBB21_11
; %bb.1:
	s_clause 0xb
	s_load_b64 s[4:5], s[0:1], 0x360
	s_load_b64 s[6:7], s[0:1], 0x438
	s_load_b32 s33, s[0:1], 0xc
	s_load_b32 s67, s[0:1], 0x36c
	s_load_b64 s[8:9], s[0:1], 0x3cc
	s_load_b32 s34, s[0:1], 0xe4
	s_load_b64 s[10:11], s[0:1], 0x0
	s_load_b64 s[12:13], s[0:1], 0x6c
	;; [unrolled: 1-line block ×5, first 2 shown]
	s_load_b32 s64, s[0:1], 0x1bc
	s_add_nc_u64 s[20:21], s[0:1], 0x5f0
	s_load_b64 s[30:31], s[0:1], 0x57c
	s_load_b32 s42, s[20:21], 0x0
	s_clause 0x3
	s_load_b64 s[20:21], s[0:1], 0x21c
	s_load_b64 s[22:23], s[0:1], 0x288
	s_load_b32 s65, s[0:1], 0x294
	s_load_b64 s[24:25], s[0:1], 0x2f4
	s_mov_b32 s40, 0
	s_mul_i32 s63, s2, 3
	s_mov_b32 s69, 0xbbbac73d
	s_wait_kmcnt 0x0
	s_cmp_lg_u64 s[4:5], 0
	s_cselect_b32 s35, -1, 0
	s_cmp_lg_u64 s[6:7], 0
	s_cselect_b32 s36, -1, 0
	s_abs_i32 s37, s2
	s_abs_i32 s38, s33
	s_cvt_f32_u32 s26, s37
	s_cvt_f32_u32 s27, s38
	s_abs_i32 s39, s34
	s_abs_i32 s44, s64
	v_rcp_iflag_f32_e32 v1, s26
	v_rcp_iflag_f32_e32 v2, s27
	s_cvt_f32_u32 s43, s39
	s_clause 0x3
	s_load_b32 s68, s[0:1], 0x444
	s_load_b64 s[26:27], s[0:1], 0x4a4
	s_load_b64 s[28:29], s[0:1], 0x510
	s_load_b32 s66, s[0:1], 0x51c
	s_cvt_f32_u32 s46, s44
	s_sub_co_i32 s45, 0, s37
	v_rcp_iflag_f32_e32 v3, s43
	s_sub_co_i32 s48, 0, s38
	s_sub_co_i32 s50, 0, s39
	s_abs_i32 s53, s67
	v_readfirstlane_b32 s0, v1
	v_readfirstlane_b32 s1, v2
	v_rcp_iflag_f32_e32 v1, s46
	s_sub_co_i32 s60, 0, s53
	s_mul_i32 s41, s42, s41
	s_mul_f32 s0, s0, 0x4f7ffffe
	v_readfirstlane_b32 s47, v3
	s_mul_f32 s1, s1, 0x4f7ffffe
	s_ashr_i32 s42, s2, 31
	s_wait_alu 0xfffe
	s_cvt_u32_f32 s0, s0
	s_ashr_i32 s43, s33, 31
	s_cvt_u32_f32 s1, s1
	s_mul_f32 s47, s47, 0x4f7ffffe
	s_wait_alu 0xfffe
	s_mul_i32 s45, s45, s0
	s_delay_alu instid0(SALU_CYCLE_1)
	s_mul_hi_u32 s45, s0, s45
	s_mul_i32 s48, s48, s1
	s_add_co_i32 s45, s0, s45
	s_cvt_u32_f32 s0, s47
	s_abs_i32 s47, s65
	s_mul_hi_u32 s46, s1, s48
	s_wait_alu 0xfffe
	s_cvt_f32_u32 s49, s47
	s_add_co_i32 s46, s1, s46
	v_readfirstlane_b32 s1, v1
	s_mul_i32 s50, s50, s0
	v_rcp_iflag_f32_e32 v1, s49
	s_wait_kmcnt 0x0
	s_abs_i32 s49, s66
	s_mul_hi_u32 s50, s0, s50
	s_mul_f32 s1, s1, 0x4f7ffffe
	s_wait_alu 0xfffe
	s_cvt_f32_u32 s51, s49
	s_add_co_i32 s50, s0, s50
	s_sub_co_i32 s0, 0, s44
	s_cvt_u32_f32 s1, s1
	v_rcp_iflag_f32_e32 v2, s51
	s_sub_co_i32 s57, 0, s49
	v_readfirstlane_b32 s54, v1
	s_wait_alu 0xfffe
	s_mul_i32 s0, s0, s1
	s_ashr_i32 s48, s34, 31
	s_wait_alu 0xfffe
	s_mul_hi_u32 s0, s1, s0
	s_ashr_i32 s51, s64, 31
	s_wait_alu 0xfffe
	s_add_co_i32 s52, s1, s0
	s_mul_f32 s0, s54, 0x4f7ffffe
	s_cvt_f32_u32 s1, s53
	s_abs_i32 s54, s68
	v_readfirstlane_b32 s55, v2
	s_cvt_f32_u32 s56, s54
	s_wait_alu 0xfffe
	v_rcp_iflag_f32_e32 v1, s1
	s_cvt_u32_f32 s0, s0
	s_sub_co_i32 s1, 0, s47
	v_rcp_iflag_f32_e32 v2, s56
	s_mul_f32 s56, s55, 0x4f7ffffe
	s_wait_alu 0xfffe
	s_mul_i32 s1, s1, s0
	s_sub_co_i32 s61, 0, s54
	s_wait_alu 0xfffe
	s_mul_hi_u32 s1, s0, s1
	s_cvt_u32_f32 s58, s56
	s_wait_alu 0xfffe
	s_add_co_i32 s56, s0, s1
	v_readfirstlane_b32 s59, v1
	s_ashr_i32 s55, s65, 31
	s_mul_i32 s57, s57, s58
	v_readfirstlane_b32 s0, v2
	s_wait_alu 0xfffe
	s_mul_hi_u32 s1, s58, s57
	s_mul_f32 s59, s59, 0x4f7ffffe
	s_wait_alu 0xfffe
	s_add_co_i32 s58, s58, s1
	s_ashr_i32 s57, s66, 31
	s_mul_f32 s0, s0, 0x4f7ffffe
	s_cvt_u32_f32 s1, s59
	s_ashr_i32 s59, s67, 31
	s_sub_co_i32 s64, 0, s64
	s_wait_alu 0xfffe
	s_cvt_u32_f32 s0, s0
	s_mul_i32 s60, s60, s1
	s_sub_co_i32 s65, 0, s65
	s_mul_hi_u32 s60, s1, s60
	s_wait_alu 0xfffe
	s_mul_i32 s61, s61, s0
	s_add_co_i32 s60, s1, s60
	s_mul_hi_u32 s1, s0, s61
	s_ashr_i32 s61, s68, 31
	s_wait_alu 0xfffe
	s_add_co_i32 s62, s0, s1
	s_sub_co_i32 s66, 0, s66
	s_sub_co_i32 s67, 0, s67
	;; [unrolled: 1-line block ×3, first 2 shown]
	s_branch .LBB21_3
.LBB21_2:                               ;   in Loop: Header=BB21_3 Depth=1
	s_wait_alu 0xfffe
	s_or_b32 exec_lo, exec_lo, s0
	v_mul_hi_u32 v24, v11, s50
	v_mul_hi_u32 v25, v12, s50
	;; [unrolled: 1-line block ×4, first 2 shown]
	v_xor_b32_e32 v22, s48, v22
	v_mul_hi_u32 v29, v3, s58
	v_xor_b32_e32 v21, s48, v21
	v_xor_b32_e32 v19, s48, v19
	v_mul_lo_u32 v27, v24, s39
	v_mul_lo_u32 v31, v25, s39
	;; [unrolled: 1-line block ×4, first 2 shown]
	v_xor_b32_e32 v17, s48, v17
	v_mul_lo_u32 v36, v29, s49
	v_bfi_b32 v16, 0x7fffffff, v23, v16
	v_sub_nc_u32_e32 v11, v11, v27
	v_sub_nc_u32_e32 v12, v12, v31
	;; [unrolled: 1-line block ×4, first 2 shown]
	s_delay_alu instid0(VALU_DEP_4)
	v_subrev_nc_u32_e32 v37, s39, v11
	v_cmp_le_u32_e32 vcc_lo, s39, v11
	v_add_nc_u32_e32 v30, 1, v24
	v_subrev_nc_u32_e32 v31, s39, v12
	s_wait_alu 0xfffd
	v_cndmask_b32_e32 v11, v11, v37, vcc_lo
	s_delay_alu instid0(VALU_DEP_3) | instskip(SKIP_2) | instid1(VALU_DEP_4)
	v_dual_cndmask_b32 v24, v24, v30 :: v_dual_add_nc_u32 v35, 1, v28
	v_cmp_le_u32_e32 vcc_lo, s39, v12
	v_add_nc_u32_e32 v27, 1, v26
	v_cmp_le_u32_e64 s0, s39, v11
	s_delay_alu instid0(VALU_DEP_4) | instskip(SKIP_3) | instid1(VALU_DEP_2)
	v_add_nc_u32_e32 v30, 1, v24
	s_wait_alu 0xfffd
	v_cndmask_b32_e32 v12, v12, v31, vcc_lo
	s_wait_alu 0xf1ff
	v_cndmask_b32_e64 v11, v24, v30, s0
	v_cmp_le_u32_e64 s0, s39, v13
	s_delay_alu instid0(VALU_DEP_2) | instskip(SKIP_1) | instid1(VALU_DEP_2)
	v_xor_b32_e32 v11, v11, v22
	s_wait_alu 0xf1ff
	v_cndmask_b32_e64 v24, v26, v27, s0
	v_subrev_nc_u32_e32 v26, s39, v13
	v_subrev_nc_u32_e32 v27, s39, v14
	v_sub_nc_u32_e32 v11, v11, v22
	s_delay_alu instid0(VALU_DEP_3) | instskip(SKIP_2) | instid1(VALU_DEP_4)
	v_cndmask_b32_e64 v13, v13, v26, s0
	v_add_nc_u32_e32 v26, 1, v24
	v_add_nc_u32_e32 v32, 1, v25
	v_mul_lo_u32 v22, v11, s34
	s_delay_alu instid0(VALU_DEP_2) | instskip(SKIP_1) | instid1(VALU_DEP_3)
	v_cndmask_b32_e32 v25, v25, v32, vcc_lo
	v_cmp_le_u32_e32 vcc_lo, s39, v12
	v_sub_nc_u32_e32 v6, v6, v22
	s_delay_alu instid0(VALU_DEP_3) | instskip(SKIP_1) | instid1(VALU_DEP_1)
	v_add_nc_u32_e32 v30, 1, v25
	s_wait_alu 0xfffd
	v_cndmask_b32_e32 v12, v25, v30, vcc_lo
	v_cmp_le_u32_e32 vcc_lo, s39, v13
	v_sub_nc_u32_e32 v25, v3, v36
	s_delay_alu instid0(VALU_DEP_3) | instskip(SKIP_3) | instid1(VALU_DEP_3)
	v_xor_b32_e32 v3, v12, v21
	s_wait_alu 0xfffd
	v_cndmask_b32_e32 v13, v24, v26, vcc_lo
	v_cmp_le_u32_e32 vcc_lo, s39, v14
	v_sub_nc_u32_e32 v21, v3, v21
	s_delay_alu instid0(VALU_DEP_3) | instskip(SKIP_3) | instid1(VALU_DEP_3)
	v_xor_b32_e32 v12, v13, v19
	s_wait_alu 0xfffd
	v_cndmask_b32_e32 v24, v28, v35, vcc_lo
	v_cndmask_b32_e32 v13, v14, v27, vcc_lo
	v_sub_nc_u32_e32 v12, v12, v19
	s_delay_alu instid0(VALU_DEP_3) | instskip(NEXT) | instid1(VALU_DEP_3)
	v_add_nc_u32_e32 v14, 1, v24
	v_cmp_le_u32_e32 vcc_lo, s39, v13
	v_mul_lo_u32 v13, v21, s34
	s_delay_alu instid0(VALU_DEP_4)
	v_mul_lo_u32 v19, v12, s34
	s_wait_alu 0xfffd
	v_cndmask_b32_e32 v3, v24, v14, vcc_lo
	v_cmp_le_u32_e32 vcc_lo, s49, v25
	v_subrev_nc_u32_e32 v24, s49, v25
	v_add_nc_u32_e32 v6, v0, v6
	v_add_nc_u32_e32 v14, 1, v29
	v_xor_b32_e32 v22, v3, v17
	v_sub_nc_u32_e32 v1, v1, v13
	s_delay_alu instid0(VALU_DEP_4) | instskip(NEXT) | instid1(VALU_DEP_3)
	v_mul_lo_u32 v3, v6, s17
	v_sub_nc_u32_e32 v13, v22, v17
	v_sub_nc_u32_e32 v17, v5, v19
	s_wait_alu 0xfffd
	v_dual_cndmask_b32 v14, v29, v14 :: v_dual_add_nc_u32 v1, v0, v1
	v_fma_f32 v19, -v16, v16, 1.0
	v_mul_f32_e32 v16, v18, v16
	v_mad_co_u64_u32 v[5:6], null, v11, s16, v[3:4]
	v_cndmask_b32_e32 v3, v25, v24, vcc_lo
	v_add_nc_u32_e32 v11, v0, v17
	v_add_nc_u32_e32 v6, 1, v14
	v_mul_lo_u32 v17, v13, s34
	v_mul_lo_u32 v1, v1, s17
	v_cmp_le_u32_e32 vcc_lo, s49, v3
	v_xor_b32_e32 v4, s57, v4
	v_mul_lo_u32 v3, v11, s17
	s_wait_alu 0xfffd
	v_cndmask_b32_e32 v6, v14, v6, vcc_lo
	v_sub_nc_u32_e32 v14, v2, v17
	v_mad_co_u64_u32 v[1:2], null, v21, s16, v[1:2]
	s_delay_alu instid0(VALU_DEP_3) | instskip(NEXT) | instid1(VALU_DEP_3)
	v_xor_b32_e32 v11, v6, v4
	v_add_nc_u32_e32 v2, v0, v14
	v_ashrrev_i32_e32 v6, 31, v5
	s_delay_alu instid0(VALU_DEP_3) | instskip(SKIP_1) | instid1(VALU_DEP_3)
	v_sub_nc_u32_e32 v17, v11, v4
	v_mad_co_u64_u32 v[3:4], null, v12, s16, v[3:4]
	v_lshlrev_b64_e32 v[5:6], 2, v[5:6]
	s_delay_alu instid0(VALU_DEP_3)
	v_mad_co_u64_u32 v[11:12], null, s66, v17, v[0:1]
	v_mul_lo_u32 v12, v2, s17
	v_ashrrev_i32_e32 v2, 31, v1
	v_ashrrev_i32_e32 v4, 31, v3
	v_add_co_u32 v5, vcc_lo, s14, v5
	s_wait_alu 0xfffd
	v_add_co_ci_u32_e64 v6, null, s15, v6, vcc_lo
	v_mul_lo_u32 v11, v11, s31
	v_mad_co_u64_u32 v[12:13], null, v13, s16, v[12:13]
	v_lshlrev_b64_e32 v[1:2], 2, v[1:2]
	v_lshlrev_b64_e32 v[3:4], 2, v[3:4]
	v_add_nc_u32_e32 v0, s41, v0
	s_delay_alu instid0(VALU_DEP_4)
	v_mad_co_u64_u32 v[21:22], null, v17, s30, v[11:12]
	v_ashrrev_i32_e32 v13, 31, v12
	v_mul_f32_e32 v17, v7, v18
	v_add_co_u32 v1, vcc_lo, s14, v1
	s_wait_alu 0xfffd
	v_add_co_ci_u32_e64 v2, null, s15, v2, vcc_lo
	v_ashrrev_i32_e32 v22, 31, v21
	v_lshlrev_b64_e32 v[11:12], 2, v[12:13]
	v_add_co_u32 v3, vcc_lo, s14, v3
	s_wait_alu 0xfffd
	v_add_co_ci_u32_e64 v4, null, s15, v4, vcc_lo
	v_lshlrev_b64_e32 v[13:14], 2, v[21:22]
	v_sub_f32_e32 v22, 1.0, v7
	v_add_co_u32 v11, vcc_lo, s14, v11
	s_wait_alu 0xfffd
	v_add_co_ci_u32_e64 v12, null, s15, v12, vcc_lo
	s_delay_alu instid0(VALU_DEP_3) | instskip(SKIP_3) | instid1(VALU_DEP_3)
	v_mul_f32_e32 v16, v22, v16
	s_wait_loadcnt 0x0
	v_dual_fmac_f32 v20, v17, v19 :: v_dual_sub_f32 v19, 1.0, v9
	v_add_co_u32 v13, vcc_lo, s28, v13
	v_mul_f32_e32 v7, v7, v16
	s_delay_alu instid0(VALU_DEP_3)
	v_mul_f32_e32 v15, v15, v20
	v_mul_f32_e32 v17, v10, v20
	;; [unrolled: 1-line block ×4, first 2 shown]
	v_fma_f32 v10, -v10, v10, 1.0
	v_dual_mul_f32 v15, v19, v15 :: v_dual_sub_f32 v18, 1.0, v8
	s_wait_alu 0xfffd
	v_add_co_ci_u32_e64 v14, null, s29, v14, vcc_lo
	v_cmp_le_i32_e32 vcc_lo, s3, v0
	s_delay_alu instid0(VALU_DEP_3) | instskip(SKIP_3) | instid1(VALU_DEP_2)
	v_mul_f32_e32 v9, v9, v15
	v_mul_f32_e32 v17, v18, v17
	;; [unrolled: 1-line block ×3, first 2 shown]
	s_or_b32 s40, vcc_lo, s40
	v_mul_f32_e32 v8, v8, v17
	s_clause 0x3
	global_store_b32 v[5:6], v8, off
	global_store_b32 v[1:2], v9, off
	;; [unrolled: 1-line block ×5, first 2 shown]
	s_wait_alu 0xfffe
	s_and_not1_b32 exec_lo, exec_lo, s40
	s_cbranch_execz .LBB21_11
.LBB21_3:                               ; =>This Inner Loop Header: Depth=1
	v_sub_nc_u32_e32 v1, 0, v0
	s_delay_alu instid0(VALU_DEP_1) | instskip(NEXT) | instid1(VALU_DEP_1)
	v_max_i32_e32 v3, v0, v1
	v_mul_hi_u32 v1, v3, s45
	v_mul_hi_u32 v5, v3, s52
	;; [unrolled: 1-line block ×3, first 2 shown]
	s_delay_alu instid0(VALU_DEP_3) | instskip(SKIP_1) | instid1(VALU_DEP_4)
	v_mul_lo_u32 v2, v1, s37
	v_add_nc_u32_e32 v4, 1, v1
	v_mul_lo_u32 v9, v5, s44
	s_delay_alu instid0(VALU_DEP_3) | instskip(NEXT) | instid1(VALU_DEP_2)
	v_sub_nc_u32_e32 v2, v3, v2
	v_sub_nc_u32_e32 v9, v3, v9
	s_delay_alu instid0(VALU_DEP_2) | instskip(SKIP_2) | instid1(VALU_DEP_2)
	v_subrev_nc_u32_e32 v6, s37, v2
	v_cmp_le_u32_e32 vcc_lo, s37, v2
	s_wait_alu 0xfffd
	v_dual_cndmask_b32 v1, v1, v4 :: v_dual_cndmask_b32 v2, v2, v6
	v_ashrrev_i32_e32 v4, 31, v0
	s_delay_alu instid0(VALU_DEP_2) | instskip(NEXT) | instid1(VALU_DEP_3)
	v_add_nc_u32_e32 v6, 1, v1
	v_cmp_le_u32_e32 vcc_lo, s37, v2
	s_delay_alu instid0(VALU_DEP_3)
	v_xor_b32_e32 v8, s42, v4
	v_mul_lo_u32 v2, v7, s47
	v_xor_b32_e32 v15, s55, v4
	v_xor_b32_e32 v10, s51, v4
	s_wait_alu 0xfffd
	v_cndmask_b32_e32 v1, v1, v6, vcc_lo
	v_mul_i32_i24_e32 v11, 3, v8
	v_add_nc_u32_e32 v6, 1, v5
	v_cmp_le_u32_e32 vcc_lo, s44, v9
	s_delay_alu instid0(VALU_DEP_4) | instskip(SKIP_1) | instid1(VALU_DEP_2)
	v_xor_b32_e32 v1, v1, v8
	v_sub_nc_u32_e32 v13, v3, v2
	v_sub_nc_u32_e32 v2, v1, v8
	v_lshl_add_u32 v1, v1, 1, v1
	s_delay_alu instid0(VALU_DEP_3) | instskip(NEXT) | instid1(VALU_DEP_2)
	v_cmp_le_u32_e64 s0, s47, v13
	v_sub_nc_u32_e32 v11, v1, v11
	s_wait_alu 0xfffd
	v_cndmask_b32_e32 v8, v5, v6, vcc_lo
	v_subrev_nc_u32_e32 v5, s44, v9
	v_add_nc_u32_e32 v12, 1, v7
	v_mul_lo_u32 v6, s63, v2
	v_mad_co_u64_u32 v[1:2], null, s2, v11, s[2:3]
	s_delay_alu instid0(VALU_DEP_4) | instskip(SKIP_3) | instid1(VALU_DEP_3)
	v_cndmask_b32_e32 v9, v9, v5, vcc_lo
	s_wait_alu 0xf1ff
	v_cndmask_b32_e64 v7, v7, v12, s0
	v_subrev_nc_u32_e32 v12, s47, v13
	v_cmp_le_u32_e32 vcc_lo, s44, v9
	v_add_nc_u32_e32 v14, v0, v6
	s_delay_alu instid0(VALU_DEP_3)
	v_cndmask_b32_e64 v12, v13, v12, s0
	v_add_nc_u32_e32 v13, 1, v7
	v_add_nc_u32_e32 v2, 2, v11
	;; [unrolled: 1-line block ×4, first 2 shown]
	v_ashrrev_i32_e32 v22, 31, v14
	v_add_nc_u32_e32 v14, v0, v1
	s_wait_alu 0xfffd
	s_delay_alu instid0(VALU_DEP_3) | instskip(SKIP_1) | instid1(VALU_DEP_3)
	v_cndmask_b32_e32 v8, v8, v16, vcc_lo
	v_cmp_le_u32_e32 vcc_lo, s47, v12
	v_ashrrev_i32_e32 v21, 31, v14
	s_delay_alu instid0(VALU_DEP_3)
	v_xor_b32_e32 v8, v8, v10
	s_wait_alu 0xfffd
	v_cndmask_b32_e32 v7, v7, v13, vcc_lo
	v_mul_lo_u32 v5, s2, v2
	v_mul_lo_u32 v2, s2, v11
	v_add3_u32 v11, v22, v6, v0
	v_add3_u32 v16, v21, v1, v0
	v_xor_b32_e32 v23, s43, v21
	v_xor_b32_e32 v7, v7, v15
	s_delay_alu instid0(VALU_DEP_4) | instskip(SKIP_4) | instid1(VALU_DEP_4)
	v_xor_b32_e32 v11, v11, v22
	v_add_nc_u32_e32 v14, v0, v5
	v_add_nc_u32_e32 v9, v0, v2
	v_xor_b32_e32 v12, v16, v21
	v_xor_b32_e32 v16, s43, v22
	v_ashrrev_i32_e32 v19, 31, v14
	s_delay_alu instid0(VALU_DEP_4) | instskip(SKIP_2) | instid1(VALU_DEP_4)
	v_ashrrev_i32_e32 v17, 31, v9
	v_mul_hi_u32 v9, v11, s46
	v_mul_hi_u32 v18, v12, s46
	v_add3_u32 v13, v19, v5, v0
	s_delay_alu instid0(VALU_DEP_4)
	v_add3_u32 v14, v17, v2, v0
	v_xor_b32_e32 v24, s43, v19
	v_xor_b32_e32 v26, s43, v17
	v_mul_lo_u32 v20, v9, s38
	v_xor_b32_e32 v13, v13, v19
	v_mul_lo_u32 v28, v18, s38
	v_add_nc_u32_e32 v30, 1, v18
	v_add_nc_u32_e32 v27, 1, v9
	v_xor_b32_e32 v14, v14, v17
	v_mul_hi_u32 v25, v13, s46
	v_sub_nc_u32_e32 v20, v11, v20
	s_delay_alu instid0(VALU_DEP_3) | instskip(NEXT) | instid1(VALU_DEP_2)
	v_mul_hi_u32 v29, v14, s46
	v_cmp_le_u32_e32 vcc_lo, s38, v20
	v_subrev_nc_u32_e32 v33, s38, v20
	v_mul_lo_u32 v31, v25, s38
	s_wait_alu 0xfffd
	v_dual_cndmask_b32 v9, v9, v27 :: v_dual_add_nc_u32 v32, 1, v25
	v_sub_nc_u32_e32 v27, v12, v28
	v_cndmask_b32_e32 v20, v20, v33, vcc_lo
	v_mul_lo_u32 v28, v29, s38
	v_add_nc_u32_e32 v34, 1, v29
	v_sub_nc_u32_e32 v31, v13, v31
	v_cmp_le_u32_e32 vcc_lo, s38, v27
	v_cmp_le_u32_e64 s0, s38, v20
	s_wait_alu 0xfffd
	v_cndmask_b32_e32 v18, v18, v30, vcc_lo
	v_subrev_nc_u32_e32 v30, s38, v27
	v_add_nc_u32_e32 v33, 1, v9
	v_sub_nc_u32_e32 v28, v14, v28
	s_delay_alu instid0(VALU_DEP_3) | instskip(SKIP_1) | instid1(VALU_DEP_3)
	v_cndmask_b32_e32 v20, v27, v30, vcc_lo
	s_wait_alu 0xf1ff
	v_cndmask_b32_e64 v9, v9, v33, s0
	v_cmp_le_u32_e32 vcc_lo, s38, v31
	v_subrev_nc_u32_e32 v30, s38, v31
	v_add_nc_u32_e32 v27, 1, v18
	v_cmp_le_u32_e64 s0, s38, v28
	v_xor_b32_e32 v9, v9, v16
	s_wait_alu 0xfffd
	v_cndmask_b32_e32 v25, v25, v32, vcc_lo
	v_subrev_nc_u32_e32 v32, s38, v28
	v_cmp_le_u32_e64 s1, s38, v20
	v_cndmask_b32_e32 v20, v31, v30, vcc_lo
	v_sub_nc_u32_e32 v31, v9, v16
	s_wait_alu 0xf1ff
	v_cndmask_b32_e64 v29, v29, v34, s0
	v_cndmask_b32_e64 v28, v28, v32, s0
	;; [unrolled: 1-line block ×3, first 2 shown]
	v_add_nc_u32_e32 v27, 1, v25
	v_cmp_le_u32_e32 vcc_lo, s38, v20
	v_mul_lo_u32 v20, v31, s33
	v_add_nc_u32_e32 v30, 1, v29
	v_xor_b32_e32 v9, v18, v23
	s_wait_alu 0xfffd
	v_cndmask_b32_e32 v16, v25, v27, vcc_lo
	v_cmp_le_u32_e32 vcc_lo, s38, v28
	v_sub_nc_u32_e32 v27, v7, v15
	v_sub_nc_u32_e32 v25, v9, v23
	;; [unrolled: 1-line block ×3, first 2 shown]
	v_xor_b32_e32 v9, v16, v24
	s_wait_alu 0xfffd
	v_cndmask_b32_e32 v18, v29, v30, vcc_lo
	s_delay_alu instid0(VALU_DEP_2) | instskip(NEXT) | instid1(VALU_DEP_2)
	v_sub_nc_u32_e32 v29, v9, v24
	v_xor_b32_e32 v16, v18, v26
	v_sub_nc_u32_e32 v18, v8, v10
	v_mul_lo_u32 v10, v25, s33
	s_delay_alu instid0(VALU_DEP_3) | instskip(SKIP_1) | instid1(VALU_DEP_4)
	v_sub_nc_u32_e32 v30, v16, v26
	v_mul_lo_u32 v16, v29, s33
	v_mad_co_u64_u32 v[7:8], null, s64, v18, v[0:1]
	v_mad_co_u64_u32 v[8:9], null, s65, v27, v[0:1]
	s_delay_alu instid0(VALU_DEP_4) | instskip(SKIP_4) | instid1(VALU_DEP_4)
	v_mul_lo_u32 v20, v30, s33
	v_sub_nc_u32_e32 v10, v1, v10
	v_add_nc_u32_e32 v9, v0, v15
	v_sub_nc_u32_e32 v15, v5, v16
	v_mul_lo_u32 v7, v7, s21
	v_add_nc_u32_e32 v10, v0, v10
	s_delay_alu instid0(VALU_DEP_4) | instskip(SKIP_4) | instid1(VALU_DEP_4)
	v_mul_lo_u32 v9, v9, s13
	v_sub_nc_u32_e32 v16, v2, v20
	v_mul_lo_u32 v8, v8, s25
	v_add_nc_u32_e32 v20, v0, v15
	v_mul_lo_u32 v10, v10, s13
	v_add_nc_u32_e32 v26, v0, v16
	s_delay_alu instid0(VALU_DEP_4) | instskip(NEXT) | instid1(VALU_DEP_3)
	v_mad_co_u64_u32 v[15:16], null, v18, s20, v[7:8]
	v_mad_co_u64_u32 v[23:24], null, v31, s12, v[9:10]
	v_mul_lo_u32 v7, v20, s13
	s_delay_alu instid0(VALU_DEP_4)
	v_mul_lo_u32 v9, v26, s13
	v_mad_co_u64_u32 v[25:26], null, v25, s12, v[10:11]
	v_ashrrev_i32_e32 v16, 31, v15
	v_mov_b32_e32 v18, 0
	v_ashrrev_i32_e32 v24, 31, v23
	v_mad_co_u64_u32 v[27:28], null, v27, s24, v[8:9]
	v_mad_co_u64_u32 v[7:8], null, v29, s12, v[7:8]
	;; [unrolled: 1-line block ×3, first 2 shown]
	v_ashrrev_i32_e32 v26, 31, v25
	v_lshlrev_b64_e32 v[23:24], 2, v[23:24]
	v_ashrrev_i32_e32 v28, 31, v27
	v_lshlrev_b64_e32 v[15:16], 2, v[15:16]
	;; [unrolled: 2-line block ×3, first 2 shown]
	v_ashrrev_i32_e32 v10, 31, v9
	v_add_co_u32 v23, vcc_lo, s10, v23
	s_delay_alu instid0(VALU_DEP_4)
	v_lshlrev_b64_e32 v[7:8], 2, v[7:8]
	s_wait_alu 0xfffd
	v_add_co_ci_u32_e64 v24, null, s11, v24, vcc_lo
	v_lshlrev_b64_e32 v[9:10], 2, v[9:10]
	v_add_co_u32 v25, vcc_lo, s10, v25
	s_wait_alu 0xfffd
	v_add_co_ci_u32_e64 v26, null, s11, v26, vcc_lo
	v_add_co_u32 v29, vcc_lo, s10, v7
	s_wait_alu 0xfffd
	v_add_co_ci_u32_e64 v30, null, s11, v8, vcc_lo
	v_lshlrev_b64_e32 v[7:8], 2, v[27:28]
	v_add_co_u32 v31, vcc_lo, s10, v9
	s_wait_alu 0xfffd
	v_add_co_ci_u32_e64 v32, null, s11, v10, vcc_lo
	v_add_co_u32 v15, vcc_lo, s18, v15
	s_wait_alu 0xfffd
	v_add_co_ci_u32_e64 v16, null, s19, v16, vcc_lo
	;; [unrolled: 3-line block ×3, first 2 shown]
	s_clause 0x3
	global_load_b32 v8, v[23:24], off
	global_load_b32 v9, v[25:26], off
	;; [unrolled: 1-line block ×6, first 2 shown]
	s_and_not1_b32 vcc_lo, exec_lo, s35
	s_wait_alu 0xfffe
	s_cbranch_vccnz .LBB21_5
; %bb.4:                                ;   in Loop: Header=BB21_3 Depth=1
	v_mul_hi_u32 v18, v3, s60
	s_delay_alu instid0(VALU_DEP_1) | instskip(NEXT) | instid1(VALU_DEP_1)
	v_mul_lo_u32 v20, v18, s53
	v_sub_nc_u32_e32 v20, v3, v20
	s_delay_alu instid0(VALU_DEP_1) | instskip(SKIP_2) | instid1(VALU_DEP_2)
	v_subrev_nc_u32_e32 v24, s53, v20
	v_cmp_le_u32_e32 vcc_lo, s53, v20
	s_wait_alu 0xfffd
	v_dual_cndmask_b32 v20, v20, v24 :: v_dual_add_nc_u32 v23, 1, v18
	s_delay_alu instid0(VALU_DEP_1) | instskip(SKIP_1) | instid1(VALU_DEP_3)
	v_cndmask_b32_e32 v18, v18, v23, vcc_lo
	v_xor_b32_e32 v24, s59, v4
	v_cmp_le_u32_e32 vcc_lo, s53, v20
	s_delay_alu instid0(VALU_DEP_3) | instskip(SKIP_1) | instid1(VALU_DEP_1)
	v_add_nc_u32_e32 v23, 1, v18
	s_wait_alu 0xfffd
	v_cndmask_b32_e32 v18, v18, v23, vcc_lo
	s_delay_alu instid0(VALU_DEP_1) | instskip(NEXT) | instid1(VALU_DEP_1)
	v_xor_b32_e32 v18, v18, v24
	v_sub_nc_u32_e32 v20, v18, v24
	s_delay_alu instid0(VALU_DEP_1) | instskip(NEXT) | instid1(VALU_DEP_1)
	v_mad_co_u64_u32 v[23:24], null, s67, v20, v[0:1]
	v_mul_lo_u32 v18, v23, s9
	s_delay_alu instid0(VALU_DEP_1) | instskip(NEXT) | instid1(VALU_DEP_1)
	v_mad_co_u64_u32 v[23:24], null, v20, s8, v[18:19]
	v_ashrrev_i32_e32 v24, 31, v23
	s_delay_alu instid0(VALU_DEP_1) | instskip(NEXT) | instid1(VALU_DEP_1)
	v_lshlrev_b64_e32 v[23:24], 2, v[23:24]
	v_add_co_u32 v23, vcc_lo, s4, v23
	s_wait_alu 0xfffd
	s_delay_alu instid0(VALU_DEP_2)
	v_add_co_ci_u32_e64 v24, null, s5, v24, vcc_lo
	global_load_b32 v18, v[23:24], off
.LBB21_5:                               ;   in Loop: Header=BB21_3 Depth=1
	s_and_not1_b32 vcc_lo, exec_lo, s36
	s_wait_alu 0xfffe
	s_cbranch_vccnz .LBB21_10
; %bb.6:                                ;   in Loop: Header=BB21_3 Depth=1
	v_mul_hi_u32 v20, v3, s62
	s_delay_alu instid0(VALU_DEP_1) | instskip(NEXT) | instid1(VALU_DEP_1)
	v_mul_lo_u32 v23, v20, s54
	v_sub_nc_u32_e32 v23, v3, v23
	s_delay_alu instid0(VALU_DEP_1) | instskip(SKIP_2) | instid1(VALU_DEP_2)
	v_subrev_nc_u32_e32 v25, s54, v23
	v_cmp_le_u32_e32 vcc_lo, s54, v23
	s_wait_alu 0xfffd
	v_dual_cndmask_b32 v23, v23, v25 :: v_dual_add_nc_u32 v24, 1, v20
	s_delay_alu instid0(VALU_DEP_1) | instskip(SKIP_1) | instid1(VALU_DEP_3)
	v_cndmask_b32_e32 v20, v20, v24, vcc_lo
	v_xor_b32_e32 v25, s61, v4
	v_cmp_le_u32_e32 vcc_lo, s54, v23
	s_delay_alu instid0(VALU_DEP_3) | instskip(SKIP_1) | instid1(VALU_DEP_1)
	v_add_nc_u32_e32 v24, 1, v20
	s_wait_alu 0xfffd
	v_cndmask_b32_e32 v20, v20, v24, vcc_lo
	s_delay_alu instid0(VALU_DEP_1) | instskip(NEXT) | instid1(VALU_DEP_1)
	v_xor_b32_e32 v20, v20, v25
	v_sub_nc_u32_e32 v25, v20, v25
	s_delay_alu instid0(VALU_DEP_1) | instskip(NEXT) | instid1(VALU_DEP_1)
	v_mad_co_u64_u32 v[23:24], null, s68, v25, v[0:1]
	v_mul_lo_u32 v20, v23, s27
	s_delay_alu instid0(VALU_DEP_1) | instskip(NEXT) | instid1(VALU_DEP_1)
	v_mad_co_u64_u32 v[23:24], null, v25, s26, v[20:21]
	v_ashrrev_i32_e32 v24, 31, v23
	s_delay_alu instid0(VALU_DEP_1) | instskip(NEXT) | instid1(VALU_DEP_1)
	v_lshlrev_b64_e32 v[23:24], 2, v[23:24]
	v_add_co_u32 v23, vcc_lo, s6, v23
	s_wait_alu 0xfffd
	s_delay_alu instid0(VALU_DEP_2)
	v_add_co_ci_u32_e64 v24, null, s7, v24, vcc_lo
	global_load_b32 v20, v[23:24], off
	s_wait_loadcnt 0x1
	v_cmp_ngt_f32_e64 s0, 0x3f200000, |v16|
                                        ; implicit-def: $vgpr23
	s_and_saveexec_b32 s1, s0
	s_wait_alu 0xfffe
	s_xor_b32 s0, exec_lo, s1
	s_cbranch_execz .LBB21_8
.LBB21_7:                               ;   in Loop: Header=BB21_3 Depth=1
	v_add_f32_e64 v23, |v16|, |v16|
	s_delay_alu instid0(VALU_DEP_1) | instskip(SKIP_1) | instid1(VALU_DEP_2)
	v_mul_f32_e32 v24, 0x3fb8aa3b, v23
	v_cmp_ngt_f32_e32 vcc_lo, 0xc2ce8ed0, v23
	v_rndne_f32_e32 v25, v24
	v_fma_f32 v26, 0x3fb8aa3b, v23, -v24
	s_delay_alu instid0(VALU_DEP_2) | instskip(NEXT) | instid1(VALU_DEP_2)
	v_sub_f32_e32 v24, v24, v25
	v_fmac_f32_e32 v26, 0x32a5705f, v23
	v_cvt_i32_f32_e32 v25, v25
	s_delay_alu instid0(VALU_DEP_2) | instskip(NEXT) | instid1(VALU_DEP_1)
	v_add_f32_e32 v24, v24, v26
	v_exp_f32_e32 v24, v24
	s_delay_alu instid0(TRANS32_DEP_1) | instskip(SKIP_1) | instid1(VALU_DEP_1)
	v_ldexp_f32 v24, v24, v25
	s_wait_alu 0xfffd
	v_cndmask_b32_e32 v24, 0, v24, vcc_lo
	v_cmp_nlt_f32_e32 vcc_lo, 0x42b17218, v23
	s_wait_alu 0xfffd
	s_delay_alu instid0(VALU_DEP_2) | instskip(NEXT) | instid1(VALU_DEP_1)
	v_cndmask_b32_e32 v23, 0x7f800000, v24, vcc_lo
	v_add_f32_e32 v23, 1.0, v23
	s_delay_alu instid0(VALU_DEP_1) | instskip(NEXT) | instid1(TRANS32_DEP_1)
	v_rcp_f32_e32 v23, v23
	v_fma_f32 v23, v23, -2.0, 1.0
.LBB21_8:                               ;   in Loop: Header=BB21_3 Depth=1
	s_wait_alu 0xfffe
	s_and_not1_saveexec_b32 s0, s0
	s_cbranch_execz .LBB21_2
; %bb.9:                                ;   in Loop: Header=BB21_3 Depth=1
	v_mul_f32_e32 v23, v16, v16
	s_delay_alu instid0(VALU_DEP_1) | instskip(NEXT) | instid1(VALU_DEP_1)
	v_fmaak_f32 v24, s69, v23, 0x3ca908c9
	v_fmaak_f32 v24, v23, v24, 0xbd5c1c4e
	s_delay_alu instid0(VALU_DEP_1) | instskip(NEXT) | instid1(VALU_DEP_1)
	v_fmaak_f32 v24, v23, v24, 0x3e088382
	v_fmaak_f32 v24, v23, v24, 0xbeaaaa99
	s_delay_alu instid0(VALU_DEP_1) | instskip(NEXT) | instid1(VALU_DEP_1)
	v_mul_f32_e64 v24, |v16|, v24
	v_fma_f32 v23, v23, v24, |v16|
	s_branch .LBB21_2
.LBB21_10:                              ;   in Loop: Header=BB21_3 Depth=1
	v_mov_b32_e32 v20, 0
	s_wait_loadcnt 0x0
	v_cmp_ngt_f32_e64 s0, 0x3f200000, |v16|
                                        ; implicit-def: $vgpr23
	s_and_saveexec_b32 s1, s0
	s_wait_alu 0xfffe
	s_xor_b32 s0, exec_lo, s1
	s_cbranch_execz .LBB21_8
	s_branch .LBB21_7
.LBB21_11:
	s_endpgm
	.section	.rodata,"a",@progbits
	.p2align	6, 0x0
	.amdhsa_kernel _ZN2at6native12_GLOBAL__N_16kernel18lstm_cell_backwardIffiLi2EEEvNS_4cuda6detail10TensorInfoIT_T1_EES9_S9_S9_S9_S9_S9_S8_S8_
		.amdhsa_group_segment_fixed_size 0
		.amdhsa_private_segment_fixed_size 0
		.amdhsa_kernarg_size 1776
		.amdhsa_user_sgpr_count 2
		.amdhsa_user_sgpr_dispatch_ptr 0
		.amdhsa_user_sgpr_queue_ptr 0
		.amdhsa_user_sgpr_kernarg_segment_ptr 1
		.amdhsa_user_sgpr_dispatch_id 0
		.amdhsa_user_sgpr_private_segment_size 0
		.amdhsa_wavefront_size32 1
		.amdhsa_uses_dynamic_stack 0
		.amdhsa_enable_private_segment 0
		.amdhsa_system_sgpr_workgroup_id_x 1
		.amdhsa_system_sgpr_workgroup_id_y 0
		.amdhsa_system_sgpr_workgroup_id_z 0
		.amdhsa_system_sgpr_workgroup_info 0
		.amdhsa_system_vgpr_workitem_id 0
		.amdhsa_next_free_vgpr 38
		.amdhsa_next_free_sgpr 70
		.amdhsa_reserve_vcc 1
		.amdhsa_float_round_mode_32 0
		.amdhsa_float_round_mode_16_64 0
		.amdhsa_float_denorm_mode_32 3
		.amdhsa_float_denorm_mode_16_64 3
		.amdhsa_fp16_overflow 0
		.amdhsa_workgroup_processor_mode 1
		.amdhsa_memory_ordered 1
		.amdhsa_forward_progress 1
		.amdhsa_inst_pref_size 29
		.amdhsa_round_robin_scheduling 0
		.amdhsa_exception_fp_ieee_invalid_op 0
		.amdhsa_exception_fp_denorm_src 0
		.amdhsa_exception_fp_ieee_div_zero 0
		.amdhsa_exception_fp_ieee_overflow 0
		.amdhsa_exception_fp_ieee_underflow 0
		.amdhsa_exception_fp_ieee_inexact 0
		.amdhsa_exception_int_div_zero 0
	.end_amdhsa_kernel
	.section	.text._ZN2at6native12_GLOBAL__N_16kernel18lstm_cell_backwardIffiLi2EEEvNS_4cuda6detail10TensorInfoIT_T1_EES9_S9_S9_S9_S9_S9_S8_S8_,"axG",@progbits,_ZN2at6native12_GLOBAL__N_16kernel18lstm_cell_backwardIffiLi2EEEvNS_4cuda6detail10TensorInfoIT_T1_EES9_S9_S9_S9_S9_S9_S8_S8_,comdat
.Lfunc_end21:
	.size	_ZN2at6native12_GLOBAL__N_16kernel18lstm_cell_backwardIffiLi2EEEvNS_4cuda6detail10TensorInfoIT_T1_EES9_S9_S9_S9_S9_S9_S8_S8_, .Lfunc_end21-_ZN2at6native12_GLOBAL__N_16kernel18lstm_cell_backwardIffiLi2EEEvNS_4cuda6detail10TensorInfoIT_T1_EES9_S9_S9_S9_S9_S9_S8_S8_
                                        ; -- End function
	.set _ZN2at6native12_GLOBAL__N_16kernel18lstm_cell_backwardIffiLi2EEEvNS_4cuda6detail10TensorInfoIT_T1_EES9_S9_S9_S9_S9_S9_S8_S8_.num_vgpr, 38
	.set _ZN2at6native12_GLOBAL__N_16kernel18lstm_cell_backwardIffiLi2EEEvNS_4cuda6detail10TensorInfoIT_T1_EES9_S9_S9_S9_S9_S9_S8_S8_.num_agpr, 0
	.set _ZN2at6native12_GLOBAL__N_16kernel18lstm_cell_backwardIffiLi2EEEvNS_4cuda6detail10TensorInfoIT_T1_EES9_S9_S9_S9_S9_S9_S8_S8_.numbered_sgpr, 70
	.set _ZN2at6native12_GLOBAL__N_16kernel18lstm_cell_backwardIffiLi2EEEvNS_4cuda6detail10TensorInfoIT_T1_EES9_S9_S9_S9_S9_S9_S8_S8_.num_named_barrier, 0
	.set _ZN2at6native12_GLOBAL__N_16kernel18lstm_cell_backwardIffiLi2EEEvNS_4cuda6detail10TensorInfoIT_T1_EES9_S9_S9_S9_S9_S9_S8_S8_.private_seg_size, 0
	.set _ZN2at6native12_GLOBAL__N_16kernel18lstm_cell_backwardIffiLi2EEEvNS_4cuda6detail10TensorInfoIT_T1_EES9_S9_S9_S9_S9_S9_S8_S8_.uses_vcc, 1
	.set _ZN2at6native12_GLOBAL__N_16kernel18lstm_cell_backwardIffiLi2EEEvNS_4cuda6detail10TensorInfoIT_T1_EES9_S9_S9_S9_S9_S9_S8_S8_.uses_flat_scratch, 0
	.set _ZN2at6native12_GLOBAL__N_16kernel18lstm_cell_backwardIffiLi2EEEvNS_4cuda6detail10TensorInfoIT_T1_EES9_S9_S9_S9_S9_S9_S8_S8_.has_dyn_sized_stack, 0
	.set _ZN2at6native12_GLOBAL__N_16kernel18lstm_cell_backwardIffiLi2EEEvNS_4cuda6detail10TensorInfoIT_T1_EES9_S9_S9_S9_S9_S9_S8_S8_.has_recursion, 0
	.set _ZN2at6native12_GLOBAL__N_16kernel18lstm_cell_backwardIffiLi2EEEvNS_4cuda6detail10TensorInfoIT_T1_EES9_S9_S9_S9_S9_S9_S8_S8_.has_indirect_call, 0
	.section	.AMDGPU.csdata,"",@progbits
; Kernel info:
; codeLenInByte = 3592
; TotalNumSgprs: 72
; NumVgprs: 38
; ScratchSize: 0
; MemoryBound: 0
; FloatMode: 240
; IeeeMode: 1
; LDSByteSize: 0 bytes/workgroup (compile time only)
; SGPRBlocks: 0
; VGPRBlocks: 4
; NumSGPRsForWavesPerEU: 72
; NumVGPRsForWavesPerEU: 38
; Occupancy: 16
; WaveLimiterHint : 1
; COMPUTE_PGM_RSRC2:SCRATCH_EN: 0
; COMPUTE_PGM_RSRC2:USER_SGPR: 2
; COMPUTE_PGM_RSRC2:TRAP_HANDLER: 0
; COMPUTE_PGM_RSRC2:TGID_X_EN: 1
; COMPUTE_PGM_RSRC2:TGID_Y_EN: 0
; COMPUTE_PGM_RSRC2:TGID_Z_EN: 0
; COMPUTE_PGM_RSRC2:TIDIG_COMP_CNT: 0
	.section	.text._ZN2at6native12_GLOBAL__N_16kernel18lstm_cell_backwardIfflLi1EEEvNS_4cuda6detail10TensorInfoIT_T1_EES9_S9_S9_S9_S9_S9_S8_S8_,"axG",@progbits,_ZN2at6native12_GLOBAL__N_16kernel18lstm_cell_backwardIfflLi1EEEvNS_4cuda6detail10TensorInfoIT_T1_EES9_S9_S9_S9_S9_S9_S8_S8_,comdat
	.globl	_ZN2at6native12_GLOBAL__N_16kernel18lstm_cell_backwardIfflLi1EEEvNS_4cuda6detail10TensorInfoIT_T1_EES9_S9_S9_S9_S9_S9_S8_S8_ ; -- Begin function _ZN2at6native12_GLOBAL__N_16kernel18lstm_cell_backwardIfflLi1EEEvNS_4cuda6detail10TensorInfoIT_T1_EES9_S9_S9_S9_S9_S9_S8_S8_
	.p2align	8
	.type	_ZN2at6native12_GLOBAL__N_16kernel18lstm_cell_backwardIfflLi1EEEvNS_4cuda6detail10TensorInfoIT_T1_EES9_S9_S9_S9_S9_S9_S8_S8_,@function
_ZN2at6native12_GLOBAL__N_16kernel18lstm_cell_backwardIfflLi1EEEvNS_4cuda6detail10TensorInfoIT_T1_EES9_S9_S9_S9_S9_S9_S8_S8_: ; @_ZN2at6native12_GLOBAL__N_16kernel18lstm_cell_backwardIfflLi1EEEvNS_4cuda6detail10TensorInfoIT_T1_EES9_S9_S9_S9_S9_S9_S8_S8_
; %bb.0:
	s_clause 0x1
	s_load_b32 s2, s[0:1], 0xb7c
	s_load_b128 s[4:7], s[0:1], 0xb60
	v_mov_b32_e32 v1, 0
	s_wait_kmcnt 0x0
	s_and_b32 s16, s2, 0xffff
	s_mov_b32 s2, exec_lo
	s_delay_alu instid0(VALU_DEP_1) | instskip(SKIP_1) | instid1(VALU_DEP_1)
	v_mad_co_u64_u32 v[3:4], null, ttmp9, s16, v[0:1]
	v_mov_b32_e32 v4, v1
	v_cmpx_gt_i64_e64 s[6:7], v[3:4]
	s_cbranch_execz .LBB22_15
; %bb.1:
	s_clause 0x4
	s_load_b64 s[18:19], s[0:1], 0x410
	s_load_b64 s[24:25], s[0:1], 0x680
	;; [unrolled: 1-line block ×5, first 2 shown]
	s_add_nc_u64 s[14:15], s[0:1], 0xb70
	s_clause 0x4
	s_load_b64 s[2:3], s[0:1], 0x0
	s_load_b64 s[8:9], s[0:1], 0xd0
	;; [unrolled: 1-line block ×5, first 2 shown]
	s_load_b32 s34, s[14:15], 0x0
	s_clause 0x3
	s_load_b64 s[30:31], s[0:1], 0x750
	s_load_b64 s[28:29], s[0:1], 0x8f0
	s_load_b64 s[38:39], s[0:1], 0x9c0
	s_load_b64 s[40:41], s[0:1], 0xa90
	s_mov_b32 s1, 0
	s_mul_u64 s[14:15], s[4:5], 3
	s_wait_alu 0xfffe
	s_mov_b32 s17, s1
	s_mov_b32 s35, 0
	s_wait_kmcnt 0x0
	v_mul_lo_u32 v0, 0, s18
	v_mul_lo_u32 v2, v3, s19
	v_mad_co_u64_u32 v[5:6], null, v3, s18, 0
	v_mul_lo_u32 v9, 0, s36
	v_mul_lo_u32 v10, v3, s37
	v_mad_co_u64_u32 v[7:8], null, v3, s36, 0
	v_mad_co_u64_u32 v[11:12], null, v3, s30, 0
	v_add3_u32 v6, v6, v2, v0
	v_mul_lo_u32 v0, 0, s40
	v_mul_lo_u32 v2, v3, s41
	;; [unrolled: 1-line block ×3, first 2 shown]
	v_add3_u32 v8, v8, v10, v9
	v_mad_co_u64_u32 v[9:10], null, v3, s40, 0
	v_mul_lo_u32 v16, v3, s29
	v_mad_co_u64_u32 v[13:14], null, v3, s28, 0
	v_lshlrev_b64_e32 v[5:6], 2, v[5:6]
	v_lshlrev_b64_e32 v[7:8], 2, v[7:8]
	s_cmp_lg_u64 s[24:25], 0
	v_add3_u32 v10, v10, v2, v0
	v_mul_lo_u32 v0, 0, s30
	v_mul_lo_u32 v2, v3, s31
	v_add3_u32 v14, v14, v16, v15
	v_add_co_u32 v5, vcc_lo, s20, v5
	v_lshlrev_b64_e32 v[9:10], 2, v[9:10]
	v_add_co_ci_u32_e64 v6, null, s21, v6, vcc_lo
	v_add_co_u32 v7, vcc_lo, s22, v7
	v_add3_u32 v12, v12, v2, v0
	v_cvt_f32_u32_e32 v0, s4
	v_lshlrev_b64_e32 v[13:14], 2, v[13:14]
	s_wait_alu 0xfffd
	v_add_co_ci_u32_e64 v8, null, s23, v8, vcc_lo
	v_lshlrev_b64_e32 v[11:12], 2, v[11:12]
	v_rcp_iflag_f32_e32 v0, v0
	v_add_co_u32 v9, vcc_lo, s38, v9
	s_wait_alu 0xfffd
	v_add_co_ci_u32_e64 v10, null, s39, v10, vcc_lo
	s_delay_alu instid0(VALU_DEP_3) | instskip(SKIP_3) | instid1(TRANS32_DEP_1)
	v_add_co_u32 v11, vcc_lo, s24, v11
	s_wait_alu 0xfffd
	v_add_co_ci_u32_e64 v12, null, s25, v12, vcc_lo
	v_add_co_u32 v13, vcc_lo, s26, v13
	v_mul_f32_e32 v0, 0x4f7ffffe, v0
	s_mul_i32 s16, s34, s16
	s_wait_alu 0xfffd
	v_add_co_ci_u32_e64 v14, null, s27, v14, vcc_lo
	s_cselect_b32 s33, -1, 0
	v_cvt_u32_f32_e32 v0, v0
	s_cmp_lg_u64 s[26:27], 0
	s_wait_alu 0xfffe
	s_mul_u64 s[18:19], s[16:17], s[18:19]
	s_mul_u64 s[20:21], s[16:17], s[36:37]
	;; [unrolled: 1-line block ×5, first 2 shown]
	s_cselect_b32 s34, -1, 0
	s_wait_alu 0xfffe
	s_lshl_b64 s[18:19], s[18:19], 2
	s_lshl_b64 s[20:21], s[20:21], 2
	;; [unrolled: 1-line block ×5, first 2 shown]
	s_ashr_i32 s28, s5, 31
	s_mov_b32 s17, 0xbbbac73d
	s_branch .LBB22_3
.LBB22_2:                               ;   in Loop: Header=BB22_3 Depth=1
	s_wait_alu 0xfffe
	s_or_b32 exec_lo, exec_lo, s0
	v_mul_lo_u32 v21, v21, s12
	v_mul_lo_u32 v33, v15, s13
	v_mad_co_u64_u32 v[31:32], null, v15, s12, 0
	v_mul_lo_u32 v28, v28, s12
	v_mul_lo_u32 v34, v16, s13
	v_mad_co_u64_u32 v[15:16], null, v16, s12, 0
	v_add_co_u32 v13, s0, v13, s26
	v_add3_u32 v32, v32, v33, v21
	v_mul_lo_u32 v21, v27, s12
	v_mul_lo_u32 v33, v19, s13
	s_wait_alu 0xf1ff
	v_add_co_ci_u32_e64 v14, null, s27, v14, s0
	v_add3_u32 v16, v16, v34, v28
	v_lshlrev_b64_e32 v[27:28], 2, v[31:32]
	v_mad_co_u64_u32 v[31:32], null, v19, s12, 0
	v_mul_lo_u32 v19, v24, s12
	v_bfi_b32 v24, 0x7fffffff, v30, v29
	v_mad_co_u64_u32 v[29:30], null, v17, s12, 0
	v_lshlrev_b64_e32 v[15:16], 2, v[15:16]
	v_add_co_u32 v27, vcc_lo, s10, v27
	v_add3_u32 v32, v32, v33, v21
	v_mul_lo_u32 v21, v17, s13
	v_mul_f32_e32 v17, v20, v26
	v_fma_f32 v33, -v24, v24, 1.0
	v_mul_f32_e32 v24, v26, v24
	v_sub_f32_e32 v26, 1.0, v20
	v_lshlrev_b64_e32 v[31:32], 2, v[31:32]
	s_wait_alu 0xfffd
	v_add_co_ci_u32_e64 v28, null, s11, v28, vcc_lo
	v_fmac_f32_e32 v23, v17, v33
	v_add3_u32 v30, v30, v21, v19
	v_mul_f32_e32 v24, v26, v24
	v_add_co_u32 v15, vcc_lo, s10, v15
	s_delay_alu instid0(VALU_DEP_4) | instskip(SKIP_1) | instid1(VALU_DEP_4)
	v_mul_f32_e32 v19, v25, v23
	v_sub_f32_e32 v25, 1.0, v2
	v_dual_mul_f32 v17, v22, v23 :: v_dual_mul_f32 v20, v20, v24
	v_lshlrev_b64_e32 v[29:30], 2, v[29:30]
	s_wait_alu 0xfffd
	v_add_co_ci_u32_e64 v16, null, s11, v16, vcc_lo
	v_mul_f32_e32 v19, v25, v19
	v_sub_f32_e32 v21, 1.0, v18
	v_add_co_u32 v31, vcc_lo, s10, v31
	s_wait_alu 0xfffd
	v_add_co_ci_u32_e64 v32, null, s11, v32, vcc_lo
	s_delay_alu instid0(VALU_DEP_3)
	v_mul_f32_e32 v17, v21, v17
	v_mul_f32_e32 v33, v18, v23
	v_fma_f32 v25, -v22, v22, 1.0
	v_add_co_u32 v21, vcc_lo, s10, v29
	s_wait_alu 0xfffd
	v_add_co_ci_u32_e64 v22, null, s11, v30, vcc_lo
	v_add_co_u32 v3, vcc_lo, v3, s16
	v_mul_f32_e32 v17, v18, v17
	v_mul_f32_e32 v18, v2, v19
	s_wait_alu 0xfffd
	v_add_co_ci_u32_e64 v4, null, 0, v4, vcc_lo
	v_add_co_u32 v5, vcc_lo, v5, s18
	v_mul_f32_e32 v19, v25, v33
	s_wait_alu 0xfffd
	v_add_co_ci_u32_e64 v6, null, s19, v6, vcc_lo
	v_add_co_u32 v7, vcc_lo, v7, s20
	v_mul_f32_e32 v2, v2, v23
	s_clause 0x3
	global_store_b32 v[27:28], v17, off
	global_store_b32 v[15:16], v18, off
	;; [unrolled: 1-line block ×5, first 2 shown]
	s_wait_alu 0xfffd
	v_add_co_ci_u32_e64 v8, null, s21, v8, vcc_lo
	v_add_co_u32 v9, vcc_lo, v9, s22
	s_wait_alu 0xfffd
	v_add_co_ci_u32_e64 v10, null, s23, v10, vcc_lo
	v_add_co_u32 v11, vcc_lo, v11, s24
	s_wait_alu 0xfffd
	v_add_co_ci_u32_e64 v12, null, s25, v12, vcc_lo
	v_cmp_le_i64_e32 vcc_lo, s[6:7], v[3:4]
	s_or_b32 s35, vcc_lo, s35
	s_delay_alu instid0(SALU_CYCLE_1)
	s_and_not1_b32 exec_lo, exec_lo, s35
	s_cbranch_execz .LBB22_15
.LBB22_3:                               ; =>This Inner Loop Header: Depth=1
	v_or_b32_e32 v2, s5, v4
                                        ; implicit-def: $vgpr17_vgpr18
	s_mov_b32 s0, exec_lo
	s_delay_alu instid0(VALU_DEP_1)
	v_cmpx_ne_u64_e32 0, v[1:2]
	s_wait_alu 0xfffe
	s_xor_b32 s36, exec_lo, s0
	s_cbranch_execz .LBB22_5
; %bb.4:                                ;   in Loop: Header=BB22_3 Depth=1
	s_mov_b32 s29, s28
	v_ashrrev_i32_e32 v2, 31, v4
	s_wait_alu 0xfffe
	s_add_nc_u64 s[30:31], s[4:5], s[28:29]
	s_wait_alu 0xfffe
	s_xor_b64 s[30:31], s[30:31], s[28:29]
	v_add_co_u32 v15, vcc_lo, v3, v2
	s_wait_alu 0xfffe
	s_cvt_f32_u32 s0, s30
	s_cvt_f32_u32 s29, s31
	s_sub_nc_u64 s[40:41], 0, s[30:31]
	s_wait_alu 0xfffd
	v_add_co_ci_u32_e64 v16, null, v4, v2, vcc_lo
	s_wait_alu 0xfffe
	s_fmamk_f32 s0, s29, 0x4f800000, s0
	v_xor_b32_e32 v21, v15, v2
	s_delay_alu instid0(VALU_DEP_2) | instskip(SKIP_3) | instid1(TRANS32_DEP_1)
	v_xor_b32_e32 v22, v16, v2
	s_wait_alu 0xfffe
	v_s_rcp_f32 s0, s0
	v_xor_b32_e32 v2, s28, v2
	s_mul_f32 s0, s0, 0x5f7ffffc
	s_wait_alu 0xfffe
	s_delay_alu instid0(SALU_CYCLE_2) | instskip(SKIP_1) | instid1(SALU_CYCLE_2)
	s_mul_f32 s29, s0, 0x2f800000
	s_wait_alu 0xfffe
	s_trunc_f32 s29, s29
	s_wait_alu 0xfffe
	s_delay_alu instid0(SALU_CYCLE_2) | instskip(SKIP_2) | instid1(SALU_CYCLE_1)
	s_fmamk_f32 s0, s29, 0xcf800000, s0
	s_cvt_u32_f32 s39, s29
	s_wait_alu 0xfffe
	s_cvt_u32_f32 s38, s0
	s_wait_alu 0xfffe
	s_delay_alu instid0(SALU_CYCLE_2) | instskip(NEXT) | instid1(SALU_CYCLE_1)
	s_mul_u64 s[42:43], s[40:41], s[38:39]
	s_mul_hi_u32 s45, s38, s43
	s_mul_i32 s44, s38, s43
	s_mul_hi_u32 s0, s38, s42
	s_mul_i32 s37, s39, s42
	s_wait_alu 0xfffe
	s_add_nc_u64 s[44:45], s[0:1], s[44:45]
	s_mul_hi_u32 s29, s39, s42
	s_mul_hi_u32 s46, s39, s43
	s_add_co_u32 s0, s44, s37
	s_wait_alu 0xfffe
	s_add_co_ci_u32 s0, s45, s29
	s_mul_i32 s42, s39, s43
	s_add_co_ci_u32 s43, s46, 0
	s_wait_alu 0xfffe
	s_add_nc_u64 s[42:43], s[0:1], s[42:43]
	s_delay_alu instid0(SALU_CYCLE_1)
	s_add_co_u32 s38, s38, s42
	s_cselect_b32 s0, -1, 0
	s_wait_alu 0xfffe
	s_cmp_lg_u32 s0, 0
	s_add_co_ci_u32 s39, s39, s43
	s_wait_alu 0xfffe
	s_mul_u64 s[40:41], s[40:41], s[38:39]
	s_wait_alu 0xfffe
	s_mul_hi_u32 s43, s38, s41
	s_mul_i32 s42, s38, s41
	s_mul_hi_u32 s0, s38, s40
	s_mul_i32 s37, s39, s40
	s_wait_alu 0xfffe
	s_add_nc_u64 s[42:43], s[0:1], s[42:43]
	s_mul_hi_u32 s29, s39, s40
	s_mul_hi_u32 s44, s39, s41
	s_add_co_u32 s0, s42, s37
	s_wait_alu 0xfffe
	s_add_co_ci_u32 s0, s43, s29
	s_mul_i32 s40, s39, s41
	s_add_co_ci_u32 s41, s44, 0
	s_wait_alu 0xfffe
	s_add_nc_u64 s[40:41], s[0:1], s[40:41]
	s_wait_alu 0xfffe
	s_add_co_u32 s0, s38, s40
	s_cselect_b32 s29, -1, 0
	s_wait_alu 0xfffe
	v_mul_hi_u32 v23, v21, s0
	s_cmp_lg_u32 s29, 0
	v_mad_co_u64_u32 v[17:18], null, v22, s0, 0
	s_add_co_ci_u32 s29, s39, s41
	s_wait_alu 0xfffe
	v_mad_co_u64_u32 v[15:16], null, v21, s29, 0
	v_mad_co_u64_u32 v[19:20], null, v22, s29, 0
	s_delay_alu instid0(VALU_DEP_2) | instskip(SKIP_1) | instid1(VALU_DEP_3)
	v_add_co_u32 v15, vcc_lo, v23, v15
	s_wait_alu 0xfffd
	v_add_co_ci_u32_e64 v16, null, 0, v16, vcc_lo
	s_delay_alu instid0(VALU_DEP_2) | instskip(SKIP_1) | instid1(VALU_DEP_2)
	v_add_co_u32 v15, vcc_lo, v15, v17
	s_wait_alu 0xfffd
	v_add_co_ci_u32_e32 v15, vcc_lo, v16, v18, vcc_lo
	s_wait_alu 0xfffd
	v_add_co_ci_u32_e32 v16, vcc_lo, 0, v20, vcc_lo
	s_delay_alu instid0(VALU_DEP_2) | instskip(SKIP_1) | instid1(VALU_DEP_2)
	v_add_co_u32 v17, vcc_lo, v15, v19
	s_wait_alu 0xfffd
	v_add_co_ci_u32_e64 v18, null, 0, v16, vcc_lo
	s_delay_alu instid0(VALU_DEP_2) | instskip(SKIP_1) | instid1(VALU_DEP_3)
	v_mul_lo_u32 v19, s31, v17
	v_mad_co_u64_u32 v[15:16], null, s30, v17, 0
	v_mul_lo_u32 v20, s30, v18
	s_delay_alu instid0(VALU_DEP_2) | instskip(NEXT) | instid1(VALU_DEP_2)
	v_sub_co_u32 v15, vcc_lo, v21, v15
	v_add3_u32 v16, v16, v20, v19
	v_add_co_u32 v20, s0, v17, 2
	s_wait_alu 0xf1ff
	v_add_co_ci_u32_e64 v21, null, 0, v18, s0
	s_delay_alu instid0(VALU_DEP_3) | instskip(SKIP_3) | instid1(VALU_DEP_3)
	v_sub_nc_u32_e32 v19, v22, v16
	v_sub_co_u32 v23, s0, v15, s30
	s_wait_alu 0xfffd
	v_sub_co_ci_u32_e64 v16, null, v22, v16, vcc_lo
	v_subrev_co_ci_u32_e64 v19, null, s31, v19, vcc_lo
	s_delay_alu instid0(VALU_DEP_3) | instskip(SKIP_1) | instid1(VALU_DEP_2)
	v_cmp_le_u32_e32 vcc_lo, s30, v23
	s_wait_alu 0xf1ff
	v_subrev_co_ci_u32_e64 v19, null, 0, v19, s0
	s_wait_alu 0xfffd
	v_cndmask_b32_e64 v22, 0, -1, vcc_lo
	s_delay_alu instid0(VALU_DEP_2)
	v_cmp_le_u32_e32 vcc_lo, s31, v19
	s_wait_alu 0xfffd
	v_cndmask_b32_e64 v23, 0, -1, vcc_lo
	v_cmp_le_u32_e32 vcc_lo, s30, v15
	s_wait_alu 0xfffd
	v_cndmask_b32_e64 v15, 0, -1, vcc_lo
	;; [unrolled: 3-line block ×3, first 2 shown]
	v_cmp_eq_u32_e32 vcc_lo, s31, v19
	s_wait_alu 0xfffd
	v_cndmask_b32_e32 v19, v23, v22, vcc_lo
	v_add_co_u32 v22, vcc_lo, v17, 1
	s_wait_alu 0xfffd
	v_add_co_ci_u32_e64 v23, null, 0, v18, vcc_lo
	v_cmp_eq_u32_e32 vcc_lo, s31, v16
	s_wait_alu 0xfffd
	v_cndmask_b32_e32 v15, v24, v15, vcc_lo
	v_cmp_ne_u32_e32 vcc_lo, 0, v19
	s_wait_alu 0xfffd
	v_cndmask_b32_e32 v16, v23, v21, vcc_lo
	s_delay_alu instid0(VALU_DEP_3) | instskip(SKIP_2) | instid1(VALU_DEP_2)
	v_cmp_ne_u32_e64 s0, 0, v15
	v_cndmask_b32_e32 v15, v22, v20, vcc_lo
	s_wait_alu 0xf1ff
	v_cndmask_b32_e64 v16, v18, v16, s0
	s_delay_alu instid0(VALU_DEP_2) | instskip(NEXT) | instid1(VALU_DEP_2)
	v_cndmask_b32_e64 v15, v17, v15, s0
	v_xor_b32_e32 v16, v16, v2
	s_delay_alu instid0(VALU_DEP_2) | instskip(NEXT) | instid1(VALU_DEP_1)
	v_xor_b32_e32 v15, v15, v2
	v_sub_co_u32 v17, vcc_lo, v15, v2
	s_wait_alu 0xfffd
	s_delay_alu instid0(VALU_DEP_3)
	v_sub_co_ci_u32_e64 v18, null, v16, v2, vcc_lo
.LBB22_5:                               ;   in Loop: Header=BB22_3 Depth=1
	s_wait_alu 0xfffe
	s_and_not1_saveexec_b32 s0, s36
	s_cbranch_execz .LBB22_7
; %bb.6:                                ;   in Loop: Header=BB22_3 Depth=1
	s_sub_co_i32 s29, 0, s4
	v_mov_b32_e32 v18, v1
	s_wait_alu 0xfffe
	v_mul_lo_u32 v2, s29, v0
	s_delay_alu instid0(VALU_DEP_1) | instskip(NEXT) | instid1(VALU_DEP_1)
	v_mul_hi_u32 v2, v0, v2
	v_add_nc_u32_e32 v2, v0, v2
	s_delay_alu instid0(VALU_DEP_1) | instskip(NEXT) | instid1(VALU_DEP_1)
	v_mul_hi_u32 v2, v3, v2
	v_mul_lo_u32 v15, v2, s4
	v_add_nc_u32_e32 v16, 1, v2
	s_delay_alu instid0(VALU_DEP_2) | instskip(NEXT) | instid1(VALU_DEP_1)
	v_sub_nc_u32_e32 v15, v3, v15
	v_subrev_nc_u32_e32 v17, s4, v15
	v_cmp_le_u32_e32 vcc_lo, s4, v15
	s_wait_alu 0xfffd
	s_delay_alu instid0(VALU_DEP_2) | instskip(NEXT) | instid1(VALU_DEP_1)
	v_dual_cndmask_b32 v15, v15, v17 :: v_dual_cndmask_b32 v2, v2, v16
	v_cmp_le_u32_e32 vcc_lo, s4, v15
	s_delay_alu instid0(VALU_DEP_2) | instskip(SKIP_1) | instid1(VALU_DEP_1)
	v_add_nc_u32_e32 v16, 1, v2
	s_wait_alu 0xfffd
	v_cndmask_b32_e32 v17, v2, v16, vcc_lo
.LBB22_7:                               ;   in Loop: Header=BB22_3 Depth=1
	s_wait_alu 0xfffe
	s_or_b32 exec_lo, exec_lo, s0
	s_delay_alu instid0(VALU_DEP_1) | instskip(SKIP_3) | instid1(VALU_DEP_4)
	v_mad_co_u64_u32 v[19:20], null, v17, 3, 0
	v_mad_co_u64_u32 v[15:16], null, s14, v17, v[3:4]
	v_mul_lo_u32 v21, s14, v18
	v_mul_lo_u32 v17, s15, v17
	v_mov_b32_e32 v2, v20
	s_delay_alu instid0(VALU_DEP_4) | instskip(NEXT) | instid1(VALU_DEP_3)
	v_mad_co_u64_u32 v[25:26], null, v15, s8, 0
	v_add3_u32 v21, v17, v16, v21
	s_delay_alu instid0(VALU_DEP_3) | instskip(SKIP_2) | instid1(VALU_DEP_4)
	v_mad_co_u64_u32 v[22:23], null, v18, 3, v[2:3]
	v_add_co_u32 v16, vcc_lo, v19, 1
	v_mul_lo_u32 v2, v15, s9
	v_mul_lo_u32 v24, v21, s8
	s_delay_alu instid0(VALU_DEP_3)
	v_mul_lo_u32 v23, s5, v16
	s_wait_alu 0xfffd
	v_add_co_ci_u32_e64 v18, null, 0, v22, vcc_lo
	v_add_co_u32 v20, vcc_lo, v19, 2
	v_mad_co_u64_u32 v[16:17], null, s4, v16, v[3:4]
	s_wait_alu 0xfffd
	v_add_co_ci_u32_e64 v27, null, 0, v22, vcc_lo
	v_mul_lo_u32 v18, s4, v18
	v_add_co_u32 v29, vcc_lo, v19, 3
	s_wait_alu 0xfffd
	v_add_co_ci_u32_e64 v22, null, 0, v22, vcc_lo
	v_mul_lo_u32 v30, s5, v20
	v_mad_co_u64_u32 v[19:20], null, s4, v20, v[3:4]
	v_mul_lo_u32 v27, s4, v27
	v_add3_u32 v28, v23, v17, v18
	v_mul_lo_u32 v31, s5, v29
	v_mad_co_u64_u32 v[17:18], null, s4, v29, v[3:4]
	v_mul_lo_u32 v29, s4, v22
	s_delay_alu instid0(VALU_DEP_4)
	v_mul_lo_u32 v32, v28, s8
	v_mad_co_u64_u32 v[22:23], null, v16, s8, 0
	v_add3_u32 v27, v30, v20, v27
	v_mul_lo_u32 v20, v16, s9
	v_add3_u32 v26, v26, v2, v24
	v_mul_lo_u32 v33, v19, s9
	;; [unrolled: 2-line block ×3, first 2 shown]
	v_mad_co_u64_u32 v[29:30], null, v19, s8, 0
	v_lshlrev_b64_e32 v[25:26], 2, v[25:26]
	v_add3_u32 v23, v23, v20, v32
	v_mul_lo_u32 v18, v24, s8
	v_mul_lo_u32 v20, v17, s9
	v_mad_co_u64_u32 v[31:32], null, v17, s8, 0
	v_add3_u32 v30, v30, v33, v2
	v_lshlrev_b64_e32 v[22:23], 2, v[22:23]
	v_add_co_u32 v25, vcc_lo, s2, v25
	s_wait_alu 0xfffd
	v_add_co_ci_u32_e64 v26, null, s3, v26, vcc_lo
	v_add3_u32 v32, v32, v20, v18
	v_lshlrev_b64_e32 v[29:30], 2, v[29:30]
	v_add_co_u32 v22, vcc_lo, s2, v22
	s_wait_alu 0xfffd
	v_add_co_ci_u32_e64 v23, null, s3, v23, vcc_lo
	v_lshlrev_b64_e32 v[31:32], 2, v[31:32]
	s_delay_alu instid0(VALU_DEP_4) | instskip(SKIP_2) | instid1(VALU_DEP_3)
	v_add_co_u32 v29, vcc_lo, s2, v29
	s_wait_alu 0xfffd
	v_add_co_ci_u32_e64 v30, null, s3, v30, vcc_lo
	v_add_co_u32 v31, vcc_lo, s2, v31
	s_wait_alu 0xfffd
	v_add_co_ci_u32_e64 v32, null, s3, v32, vcc_lo
	s_clause 0x3
	global_load_b32 v18, v[25:26], off
	global_load_b32 v2, v[22:23], off
	global_load_b32 v22, v[29:30], off
	global_load_b32 v20, v[31:32], off
	global_load_b32 v25, v[5:6], off
	global_load_b32 v29, v[7:8], off
	v_dual_mov_b32 v23, 0 :: v_dual_mov_b32 v26, 0
	s_and_not1_b32 vcc_lo, exec_lo, s33
	s_wait_alu 0xfffe
	s_cbranch_vccnz .LBB22_9
; %bb.8:                                ;   in Loop: Header=BB22_3 Depth=1
	global_load_b32 v26, v[11:12], off
.LBB22_9:                               ;   in Loop: Header=BB22_3 Depth=1
	s_and_not1_b32 vcc_lo, exec_lo, s34
	s_wait_alu 0xfffe
	s_cbranch_vccnz .LBB22_11
; %bb.10:                               ;   in Loop: Header=BB22_3 Depth=1
	global_load_b32 v23, v[13:14], off
.LBB22_11:                              ;   in Loop: Header=BB22_3 Depth=1
	s_wait_loadcnt 0x0
	v_cmp_ngt_f32_e64 s0, 0x3f200000, |v29|
                                        ; implicit-def: $vgpr30
	s_and_saveexec_b32 s29, s0
	s_wait_alu 0xfffe
	s_xor_b32 s0, exec_lo, s29
	s_cbranch_execz .LBB22_13
; %bb.12:                               ;   in Loop: Header=BB22_3 Depth=1
	v_add_f32_e64 v30, |v29|, |v29|
	s_delay_alu instid0(VALU_DEP_1) | instskip(SKIP_1) | instid1(VALU_DEP_2)
	v_mul_f32_e32 v31, 0x3fb8aa3b, v30
	v_cmp_ngt_f32_e32 vcc_lo, 0xc2ce8ed0, v30
	v_rndne_f32_e32 v32, v31
	v_fma_f32 v33, 0x3fb8aa3b, v30, -v31
	s_delay_alu instid0(VALU_DEP_2) | instskip(NEXT) | instid1(VALU_DEP_2)
	v_sub_f32_e32 v31, v31, v32
	v_fmac_f32_e32 v33, 0x32a5705f, v30
	v_cvt_i32_f32_e32 v32, v32
	s_delay_alu instid0(VALU_DEP_2) | instskip(NEXT) | instid1(VALU_DEP_1)
	v_add_f32_e32 v31, v31, v33
	v_exp_f32_e32 v31, v31
	s_delay_alu instid0(TRANS32_DEP_1) | instskip(SKIP_1) | instid1(VALU_DEP_1)
	v_ldexp_f32 v31, v31, v32
	s_wait_alu 0xfffd
	v_cndmask_b32_e32 v31, 0, v31, vcc_lo
	v_cmp_nlt_f32_e32 vcc_lo, 0x42b17218, v30
	s_wait_alu 0xfffd
	s_delay_alu instid0(VALU_DEP_2) | instskip(NEXT) | instid1(VALU_DEP_1)
	v_cndmask_b32_e32 v30, 0x7f800000, v31, vcc_lo
	v_add_f32_e32 v30, 1.0, v30
	s_delay_alu instid0(VALU_DEP_1) | instskip(NEXT) | instid1(TRANS32_DEP_1)
	v_rcp_f32_e32 v30, v30
	v_fma_f32 v30, v30, -2.0, 1.0
.LBB22_13:                              ;   in Loop: Header=BB22_3 Depth=1
	s_wait_alu 0xfffe
	s_and_not1_saveexec_b32 s0, s0
	s_cbranch_execz .LBB22_2
; %bb.14:                               ;   in Loop: Header=BB22_3 Depth=1
	v_mul_f32_e32 v30, v29, v29
	s_delay_alu instid0(VALU_DEP_1) | instskip(NEXT) | instid1(VALU_DEP_1)
	v_fmaak_f32 v31, s17, v30, 0x3ca908c9
	v_fmaak_f32 v31, v30, v31, 0xbd5c1c4e
	s_delay_alu instid0(VALU_DEP_1) | instskip(NEXT) | instid1(VALU_DEP_1)
	v_fmaak_f32 v31, v30, v31, 0x3e088382
	v_fmaak_f32 v31, v30, v31, 0xbeaaaa99
	s_delay_alu instid0(VALU_DEP_1) | instskip(NEXT) | instid1(VALU_DEP_1)
	v_mul_f32_e64 v31, |v29|, v31
	v_fma_f32 v30, v30, v31, |v29|
	s_branch .LBB22_2
.LBB22_15:
	s_endpgm
	.section	.rodata,"a",@progbits
	.p2align	6, 0x0
	.amdhsa_kernel _ZN2at6native12_GLOBAL__N_16kernel18lstm_cell_backwardIfflLi1EEEvNS_4cuda6detail10TensorInfoIT_T1_EES9_S9_S9_S9_S9_S9_S8_S8_
		.amdhsa_group_segment_fixed_size 0
		.amdhsa_private_segment_fixed_size 0
		.amdhsa_kernarg_size 3184
		.amdhsa_user_sgpr_count 2
		.amdhsa_user_sgpr_dispatch_ptr 0
		.amdhsa_user_sgpr_queue_ptr 0
		.amdhsa_user_sgpr_kernarg_segment_ptr 1
		.amdhsa_user_sgpr_dispatch_id 0
		.amdhsa_user_sgpr_private_segment_size 0
		.amdhsa_wavefront_size32 1
		.amdhsa_uses_dynamic_stack 0
		.amdhsa_enable_private_segment 0
		.amdhsa_system_sgpr_workgroup_id_x 1
		.amdhsa_system_sgpr_workgroup_id_y 0
		.amdhsa_system_sgpr_workgroup_id_z 0
		.amdhsa_system_sgpr_workgroup_info 0
		.amdhsa_system_vgpr_workitem_id 0
		.amdhsa_next_free_vgpr 35
		.amdhsa_next_free_sgpr 47
		.amdhsa_reserve_vcc 1
		.amdhsa_float_round_mode_32 0
		.amdhsa_float_round_mode_16_64 0
		.amdhsa_float_denorm_mode_32 3
		.amdhsa_float_denorm_mode_16_64 3
		.amdhsa_fp16_overflow 0
		.amdhsa_workgroup_processor_mode 1
		.amdhsa_memory_ordered 1
		.amdhsa_forward_progress 1
		.amdhsa_inst_pref_size 23
		.amdhsa_round_robin_scheduling 0
		.amdhsa_exception_fp_ieee_invalid_op 0
		.amdhsa_exception_fp_denorm_src 0
		.amdhsa_exception_fp_ieee_div_zero 0
		.amdhsa_exception_fp_ieee_overflow 0
		.amdhsa_exception_fp_ieee_underflow 0
		.amdhsa_exception_fp_ieee_inexact 0
		.amdhsa_exception_int_div_zero 0
	.end_amdhsa_kernel
	.section	.text._ZN2at6native12_GLOBAL__N_16kernel18lstm_cell_backwardIfflLi1EEEvNS_4cuda6detail10TensorInfoIT_T1_EES9_S9_S9_S9_S9_S9_S8_S8_,"axG",@progbits,_ZN2at6native12_GLOBAL__N_16kernel18lstm_cell_backwardIfflLi1EEEvNS_4cuda6detail10TensorInfoIT_T1_EES9_S9_S9_S9_S9_S9_S8_S8_,comdat
.Lfunc_end22:
	.size	_ZN2at6native12_GLOBAL__N_16kernel18lstm_cell_backwardIfflLi1EEEvNS_4cuda6detail10TensorInfoIT_T1_EES9_S9_S9_S9_S9_S9_S8_S8_, .Lfunc_end22-_ZN2at6native12_GLOBAL__N_16kernel18lstm_cell_backwardIfflLi1EEEvNS_4cuda6detail10TensorInfoIT_T1_EES9_S9_S9_S9_S9_S9_S8_S8_
                                        ; -- End function
	.set _ZN2at6native12_GLOBAL__N_16kernel18lstm_cell_backwardIfflLi1EEEvNS_4cuda6detail10TensorInfoIT_T1_EES9_S9_S9_S9_S9_S9_S8_S8_.num_vgpr, 35
	.set _ZN2at6native12_GLOBAL__N_16kernel18lstm_cell_backwardIfflLi1EEEvNS_4cuda6detail10TensorInfoIT_T1_EES9_S9_S9_S9_S9_S9_S8_S8_.num_agpr, 0
	.set _ZN2at6native12_GLOBAL__N_16kernel18lstm_cell_backwardIfflLi1EEEvNS_4cuda6detail10TensorInfoIT_T1_EES9_S9_S9_S9_S9_S9_S8_S8_.numbered_sgpr, 47
	.set _ZN2at6native12_GLOBAL__N_16kernel18lstm_cell_backwardIfflLi1EEEvNS_4cuda6detail10TensorInfoIT_T1_EES9_S9_S9_S9_S9_S9_S8_S8_.num_named_barrier, 0
	.set _ZN2at6native12_GLOBAL__N_16kernel18lstm_cell_backwardIfflLi1EEEvNS_4cuda6detail10TensorInfoIT_T1_EES9_S9_S9_S9_S9_S9_S8_S8_.private_seg_size, 0
	.set _ZN2at6native12_GLOBAL__N_16kernel18lstm_cell_backwardIfflLi1EEEvNS_4cuda6detail10TensorInfoIT_T1_EES9_S9_S9_S9_S9_S9_S8_S8_.uses_vcc, 1
	.set _ZN2at6native12_GLOBAL__N_16kernel18lstm_cell_backwardIfflLi1EEEvNS_4cuda6detail10TensorInfoIT_T1_EES9_S9_S9_S9_S9_S9_S8_S8_.uses_flat_scratch, 0
	.set _ZN2at6native12_GLOBAL__N_16kernel18lstm_cell_backwardIfflLi1EEEvNS_4cuda6detail10TensorInfoIT_T1_EES9_S9_S9_S9_S9_S9_S8_S8_.has_dyn_sized_stack, 0
	.set _ZN2at6native12_GLOBAL__N_16kernel18lstm_cell_backwardIfflLi1EEEvNS_4cuda6detail10TensorInfoIT_T1_EES9_S9_S9_S9_S9_S9_S8_S8_.has_recursion, 0
	.set _ZN2at6native12_GLOBAL__N_16kernel18lstm_cell_backwardIfflLi1EEEvNS_4cuda6detail10TensorInfoIT_T1_EES9_S9_S9_S9_S9_S9_S8_S8_.has_indirect_call, 0
	.section	.AMDGPU.csdata,"",@progbits
; Kernel info:
; codeLenInByte = 2944
; TotalNumSgprs: 49
; NumVgprs: 35
; ScratchSize: 0
; MemoryBound: 0
; FloatMode: 240
; IeeeMode: 1
; LDSByteSize: 0 bytes/workgroup (compile time only)
; SGPRBlocks: 0
; VGPRBlocks: 4
; NumSGPRsForWavesPerEU: 49
; NumVGPRsForWavesPerEU: 35
; Occupancy: 16
; WaveLimiterHint : 1
; COMPUTE_PGM_RSRC2:SCRATCH_EN: 0
; COMPUTE_PGM_RSRC2:USER_SGPR: 2
; COMPUTE_PGM_RSRC2:TRAP_HANDLER: 0
; COMPUTE_PGM_RSRC2:TGID_X_EN: 1
; COMPUTE_PGM_RSRC2:TGID_Y_EN: 0
; COMPUTE_PGM_RSRC2:TGID_Z_EN: 0
; COMPUTE_PGM_RSRC2:TIDIG_COMP_CNT: 0
	.section	.text._ZN2at6native12_GLOBAL__N_16kernel18lstm_cell_backwardIfflLi2EEEvNS_4cuda6detail10TensorInfoIT_T1_EES9_S9_S9_S9_S9_S9_S8_S8_,"axG",@progbits,_ZN2at6native12_GLOBAL__N_16kernel18lstm_cell_backwardIfflLi2EEEvNS_4cuda6detail10TensorInfoIT_T1_EES9_S9_S9_S9_S9_S9_S8_S8_,comdat
	.globl	_ZN2at6native12_GLOBAL__N_16kernel18lstm_cell_backwardIfflLi2EEEvNS_4cuda6detail10TensorInfoIT_T1_EES9_S9_S9_S9_S9_S9_S8_S8_ ; -- Begin function _ZN2at6native12_GLOBAL__N_16kernel18lstm_cell_backwardIfflLi2EEEvNS_4cuda6detail10TensorInfoIT_T1_EES9_S9_S9_S9_S9_S9_S8_S8_
	.p2align	8
	.type	_ZN2at6native12_GLOBAL__N_16kernel18lstm_cell_backwardIfflLi2EEEvNS_4cuda6detail10TensorInfoIT_T1_EES9_S9_S9_S9_S9_S9_S8_S8_,@function
_ZN2at6native12_GLOBAL__N_16kernel18lstm_cell_backwardIfflLi2EEEvNS_4cuda6detail10TensorInfoIT_T1_EES9_S9_S9_S9_S9_S9_S8_S8_: ; @_ZN2at6native12_GLOBAL__N_16kernel18lstm_cell_backwardIfflLi2EEEvNS_4cuda6detail10TensorInfoIT_T1_EES9_S9_S9_S9_S9_S9_S8_S8_
; %bb.0:
	s_clause 0x1
	s_load_b32 s2, s[0:1], 0xb7c
	s_load_b128 s[4:7], s[0:1], 0xb60
	v_mov_b32_e32 v1, 0
	s_wait_kmcnt 0x0
	s_and_b32 s64, s2, 0xffff
	s_mov_b32 s2, exec_lo
	s_delay_alu instid0(VALU_DEP_1) | instskip(SKIP_1) | instid1(VALU_DEP_1)
	v_mad_co_u64_u32 v[3:4], null, ttmp9, s64, v[0:1]
	v_mov_b32_e32 v4, v1
	v_cmpx_gt_i64_e64 s[6:7], v[3:4]
	s_cbranch_execz .LBB23_67
; %bb.1:
	s_clause 0x1
	s_load_b64 s[2:3], s[0:1], 0x0
	s_load_b64 s[34:35], s[0:1], 0x10
	v_cvt_f32_u32_e32 v0, s4
	s_add_nc_u64 s[20:21], s[0:1], 0xb70
	s_clause 0x8
	s_load_b128 s[8:11], s[0:1], 0xd0
	s_load_b64 s[40:41], s[0:1], 0x1a0
	s_load_b64 s[42:43], s[0:1], 0x680
	;; [unrolled: 1-line block ×3, first 2 shown]
	s_load_b128 s[12:15], s[0:1], 0x270
	s_load_b128 s[16:19], s[0:1], 0x750
	s_load_b64 s[46:47], s[0:1], 0x820
	s_load_b64 s[48:49], s[0:1], 0x340
	;; [unrolled: 1-line block ×3, first 2 shown]
	s_load_b32 s65, s[20:21], 0x0
	s_clause 0x9
	s_load_b128 s[20:23], s[0:1], 0x410
	s_load_b64 s[52:53], s[0:1], 0x4e0
	s_load_b64 s[54:55], s[0:1], 0x4f0
	s_load_b128 s[24:27], s[0:1], 0x5b0
	s_load_b64 s[56:57], s[0:1], 0x690
	s_load_b64 s[58:59], s[0:1], 0x9c0
	;; [unrolled: 1-line block ×4, first 2 shown]
	s_load_b128 s[28:31], s[0:1], 0x8f0
	s_load_b128 s[36:39], s[0:1], 0xa90
	s_mov_b32 s1, 0
	v_rcp_iflag_f32_e32 v0, v0
	s_mov_b32 s82, 0xbbbac73d
	s_mov_b32 s83, 0
	s_wait_kmcnt 0x0
	s_cmp_lg_u64 s[42:43], 0
	s_cselect_b32 s33, -1, 0
	s_cmp_lg_u64 s[46:47], 0
	s_cselect_b32 s80, -1, 0
	s_delay_alu instid0(TRANS32_DEP_1)
	v_mul_f32_e32 v0, 0x4f7ffffe, v0
	s_mul_i32 s81, s65, s64
	s_mul_u64 s[64:65], s[4:5], 3
	s_sub_nc_u64 s[66:67], 0, s[50:51]
	v_cvt_f32_u32_e32 v2, s34
	v_cvt_u32_f32_e32 v0, v0
	s_sub_nc_u64 s[68:69], 0, s[54:55]
	s_sub_nc_u64 s[70:71], 0, s[60:61]
	;; [unrolled: 1-line block ×3, first 2 shown]
	v_rcp_iflag_f32_e32 v2, v2
	s_sub_nc_u64 s[74:75], 0, s[62:63]
	s_delay_alu instid0(TRANS32_DEP_1) | instskip(NEXT) | instid1(VALU_DEP_1)
	v_mul_f32_e32 v2, 0x4f7ffffe, v2
	v_cvt_u32_f32_e32 v25, v2
	s_branch .LBB23_3
.LBB23_2:                               ;   in Loop: Header=BB23_3 Depth=1
	s_wait_alu 0xfffe
	s_or_b32 exec_lo, exec_lo, s0
	v_mad_co_u64_u32 v[33:34], null, s70, v21, v[3:4]
	v_mul_lo_u32 v24, s70, v22
	v_mul_lo_u32 v35, s71, v21
	;; [unrolled: 1-line block ×4, first 2 shown]
	v_mad_co_u64_u32 v[21:22], null, v21, s36, 0
	v_mul_lo_u32 v40, v20, s44
	v_mul_lo_u32 v41, v19, s45
	;; [unrolled: 1-line block ×3, first 2 shown]
	v_add3_u32 v24, v35, v34, v24
	v_mad_co_u64_u32 v[34:35], null, v19, s44, 0
	v_add3_u32 v22, v22, v39, v38
	v_mad_co_u64_u32 v[36:37], null, v33, s38, 0
	s_delay_alu instid0(VALU_DEP_4) | instskip(SKIP_1) | instid1(VALU_DEP_4)
	v_mul_lo_u32 v24, v24, s38
	v_mul_lo_u32 v38, v18, s44
	v_lshlrev_b64_e32 v[21:22], 2, v[21:22]
	v_add3_u32 v33, v35, v41, v40
	v_sub_co_u32 v11, vcc_lo, v11, v34
	v_mul_lo_u32 v39, v17, s45
	v_mul_lo_u32 v40, v20, s12
	s_wait_alu 0xfffd
	v_sub_co_ci_u32_e64 v12, null, v12, v33, vcc_lo
	v_add3_u32 v37, v37, v42, v24
	v_add_co_u32 v24, vcc_lo, s58, v21
	s_wait_alu 0xfffd
	v_add_co_ci_u32_e64 v35, null, s59, v22, vcc_lo
	v_add_co_u32 v33, vcc_lo, v3, v11
	s_wait_alu 0xfffd
	v_add_co_ci_u32_e64 v34, null, v4, v12, vcc_lo
	v_mad_co_u64_u32 v[11:12], null, v17, s44, 0
	v_mul_lo_u32 v41, v19, s13
	v_mad_co_u64_u32 v[19:20], null, v19, s12, 0
	v_lshlrev_b64_e32 v[21:22], 2, v[36:37]
	v_mul_lo_u32 v36, v34, s14
	v_mul_lo_u32 v37, v33, s15
	v_add3_u32 v12, v12, v39, v38
	v_sub_co_u32 v9, vcc_lo, v9, v11
	v_mad_co_u64_u32 v[33:34], null, v33, s14, 0
	s_wait_alu 0xfffd
	s_delay_alu instid0(VALU_DEP_3) | instskip(SKIP_3) | instid1(VALU_DEP_3)
	v_sub_co_ci_u32_e64 v10, null, v10, v12, vcc_lo
	v_add3_u32 v20, v20, v41, v40
	v_add_co_u32 v38, vcc_lo, v3, v9
	s_wait_alu 0xfffd
	v_add_co_ci_u32_e64 v39, null, v4, v10, vcc_lo
	v_add_co_u32 v9, vcc_lo, v24, v21
	v_lshlrev_b64_e32 v[11:12], 2, v[19:20]
	s_wait_alu 0xfffd
	v_add_co_ci_u32_e64 v10, null, v35, v22, vcc_lo
	v_add3_u32 v34, v34, v37, v36
	v_mul_lo_u32 v36, v16, s44
	v_mul_lo_u32 v37, v15, s45
	v_mad_co_u64_u32 v[21:22], null, v15, s44, 0
	v_mul_lo_u32 v35, v38, s15
	v_mad_co_u64_u32 v[19:20], null, v38, s14, 0
	v_add_co_u32 v38, vcc_lo, s40, v11
	v_mul_lo_u32 v24, v39, s14
	s_wait_alu 0xfffd
	v_add_co_ci_u32_e64 v39, null, s41, v12, vcc_lo
	v_mul_lo_u32 v40, v18, s12
	v_mul_lo_u32 v41, v17, s13
	v_mad_co_u64_u32 v[11:12], null, v17, s12, 0
	v_add3_u32 v22, v22, v37, v36
	v_sub_co_u32 v7, vcc_lo, v7, v21
	v_lshlrev_b64_e32 v[17:18], 2, v[33:34]
	v_add3_u32 v20, v20, v35, v24
	s_wait_alu 0xfffd
	v_sub_co_ci_u32_e64 v8, null, v8, v22, vcc_lo
	v_add3_u32 v12, v12, v41, v40
	v_add_co_u32 v21, vcc_lo, v3, v7
	s_wait_alu 0xfffd
	s_delay_alu instid0(VALU_DEP_3) | instskip(NEXT) | instid1(VALU_DEP_3)
	v_add_co_ci_u32_e64 v22, null, v4, v8, vcc_lo
	v_lshlrev_b64_e32 v[11:12], 2, v[11:12]
	v_add_co_u32 v7, vcc_lo, v38, v17
	s_wait_alu 0xfffd
	v_add_co_ci_u32_e64 v8, null, v39, v18, vcc_lo
	v_lshlrev_b64_e32 v[17:18], 2, v[19:20]
	v_mul_lo_u32 v24, v22, s14
	v_mul_lo_u32 v33, v21, s15
	v_mad_co_u64_u32 v[19:20], null, v21, s14, 0
	v_mul_lo_u32 v36, v14, s44
	v_mul_lo_u32 v37, v13, s45
	v_mad_co_u64_u32 v[21:22], null, v13, s44, 0
	;; [unrolled: 3-line block ×3, first 2 shown]
	v_add_co_u32 v11, vcc_lo, s40, v11
	s_wait_alu 0xfffd
	v_add_co_ci_u32_e64 v12, null, s41, v12, vcc_lo
	v_add3_u32 v20, v20, v33, v24
	s_delay_alu instid0(VALU_DEP_3)
	v_add_co_u32 v11, vcc_lo, v11, v17
	v_add3_u32 v17, v22, v37, v36
	v_add3_u32 v16, v16, v35, v34
	s_wait_alu 0xfffd
	v_add_co_ci_u32_e64 v12, null, v12, v18, vcc_lo
	v_sub_co_u32 v18, vcc_lo, v5, v21
	s_wait_alu 0xfffd
	v_sub_co_ci_u32_e64 v17, null, v6, v17, vcc_lo
	v_lshlrev_b64_e32 v[15:16], 2, v[15:16]
	v_mul_lo_u32 v21, v14, s12
	v_mul_lo_u32 v22, v13, s13
	v_mad_co_u64_u32 v[5:6], null, v13, s12, 0
	v_add_co_u32 v18, vcc_lo, v3, v18
	s_wait_alu 0xfffd
	v_add_co_ci_u32_e64 v17, null, v4, v17, vcc_lo
	v_add_co_u32 v24, vcc_lo, s40, v15
	s_wait_alu 0xfffd
	v_add_co_ci_u32_e64 v33, null, s41, v16, vcc_lo
	v_lshlrev_b64_e32 v[13:14], 2, v[19:20]
	v_mul_lo_u32 v17, v17, s14
	v_add3_u32 v6, v6, v22, v21
	v_mul_lo_u32 v19, v18, s15
	v_mad_co_u64_u32 v[15:16], null, v18, s14, 0
	v_bfi_b32 v20, 0x7fffffff, v23, v31
	s_delay_alu instid0(VALU_DEP_4) | instskip(SKIP_2) | instid1(VALU_DEP_4)
	v_lshlrev_b64_e32 v[5:6], 2, v[5:6]
	v_mul_f32_e32 v18, v29, v32
	v_add_co_u32 v13, vcc_lo, v24, v13
	v_fma_f32 v21, -v20, v20, 1.0
	v_add3_u32 v16, v16, v19, v17
	s_wait_alu 0xfffd
	v_add_co_ci_u32_e64 v14, null, v33, v14, vcc_lo
	v_add_co_u32 v17, vcc_lo, s40, v5
	s_wait_loadcnt 0x0
	v_dual_fmac_f32 v2, v18, v21 :: v_dual_sub_f32 v19, 1.0, v26
	s_wait_alu 0xfffd
	v_add_co_ci_u32_e64 v18, null, s41, v6, vcc_lo
	v_lshlrev_b64_e32 v[5:6], 2, v[15:16]
	s_delay_alu instid0(VALU_DEP_3) | instskip(SKIP_1) | instid1(VALU_DEP_3)
	v_mul_f32_e32 v15, v28, v2
	v_dual_mul_f32 v16, v30, v2 :: v_dual_sub_f32 v21, 1.0, v27
	v_add_co_u32 v5, vcc_lo, v17, v5
	s_wait_alu 0xfffd
	s_delay_alu instid0(VALU_DEP_4)
	v_add_co_ci_u32_e64 v6, null, v18, v6, vcc_lo
	v_dual_mul_f32 v17, v32, v20 :: v_dual_mul_f32 v18, v26, v2
	v_dual_mul_f32 v15, v19, v15 :: v_dual_mul_f32 v16, v21, v16
	v_sub_f32_e32 v20, 1.0, v29
	v_add_co_u32 v3, vcc_lo, v3, s81
	s_wait_alu 0xfffd
	v_add_co_ci_u32_e64 v4, null, 0, v4, vcc_lo
	v_fma_f32 v19, -v28, v28, 1.0
	v_mul_f32_e32 v15, v26, v15
	v_dual_mul_f32 v17, v20, v17 :: v_dual_mul_f32 v16, v27, v16
	s_delay_alu instid0(VALU_DEP_4) | instskip(NEXT) | instid1(VALU_DEP_4)
	v_cmp_le_i64_e32 vcc_lo, s[6:7], v[3:4]
	v_mul_f32_e32 v18, v19, v18
	s_delay_alu instid0(VALU_DEP_3)
	v_dual_mul_f32 v2, v27, v2 :: v_dual_mul_f32 v17, v29, v17
	s_clause 0x3
	global_store_b32 v[5:6], v15, off
	global_store_b32 v[13:14], v16, off
	;; [unrolled: 1-line block ×5, first 2 shown]
	s_or_b32 s83, vcc_lo, s83
	s_wait_alu 0xfffe
	s_and_not1_b32 exec_lo, exec_lo, s83
	s_cbranch_execz .LBB23_67
.LBB23_3:                               ; =>This Inner Loop Header: Depth=1
	v_or_b32_e32 v2, s5, v4
                                        ; implicit-def: $vgpr7_vgpr8
	s_mov_b32 s0, exec_lo
	s_delay_alu instid0(VALU_DEP_1)
	v_cmpx_ne_u64_e32 0, v[1:2]
	s_wait_alu 0xfffe
	s_xor_b32 s84, exec_lo, s0
	s_cbranch_execz .LBB23_5
; %bb.4:                                ;   in Loop: Header=BB23_3 Depth=1
	s_ashr_i32 s76, s5, 31
	v_ashrrev_i32_e32 v2, 31, v4
	s_wait_alu 0xfffe
	s_mov_b32 s77, s76
	s_wait_alu 0xfffe
	s_add_nc_u64 s[78:79], s[4:5], s[76:77]
	v_add_co_u32 v5, vcc_lo, v3, v2
	s_wait_alu 0xfffe
	s_xor_b64 s[78:79], s[78:79], s[76:77]
	s_wait_alu 0xfffd
	v_add_co_ci_u32_e64 v6, null, v4, v2, vcc_lo
	s_wait_alu 0xfffe
	s_cvt_f32_u32 s0, s78
	s_cvt_f32_u32 s77, s79
	s_sub_nc_u64 s[88:89], 0, s[78:79]
	v_xor_b32_e32 v11, v5, v2
	v_xor_b32_e32 v12, v6, v2
	s_wait_alu 0xfffe
	s_fmamk_f32 s0, s77, 0x4f800000, s0
	v_xor_b32_e32 v2, s76, v2
	s_wait_alu 0xfffe
	s_delay_alu instid0(SALU_CYCLE_1) | instskip(NEXT) | instid1(TRANS32_DEP_1)
	v_s_rcp_f32 s0, s0
	s_mul_f32 s0, s0, 0x5f7ffffc
	s_wait_alu 0xfffe
	s_delay_alu instid0(SALU_CYCLE_2) | instskip(SKIP_1) | instid1(SALU_CYCLE_2)
	s_mul_f32 s77, s0, 0x2f800000
	s_wait_alu 0xfffe
	s_trunc_f32 s77, s77
	s_wait_alu 0xfffe
	s_delay_alu instid0(SALU_CYCLE_2) | instskip(SKIP_2) | instid1(SALU_CYCLE_1)
	s_fmamk_f32 s0, s77, 0xcf800000, s0
	s_cvt_u32_f32 s87, s77
	s_wait_alu 0xfffe
	s_cvt_u32_f32 s86, s0
	s_delay_alu instid0(SALU_CYCLE_3) | instskip(NEXT) | instid1(SALU_CYCLE_1)
	s_mul_u64 s[90:91], s[88:89], s[86:87]
	s_mul_hi_u32 s93, s86, s91
	s_mul_i32 s92, s86, s91
	s_mul_hi_u32 s0, s86, s90
	s_mul_i32 s85, s87, s90
	s_wait_alu 0xfffe
	s_add_nc_u64 s[92:93], s[0:1], s[92:93]
	s_mul_hi_u32 s77, s87, s90
	s_mul_hi_u32 s94, s87, s91
	s_add_co_u32 s0, s92, s85
	s_wait_alu 0xfffe
	s_add_co_ci_u32 s0, s93, s77
	s_mul_i32 s90, s87, s91
	s_add_co_ci_u32 s91, s94, 0
	s_wait_alu 0xfffe
	s_add_nc_u64 s[90:91], s[0:1], s[90:91]
	s_delay_alu instid0(SALU_CYCLE_1) | instskip(SKIP_4) | instid1(SALU_CYCLE_1)
	s_add_co_u32 s86, s86, s90
	s_cselect_b32 s0, -1, 0
	s_wait_alu 0xfffe
	s_cmp_lg_u32 s0, 0
	s_add_co_ci_u32 s87, s87, s91
	s_mul_u64 s[88:89], s[88:89], s[86:87]
	s_delay_alu instid0(SALU_CYCLE_1)
	s_mul_hi_u32 s91, s86, s89
	s_mul_i32 s90, s86, s89
	s_mul_hi_u32 s0, s86, s88
	s_mul_i32 s85, s87, s88
	s_wait_alu 0xfffe
	s_add_nc_u64 s[90:91], s[0:1], s[90:91]
	s_mul_hi_u32 s77, s87, s88
	s_mul_hi_u32 s92, s87, s89
	s_add_co_u32 s0, s90, s85
	s_wait_alu 0xfffe
	s_add_co_ci_u32 s0, s91, s77
	s_mul_i32 s88, s87, s89
	s_add_co_ci_u32 s89, s92, 0
	s_wait_alu 0xfffe
	s_add_nc_u64 s[88:89], s[0:1], s[88:89]
	s_delay_alu instid0(SALU_CYCLE_1)
	s_add_co_u32 s0, s86, s88
	s_cselect_b32 s77, -1, 0
	s_wait_alu 0xfffe
	v_mul_hi_u32 v13, v11, s0
	s_cmp_lg_u32 s77, 0
	v_mad_co_u64_u32 v[7:8], null, v12, s0, 0
	s_add_co_ci_u32 s77, s87, s89
	s_wait_alu 0xfffe
	v_mad_co_u64_u32 v[5:6], null, v11, s77, 0
	v_mad_co_u64_u32 v[9:10], null, v12, s77, 0
	s_delay_alu instid0(VALU_DEP_2) | instskip(SKIP_1) | instid1(VALU_DEP_3)
	v_add_co_u32 v5, vcc_lo, v13, v5
	s_wait_alu 0xfffd
	v_add_co_ci_u32_e64 v6, null, 0, v6, vcc_lo
	s_delay_alu instid0(VALU_DEP_2) | instskip(SKIP_1) | instid1(VALU_DEP_2)
	v_add_co_u32 v5, vcc_lo, v5, v7
	s_wait_alu 0xfffd
	v_add_co_ci_u32_e32 v5, vcc_lo, v6, v8, vcc_lo
	s_wait_alu 0xfffd
	v_add_co_ci_u32_e32 v6, vcc_lo, 0, v10, vcc_lo
	s_delay_alu instid0(VALU_DEP_2) | instskip(SKIP_1) | instid1(VALU_DEP_2)
	v_add_co_u32 v7, vcc_lo, v5, v9
	s_wait_alu 0xfffd
	v_add_co_ci_u32_e64 v8, null, 0, v6, vcc_lo
	s_delay_alu instid0(VALU_DEP_2) | instskip(SKIP_1) | instid1(VALU_DEP_3)
	v_mul_lo_u32 v9, s79, v7
	v_mad_co_u64_u32 v[5:6], null, s78, v7, 0
	v_mul_lo_u32 v10, s78, v8
	s_delay_alu instid0(VALU_DEP_2) | instskip(NEXT) | instid1(VALU_DEP_2)
	v_sub_co_u32 v5, vcc_lo, v11, v5
	v_add3_u32 v6, v6, v10, v9
	v_add_co_u32 v10, s0, v7, 2
	s_wait_alu 0xf1ff
	v_add_co_ci_u32_e64 v11, null, 0, v8, s0
	s_delay_alu instid0(VALU_DEP_3) | instskip(SKIP_3) | instid1(VALU_DEP_3)
	v_sub_nc_u32_e32 v9, v12, v6
	v_sub_co_u32 v13, s0, v5, s78
	s_wait_alu 0xfffd
	v_sub_co_ci_u32_e64 v6, null, v12, v6, vcc_lo
	v_subrev_co_ci_u32_e64 v9, null, s79, v9, vcc_lo
	s_delay_alu instid0(VALU_DEP_3) | instskip(SKIP_1) | instid1(VALU_DEP_2)
	v_cmp_le_u32_e32 vcc_lo, s78, v13
	s_wait_alu 0xf1ff
	v_subrev_co_ci_u32_e64 v9, null, 0, v9, s0
	s_wait_alu 0xfffd
	v_cndmask_b32_e64 v12, 0, -1, vcc_lo
	s_delay_alu instid0(VALU_DEP_2)
	v_cmp_le_u32_e32 vcc_lo, s79, v9
	s_wait_alu 0xfffd
	v_cndmask_b32_e64 v13, 0, -1, vcc_lo
	v_cmp_le_u32_e32 vcc_lo, s78, v5
	s_wait_alu 0xfffd
	v_cndmask_b32_e64 v5, 0, -1, vcc_lo
	;; [unrolled: 3-line block ×3, first 2 shown]
	v_cmp_eq_u32_e32 vcc_lo, s79, v9
	s_wait_alu 0xfffd
	v_cndmask_b32_e32 v9, v13, v12, vcc_lo
	v_add_co_u32 v12, vcc_lo, v7, 1
	s_wait_alu 0xfffd
	v_add_co_ci_u32_e64 v13, null, 0, v8, vcc_lo
	v_cmp_eq_u32_e32 vcc_lo, s79, v6
	s_wait_alu 0xfffd
	v_cndmask_b32_e32 v5, v14, v5, vcc_lo
	v_cmp_ne_u32_e32 vcc_lo, 0, v9
	s_wait_alu 0xfffd
	v_cndmask_b32_e32 v6, v13, v11, vcc_lo
	s_delay_alu instid0(VALU_DEP_3) | instskip(SKIP_2) | instid1(VALU_DEP_2)
	v_cmp_ne_u32_e64 s0, 0, v5
	v_cndmask_b32_e32 v5, v12, v10, vcc_lo
	s_wait_alu 0xf1ff
	v_cndmask_b32_e64 v6, v8, v6, s0
	s_delay_alu instid0(VALU_DEP_2) | instskip(NEXT) | instid1(VALU_DEP_2)
	v_cndmask_b32_e64 v5, v7, v5, s0
	v_xor_b32_e32 v6, v6, v2
	s_delay_alu instid0(VALU_DEP_2) | instskip(NEXT) | instid1(VALU_DEP_1)
	v_xor_b32_e32 v5, v5, v2
	v_sub_co_u32 v7, vcc_lo, v5, v2
	s_wait_alu 0xfffd
	s_delay_alu instid0(VALU_DEP_3)
	v_sub_co_ci_u32_e64 v8, null, v6, v2, vcc_lo
.LBB23_5:                               ;   in Loop: Header=BB23_3 Depth=1
	s_and_not1_saveexec_b32 s0, s84
	s_cbranch_execz .LBB23_7
; %bb.6:                                ;   in Loop: Header=BB23_3 Depth=1
	s_sub_co_i32 s76, 0, s4
	v_mov_b32_e32 v8, v1
	s_wait_alu 0xfffe
	v_mul_lo_u32 v2, s76, v0
	s_delay_alu instid0(VALU_DEP_1) | instskip(NEXT) | instid1(VALU_DEP_1)
	v_mul_hi_u32 v2, v0, v2
	v_add_nc_u32_e32 v2, v0, v2
	s_delay_alu instid0(VALU_DEP_1) | instskip(NEXT) | instid1(VALU_DEP_1)
	v_mul_hi_u32 v2, v3, v2
	v_mul_lo_u32 v5, v2, s4
	v_add_nc_u32_e32 v6, 1, v2
	s_delay_alu instid0(VALU_DEP_2) | instskip(NEXT) | instid1(VALU_DEP_1)
	v_sub_nc_u32_e32 v5, v3, v5
	v_subrev_nc_u32_e32 v7, s4, v5
	v_cmp_le_u32_e32 vcc_lo, s4, v5
	s_wait_alu 0xfffd
	s_delay_alu instid0(VALU_DEP_2) | instskip(NEXT) | instid1(VALU_DEP_1)
	v_dual_cndmask_b32 v5, v5, v7 :: v_dual_cndmask_b32 v2, v2, v6
	v_cmp_le_u32_e32 vcc_lo, s4, v5
	s_delay_alu instid0(VALU_DEP_2) | instskip(SKIP_1) | instid1(VALU_DEP_1)
	v_add_nc_u32_e32 v6, 1, v2
	s_wait_alu 0xfffd
	v_cndmask_b32_e32 v7, v2, v6, vcc_lo
.LBB23_7:                               ;   in Loop: Header=BB23_3 Depth=1
	s_wait_alu 0xfffe
	s_or_b32 exec_lo, exec_lo, s0
	s_delay_alu instid0(VALU_DEP_1)
	v_mul_lo_u32 v2, s65, v7
	v_mul_lo_u32 v9, s64, v8
	v_mad_co_u64_u32 v[5:6], null, s64, v7, 0
	s_mov_b32 s0, exec_lo
	v_add3_u32 v6, v6, v9, v2
	v_add_co_u32 v16, vcc_lo, v3, v5
                                        ; implicit-def: $vgpr9_vgpr10
	s_wait_alu 0xfffd
	s_delay_alu instid0(VALU_DEP_2) | instskip(NEXT) | instid1(VALU_DEP_1)
	v_add_co_ci_u32_e64 v18, null, v4, v6, vcc_lo
	v_or_b32_e32 v2, s35, v18
	v_ashrrev_i32_e32 v15, 31, v18
	s_delay_alu instid0(VALU_DEP_2)
	v_cmpx_ne_u64_e32 0, v[1:2]
	s_wait_alu 0xfffe
	s_xor_b32 s84, exec_lo, s0
	s_cbranch_execz .LBB23_9
; %bb.8:                                ;   in Loop: Header=BB23_3 Depth=1
	s_ashr_i32 s76, s35, 31
	v_add_co_u32 v2, vcc_lo, v16, v15
	s_wait_alu 0xfffe
	s_mov_b32 s77, s76
	s_wait_alu 0xfffd
	v_add_co_ci_u32_e64 v9, null, v18, v15, vcc_lo
	s_wait_alu 0xfffe
	s_add_nc_u64 s[78:79], s[34:35], s[76:77]
	v_xor_b32_e32 v2, v2, v15
	s_wait_alu 0xfffe
	s_xor_b64 s[78:79], s[78:79], s[76:77]
	v_xor_b32_e32 v17, v9, v15
	s_wait_alu 0xfffe
	s_cvt_f32_u32 s0, s78
	s_cvt_f32_u32 s77, s79
	s_sub_nc_u64 s[88:89], 0, s[78:79]
	s_wait_alu 0xfffe
	s_delay_alu instid0(SALU_CYCLE_1) | instskip(SKIP_1) | instid1(SALU_CYCLE_2)
	s_fmamk_f32 s0, s77, 0x4f800000, s0
	s_wait_alu 0xfffe
	v_s_rcp_f32 s0, s0
	s_delay_alu instid0(TRANS32_DEP_1) | instskip(SKIP_1) | instid1(SALU_CYCLE_2)
	s_mul_f32 s0, s0, 0x5f7ffffc
	s_wait_alu 0xfffe
	s_mul_f32 s77, s0, 0x2f800000
	s_wait_alu 0xfffe
	s_delay_alu instid0(SALU_CYCLE_2) | instskip(SKIP_1) | instid1(SALU_CYCLE_2)
	s_trunc_f32 s77, s77
	s_wait_alu 0xfffe
	s_fmamk_f32 s0, s77, 0xcf800000, s0
	s_cvt_u32_f32 s87, s77
	s_wait_alu 0xfffe
	s_delay_alu instid0(SALU_CYCLE_1) | instskip(NEXT) | instid1(SALU_CYCLE_3)
	s_cvt_u32_f32 s86, s0
	s_mul_u64 s[90:91], s[88:89], s[86:87]
	s_delay_alu instid0(SALU_CYCLE_1)
	s_mul_hi_u32 s93, s86, s91
	s_mul_i32 s92, s86, s91
	s_mul_hi_u32 s0, s86, s90
	s_mul_i32 s85, s87, s90
	s_wait_alu 0xfffe
	s_add_nc_u64 s[92:93], s[0:1], s[92:93]
	s_mul_hi_u32 s77, s87, s90
	s_mul_hi_u32 s94, s87, s91
	s_add_co_u32 s0, s92, s85
	s_wait_alu 0xfffe
	s_add_co_ci_u32 s0, s93, s77
	s_mul_i32 s90, s87, s91
	s_add_co_ci_u32 s91, s94, 0
	s_wait_alu 0xfffe
	s_add_nc_u64 s[90:91], s[0:1], s[90:91]
	s_delay_alu instid0(SALU_CYCLE_1) | instskip(SKIP_4) | instid1(SALU_CYCLE_1)
	s_add_co_u32 s86, s86, s90
	s_cselect_b32 s0, -1, 0
	s_wait_alu 0xfffe
	s_cmp_lg_u32 s0, 0
	s_add_co_ci_u32 s87, s87, s91
	s_mul_u64 s[88:89], s[88:89], s[86:87]
	s_delay_alu instid0(SALU_CYCLE_1)
	s_mul_hi_u32 s91, s86, s89
	s_mul_i32 s90, s86, s89
	s_mul_hi_u32 s0, s86, s88
	s_mul_i32 s85, s87, s88
	s_wait_alu 0xfffe
	s_add_nc_u64 s[90:91], s[0:1], s[90:91]
	s_mul_hi_u32 s77, s87, s88
	s_mul_hi_u32 s92, s87, s89
	s_add_co_u32 s0, s90, s85
	s_wait_alu 0xfffe
	s_add_co_ci_u32 s0, s91, s77
	s_mul_i32 s88, s87, s89
	s_add_co_ci_u32 s89, s92, 0
	s_wait_alu 0xfffe
	s_add_nc_u64 s[88:89], s[0:1], s[88:89]
	s_delay_alu instid0(SALU_CYCLE_1)
	s_add_co_u32 s0, s86, s88
	s_cselect_b32 s77, -1, 0
	s_wait_alu 0xfffe
	v_mul_hi_u32 v19, v2, s0
	s_cmp_lg_u32 s77, 0
	v_mad_co_u64_u32 v[11:12], null, v17, s0, 0
	s_add_co_ci_u32 s77, s87, s89
	s_wait_alu 0xfffe
	v_mad_co_u64_u32 v[9:10], null, v2, s77, 0
	v_mad_co_u64_u32 v[13:14], null, v17, s77, 0
	s_delay_alu instid0(VALU_DEP_2) | instskip(SKIP_1) | instid1(VALU_DEP_3)
	v_add_co_u32 v9, vcc_lo, v19, v9
	s_wait_alu 0xfffd
	v_add_co_ci_u32_e64 v10, null, 0, v10, vcc_lo
	s_delay_alu instid0(VALU_DEP_2) | instskip(SKIP_1) | instid1(VALU_DEP_2)
	v_add_co_u32 v9, vcc_lo, v9, v11
	s_wait_alu 0xfffd
	v_add_co_ci_u32_e32 v9, vcc_lo, v10, v12, vcc_lo
	s_wait_alu 0xfffd
	v_add_co_ci_u32_e32 v10, vcc_lo, 0, v14, vcc_lo
	s_delay_alu instid0(VALU_DEP_2) | instskip(SKIP_1) | instid1(VALU_DEP_2)
	v_add_co_u32 v11, vcc_lo, v9, v13
	s_wait_alu 0xfffd
	v_add_co_ci_u32_e64 v12, null, 0, v10, vcc_lo
	s_delay_alu instid0(VALU_DEP_2) | instskip(SKIP_1) | instid1(VALU_DEP_3)
	v_mul_lo_u32 v13, s79, v11
	v_mad_co_u64_u32 v[9:10], null, s78, v11, 0
	v_mul_lo_u32 v14, s78, v12
	s_delay_alu instid0(VALU_DEP_2) | instskip(NEXT) | instid1(VALU_DEP_2)
	v_sub_co_u32 v2, vcc_lo, v2, v9
	v_add3_u32 v10, v10, v14, v13
	s_delay_alu instid0(VALU_DEP_1) | instskip(SKIP_2) | instid1(VALU_DEP_2)
	v_sub_nc_u32_e32 v13, v17, v10
	s_wait_alu 0xfffd
	v_sub_co_ci_u32_e64 v10, null, v17, v10, vcc_lo
	v_subrev_co_ci_u32_e64 v9, null, s79, v13, vcc_lo
	v_add_co_u32 v13, s0, v11, 2
	s_wait_alu 0xf1ff
	v_add_co_ci_u32_e64 v14, null, 0, v12, s0
	v_sub_co_u32 v19, s0, v2, s78
	s_wait_alu 0xf1ff
	v_subrev_co_ci_u32_e64 v9, null, 0, v9, s0
	s_delay_alu instid0(VALU_DEP_2) | instskip(SKIP_2) | instid1(VALU_DEP_3)
	v_cmp_le_u32_e32 vcc_lo, s78, v19
	s_wait_alu 0xfffd
	v_cndmask_b32_e64 v17, 0, -1, vcc_lo
	v_cmp_le_u32_e32 vcc_lo, s79, v9
	s_wait_alu 0xfffd
	v_cndmask_b32_e64 v19, 0, -1, vcc_lo
	;; [unrolled: 3-line block ×4, first 2 shown]
	v_cmp_eq_u32_e32 vcc_lo, s79, v9
	s_wait_alu 0xfffd
	v_cndmask_b32_e32 v9, v19, v17, vcc_lo
	v_add_co_u32 v17, vcc_lo, v11, 1
	s_wait_alu 0xfffd
	v_add_co_ci_u32_e64 v19, null, 0, v12, vcc_lo
	v_cmp_eq_u32_e32 vcc_lo, s79, v10
	v_xor_b32_e32 v10, s76, v15
	s_wait_alu 0xfffd
	v_cndmask_b32_e32 v2, v20, v2, vcc_lo
	v_cmp_ne_u32_e32 vcc_lo, 0, v9
	s_delay_alu instid0(VALU_DEP_2) | instskip(SKIP_3) | instid1(VALU_DEP_1)
	v_cmp_ne_u32_e64 s0, 0, v2
	s_wait_alu 0xfffd
	v_dual_cndmask_b32 v9, v19, v14 :: v_dual_cndmask_b32 v2, v17, v13
	s_wait_alu 0xf1ff
	v_cndmask_b32_e64 v9, v12, v9, s0
	s_delay_alu instid0(VALU_DEP_2) | instskip(NEXT) | instid1(VALU_DEP_2)
	v_cndmask_b32_e64 v2, v11, v2, s0
	v_xor_b32_e32 v11, v9, v10
	s_delay_alu instid0(VALU_DEP_2) | instskip(NEXT) | instid1(VALU_DEP_1)
	v_xor_b32_e32 v2, v2, v10
	v_sub_co_u32 v9, vcc_lo, v2, v10
	s_wait_alu 0xfffd
	s_delay_alu instid0(VALU_DEP_3)
	v_sub_co_ci_u32_e64 v10, null, v11, v10, vcc_lo
.LBB23_9:                               ;   in Loop: Header=BB23_3 Depth=1
	s_and_not1_saveexec_b32 s0, s84
	s_cbranch_execz .LBB23_11
; %bb.10:                               ;   in Loop: Header=BB23_3 Depth=1
	s_sub_co_i32 s76, 0, s34
	s_wait_alu 0xfffe
	v_mul_lo_u32 v2, s76, v25
	s_delay_alu instid0(VALU_DEP_1) | instskip(NEXT) | instid1(VALU_DEP_1)
	v_mul_hi_u32 v2, v25, v2
	v_add_nc_u32_e32 v2, v25, v2
	s_delay_alu instid0(VALU_DEP_1) | instskip(NEXT) | instid1(VALU_DEP_1)
	v_mul_hi_u32 v2, v16, v2
	v_mul_lo_u32 v9, v2, s34
	s_delay_alu instid0(VALU_DEP_1) | instskip(NEXT) | instid1(VALU_DEP_1)
	v_sub_nc_u32_e32 v9, v16, v9
	v_subrev_nc_u32_e32 v11, s34, v9
	v_cmp_le_u32_e32 vcc_lo, s34, v9
	s_wait_alu 0xfffd
	s_delay_alu instid0(VALU_DEP_2) | instskip(NEXT) | instid1(VALU_DEP_1)
	v_dual_cndmask_b32 v9, v9, v11 :: v_dual_add_nc_u32 v10, 1, v2
	v_cndmask_b32_e32 v2, v2, v10, vcc_lo
	s_delay_alu instid0(VALU_DEP_2) | instskip(NEXT) | instid1(VALU_DEP_2)
	v_cmp_le_u32_e32 vcc_lo, s34, v9
	v_add_nc_u32_e32 v10, 1, v2
	s_wait_alu 0xfffd
	s_delay_alu instid0(VALU_DEP_1)
	v_dual_cndmask_b32 v9, v2, v10 :: v_dual_mov_b32 v10, v1
.LBB23_11:                              ;   in Loop: Header=BB23_3 Depth=1
	s_wait_alu 0xfffe
	s_or_b32 exec_lo, exec_lo, s0
	s_delay_alu instid0(VALU_DEP_1) | instskip(NEXT) | instid1(VALU_DEP_2)
	v_mul_lo_u32 v2, v10, s34
	v_mul_lo_u32 v13, v9, s35
	v_mad_co_u64_u32 v[11:12], null, v9, s34, 0
	v_mul_lo_u32 v14, v9, s9
	s_mov_b32 s0, exec_lo
	s_delay_alu instid0(VALU_DEP_2) | instskip(SKIP_1) | instid1(VALU_DEP_4)
	v_add3_u32 v2, v12, v13, v2
	v_mul_lo_u32 v13, v10, s8
	v_sub_co_u32 v10, vcc_lo, v5, v11
	s_wait_alu 0xfffd
	s_delay_alu instid0(VALU_DEP_3) | instskip(NEXT) | instid1(VALU_DEP_2)
	v_sub_co_ci_u32_e64 v2, null, v6, v2, vcc_lo
	v_add_co_u32 v11, vcc_lo, v3, v10
	v_mad_co_u64_u32 v[9:10], null, v9, s8, 0
	s_wait_alu 0xfffd
	s_delay_alu instid0(VALU_DEP_3) | instskip(NEXT) | instid1(VALU_DEP_3)
	v_add_co_ci_u32_e64 v2, null, v4, v2, vcc_lo
	v_mul_lo_u32 v17, v11, s11
	v_mad_co_u64_u32 v[11:12], null, v11, s10, 0
	s_delay_alu instid0(VALU_DEP_3) | instskip(SKIP_1) | instid1(VALU_DEP_1)
	v_mul_lo_u32 v2, v2, s10
	v_add3_u32 v10, v10, v14, v13
	v_lshlrev_b64_e32 v[9:10], 2, v[9:10]
	s_delay_alu instid0(VALU_DEP_3) | instskip(NEXT) | instid1(VALU_DEP_2)
	v_add3_u32 v12, v12, v17, v2
	v_add_co_u32 v2, vcc_lo, s2, v9
	s_delay_alu instid0(VALU_DEP_2) | instskip(SKIP_1) | instid1(VALU_DEP_4)
	v_lshlrev_b64_e32 v[11:12], 2, v[11:12]
	s_wait_alu 0xfffd
	v_add_co_ci_u32_e64 v10, null, s3, v10, vcc_lo
	s_delay_alu instid0(VALU_DEP_2) | instskip(SKIP_1) | instid1(VALU_DEP_2)
	v_add_co_u32 v9, vcc_lo, v2, v11
	s_wait_alu 0xfffd
	v_add_co_ci_u32_e64 v10, null, v10, v12, vcc_lo
	v_mad_co_u64_u32 v[11:12], null, v7, 3, 0
	global_load_b32 v26, v[9:10], off
	v_mov_b32_e32 v2, v12
	s_delay_alu instid0(VALU_DEP_1) | instskip(SKIP_2) | instid1(VALU_DEP_3)
	v_mad_co_u64_u32 v[12:13], null, v8, 3, v[2:3]
	v_mul_lo_u32 v2, s5, v11
	v_mad_co_u64_u32 v[7:8], null, s4, v11, s[4:5]
	v_mul_lo_u32 v9, s4, v12
	s_delay_alu instid0(VALU_DEP_2) | instskip(NEXT) | instid1(VALU_DEP_2)
	v_add_co_u32 v20, vcc_lo, v3, v7
	v_add3_u32 v8, v2, v8, v9
                                        ; implicit-def: $vgpr9_vgpr10
	s_wait_alu 0xfffd
	s_delay_alu instid0(VALU_DEP_1) | instskip(NEXT) | instid1(VALU_DEP_1)
	v_add_co_ci_u32_e64 v21, null, v4, v8, vcc_lo
	v_or_b32_e32 v2, s35, v21
	v_ashrrev_i32_e32 v17, 31, v21
	s_delay_alu instid0(VALU_DEP_2)
	v_cmpx_ne_u64_e32 0, v[1:2]
	s_wait_alu 0xfffe
	s_xor_b32 s84, exec_lo, s0
	s_cbranch_execz .LBB23_13
; %bb.12:                               ;   in Loop: Header=BB23_3 Depth=1
	s_ashr_i32 s76, s35, 31
	v_add_co_u32 v2, vcc_lo, v20, v17
	s_wait_alu 0xfffe
	s_mov_b32 s77, s76
	s_wait_alu 0xfffd
	v_add_co_ci_u32_e64 v9, null, v21, v17, vcc_lo
	s_wait_alu 0xfffe
	s_add_nc_u64 s[78:79], s[34:35], s[76:77]
	v_xor_b32_e32 v2, v2, v17
	s_wait_alu 0xfffe
	s_xor_b64 s[78:79], s[78:79], s[76:77]
	v_xor_b32_e32 v19, v9, v17
	s_wait_alu 0xfffe
	s_cvt_f32_u32 s0, s78
	s_cvt_f32_u32 s77, s79
	s_sub_nc_u64 s[88:89], 0, s[78:79]
	s_wait_alu 0xfffe
	s_delay_alu instid0(SALU_CYCLE_1) | instskip(SKIP_1) | instid1(SALU_CYCLE_2)
	s_fmamk_f32 s0, s77, 0x4f800000, s0
	s_wait_alu 0xfffe
	v_s_rcp_f32 s0, s0
	s_delay_alu instid0(TRANS32_DEP_1) | instskip(SKIP_1) | instid1(SALU_CYCLE_2)
	s_mul_f32 s0, s0, 0x5f7ffffc
	s_wait_alu 0xfffe
	s_mul_f32 s77, s0, 0x2f800000
	s_wait_alu 0xfffe
	s_delay_alu instid0(SALU_CYCLE_2) | instskip(SKIP_1) | instid1(SALU_CYCLE_2)
	s_trunc_f32 s77, s77
	s_wait_alu 0xfffe
	s_fmamk_f32 s0, s77, 0xcf800000, s0
	s_cvt_u32_f32 s87, s77
	s_wait_alu 0xfffe
	s_delay_alu instid0(SALU_CYCLE_1) | instskip(NEXT) | instid1(SALU_CYCLE_3)
	s_cvt_u32_f32 s86, s0
	s_mul_u64 s[90:91], s[88:89], s[86:87]
	s_delay_alu instid0(SALU_CYCLE_1)
	s_mul_hi_u32 s93, s86, s91
	s_mul_i32 s92, s86, s91
	s_mul_hi_u32 s0, s86, s90
	s_mul_i32 s85, s87, s90
	s_wait_alu 0xfffe
	s_add_nc_u64 s[92:93], s[0:1], s[92:93]
	s_mul_hi_u32 s77, s87, s90
	s_mul_hi_u32 s94, s87, s91
	s_add_co_u32 s0, s92, s85
	s_wait_alu 0xfffe
	s_add_co_ci_u32 s0, s93, s77
	s_mul_i32 s90, s87, s91
	s_add_co_ci_u32 s91, s94, 0
	s_wait_alu 0xfffe
	s_add_nc_u64 s[90:91], s[0:1], s[90:91]
	s_delay_alu instid0(SALU_CYCLE_1) | instskip(SKIP_4) | instid1(SALU_CYCLE_1)
	s_add_co_u32 s86, s86, s90
	s_cselect_b32 s0, -1, 0
	s_wait_alu 0xfffe
	s_cmp_lg_u32 s0, 0
	s_add_co_ci_u32 s87, s87, s91
	s_mul_u64 s[88:89], s[88:89], s[86:87]
	s_delay_alu instid0(SALU_CYCLE_1)
	s_mul_hi_u32 s91, s86, s89
	s_mul_i32 s90, s86, s89
	s_mul_hi_u32 s0, s86, s88
	s_mul_i32 s85, s87, s88
	s_wait_alu 0xfffe
	s_add_nc_u64 s[90:91], s[0:1], s[90:91]
	s_mul_hi_u32 s77, s87, s88
	s_mul_hi_u32 s92, s87, s89
	s_add_co_u32 s0, s90, s85
	s_wait_alu 0xfffe
	s_add_co_ci_u32 s0, s91, s77
	s_mul_i32 s88, s87, s89
	s_add_co_ci_u32 s89, s92, 0
	s_wait_alu 0xfffe
	s_add_nc_u64 s[88:89], s[0:1], s[88:89]
	s_delay_alu instid0(SALU_CYCLE_1)
	s_add_co_u32 s0, s86, s88
	s_cselect_b32 s77, -1, 0
	s_wait_alu 0xfffe
	v_mul_hi_u32 v24, v2, s0
	s_cmp_lg_u32 s77, 0
	v_mad_co_u64_u32 v[13:14], null, v19, s0, 0
	s_add_co_ci_u32 s77, s87, s89
	s_wait_alu 0xfffe
	v_mad_co_u64_u32 v[9:10], null, v2, s77, 0
	v_mad_co_u64_u32 v[22:23], null, v19, s77, 0
	s_delay_alu instid0(VALU_DEP_2) | instskip(SKIP_1) | instid1(VALU_DEP_3)
	v_add_co_u32 v9, vcc_lo, v24, v9
	s_wait_alu 0xfffd
	v_add_co_ci_u32_e64 v10, null, 0, v10, vcc_lo
	s_delay_alu instid0(VALU_DEP_2) | instskip(SKIP_1) | instid1(VALU_DEP_2)
	v_add_co_u32 v9, vcc_lo, v9, v13
	s_wait_alu 0xfffd
	v_add_co_ci_u32_e32 v9, vcc_lo, v10, v14, vcc_lo
	s_wait_alu 0xfffd
	v_add_co_ci_u32_e32 v10, vcc_lo, 0, v23, vcc_lo
	s_delay_alu instid0(VALU_DEP_2) | instskip(SKIP_1) | instid1(VALU_DEP_2)
	v_add_co_u32 v13, vcc_lo, v9, v22
	s_wait_alu 0xfffd
	v_add_co_ci_u32_e64 v14, null, 0, v10, vcc_lo
	s_delay_alu instid0(VALU_DEP_2) | instskip(SKIP_1) | instid1(VALU_DEP_3)
	v_mul_lo_u32 v22, s79, v13
	v_mad_co_u64_u32 v[9:10], null, s78, v13, 0
	v_mul_lo_u32 v23, s78, v14
	s_delay_alu instid0(VALU_DEP_2) | instskip(NEXT) | instid1(VALU_DEP_2)
	v_sub_co_u32 v2, vcc_lo, v2, v9
	v_add3_u32 v10, v10, v23, v22
	s_delay_alu instid0(VALU_DEP_1) | instskip(SKIP_2) | instid1(VALU_DEP_2)
	v_sub_nc_u32_e32 v22, v19, v10
	s_wait_alu 0xfffd
	v_sub_co_ci_u32_e64 v10, null, v19, v10, vcc_lo
	v_subrev_co_ci_u32_e64 v9, null, s79, v22, vcc_lo
	v_add_co_u32 v22, s0, v13, 2
	s_wait_alu 0xf1ff
	v_add_co_ci_u32_e64 v23, null, 0, v14, s0
	v_sub_co_u32 v24, s0, v2, s78
	s_wait_alu 0xf1ff
	v_subrev_co_ci_u32_e64 v9, null, 0, v9, s0
	s_delay_alu instid0(VALU_DEP_2) | instskip(SKIP_2) | instid1(VALU_DEP_3)
	v_cmp_le_u32_e32 vcc_lo, s78, v24
	s_wait_alu 0xfffd
	v_cndmask_b32_e64 v19, 0, -1, vcc_lo
	v_cmp_le_u32_e32 vcc_lo, s79, v9
	s_wait_alu 0xfffd
	v_cndmask_b32_e64 v24, 0, -1, vcc_lo
	;; [unrolled: 3-line block ×4, first 2 shown]
	v_cmp_eq_u32_e32 vcc_lo, s79, v9
	s_wait_alu 0xfffd
	v_cndmask_b32_e32 v9, v24, v19, vcc_lo
	v_add_co_u32 v19, vcc_lo, v13, 1
	s_wait_alu 0xfffd
	v_add_co_ci_u32_e64 v24, null, 0, v14, vcc_lo
	v_cmp_eq_u32_e32 vcc_lo, s79, v10
	v_xor_b32_e32 v10, s76, v17
	s_wait_alu 0xfffd
	v_cndmask_b32_e32 v2, v27, v2, vcc_lo
	v_cmp_ne_u32_e32 vcc_lo, 0, v9
	s_delay_alu instid0(VALU_DEP_2) | instskip(SKIP_3) | instid1(VALU_DEP_1)
	v_cmp_ne_u32_e64 s0, 0, v2
	s_wait_alu 0xfffd
	v_dual_cndmask_b32 v9, v24, v23 :: v_dual_cndmask_b32 v2, v19, v22
	s_wait_alu 0xf1ff
	v_cndmask_b32_e64 v9, v14, v9, s0
	s_delay_alu instid0(VALU_DEP_2) | instskip(NEXT) | instid1(VALU_DEP_2)
	v_cndmask_b32_e64 v2, v13, v2, s0
	v_xor_b32_e32 v13, v9, v10
	s_delay_alu instid0(VALU_DEP_2) | instskip(NEXT) | instid1(VALU_DEP_1)
	v_xor_b32_e32 v2, v2, v10
	v_sub_co_u32 v9, vcc_lo, v2, v10
	s_wait_alu 0xfffd
	s_delay_alu instid0(VALU_DEP_3)
	v_sub_co_ci_u32_e64 v10, null, v13, v10, vcc_lo
.LBB23_13:                              ;   in Loop: Header=BB23_3 Depth=1
	s_and_not1_saveexec_b32 s0, s84
	s_cbranch_execz .LBB23_15
; %bb.14:                               ;   in Loop: Header=BB23_3 Depth=1
	s_sub_co_i32 s76, 0, s34
	s_wait_alu 0xfffe
	v_mul_lo_u32 v2, s76, v25
	s_delay_alu instid0(VALU_DEP_1) | instskip(NEXT) | instid1(VALU_DEP_1)
	v_mul_hi_u32 v2, v25, v2
	v_add_nc_u32_e32 v2, v25, v2
	s_delay_alu instid0(VALU_DEP_1) | instskip(NEXT) | instid1(VALU_DEP_1)
	v_mul_hi_u32 v2, v20, v2
	v_mul_lo_u32 v9, v2, s34
	s_delay_alu instid0(VALU_DEP_1) | instskip(NEXT) | instid1(VALU_DEP_1)
	v_sub_nc_u32_e32 v9, v20, v9
	v_subrev_nc_u32_e32 v13, s34, v9
	v_cmp_le_u32_e32 vcc_lo, s34, v9
	s_wait_alu 0xfffd
	s_delay_alu instid0(VALU_DEP_2) | instskip(NEXT) | instid1(VALU_DEP_1)
	v_dual_cndmask_b32 v9, v9, v13 :: v_dual_add_nc_u32 v10, 1, v2
	v_cndmask_b32_e32 v2, v2, v10, vcc_lo
	s_delay_alu instid0(VALU_DEP_2) | instskip(NEXT) | instid1(VALU_DEP_2)
	v_cmp_le_u32_e32 vcc_lo, s34, v9
	v_add_nc_u32_e32 v10, 1, v2
	s_wait_alu 0xfffd
	s_delay_alu instid0(VALU_DEP_1)
	v_dual_cndmask_b32 v9, v2, v10 :: v_dual_mov_b32 v10, v1
.LBB23_15:                              ;   in Loop: Header=BB23_3 Depth=1
	s_wait_alu 0xfffe
	s_or_b32 exec_lo, exec_lo, s0
	s_delay_alu instid0(VALU_DEP_1) | instskip(NEXT) | instid1(VALU_DEP_2)
	v_mul_lo_u32 v2, v10, s34
	v_mul_lo_u32 v19, v9, s35
	v_mad_co_u64_u32 v[13:14], null, v9, s34, 0
	v_mul_lo_u32 v22, v9, s9
	s_mov_b32 s0, exec_lo
	s_delay_alu instid0(VALU_DEP_2) | instskip(SKIP_1) | instid1(VALU_DEP_4)
	v_add3_u32 v2, v14, v19, v2
	v_mul_lo_u32 v19, v10, s8
	v_sub_co_u32 v10, vcc_lo, v7, v13
	s_wait_alu 0xfffd
	s_delay_alu instid0(VALU_DEP_3) | instskip(NEXT) | instid1(VALU_DEP_2)
	v_sub_co_ci_u32_e64 v2, null, v8, v2, vcc_lo
	v_add_co_u32 v13, vcc_lo, v3, v10
	v_mad_co_u64_u32 v[9:10], null, v9, s8, 0
	s_wait_alu 0xfffd
	s_delay_alu instid0(VALU_DEP_3) | instskip(NEXT) | instid1(VALU_DEP_3)
	v_add_co_ci_u32_e64 v2, null, v4, v2, vcc_lo
	v_mul_lo_u32 v23, v13, s11
	v_mad_co_u64_u32 v[13:14], null, v13, s10, 0
	s_delay_alu instid0(VALU_DEP_3) | instskip(SKIP_1) | instid1(VALU_DEP_1)
	v_mul_lo_u32 v2, v2, s10
	v_add3_u32 v10, v10, v22, v19
	v_lshlrev_b64_e32 v[9:10], 2, v[9:10]
	s_delay_alu instid0(VALU_DEP_3) | instskip(NEXT) | instid1(VALU_DEP_2)
	v_add3_u32 v14, v14, v23, v2
	v_add_co_u32 v2, vcc_lo, s2, v9
	s_delay_alu instid0(VALU_DEP_2) | instskip(SKIP_1) | instid1(VALU_DEP_4)
	v_lshlrev_b64_e32 v[13:14], 2, v[13:14]
	s_wait_alu 0xfffd
	v_add_co_ci_u32_e64 v10, null, s3, v10, vcc_lo
	s_delay_alu instid0(VALU_DEP_2) | instskip(SKIP_1) | instid1(VALU_DEP_2)
	v_add_co_u32 v9, vcc_lo, v2, v13
	s_wait_alu 0xfffd
	v_add_co_ci_u32_e64 v10, null, v10, v14, vcc_lo
	v_add_co_u32 v2, vcc_lo, v11, 2
	global_load_b32 v27, v[9:10], off
	s_wait_alu 0xfffd
	v_add_co_ci_u32_e64 v9, null, 0, v12, vcc_lo
	v_mul_lo_u32 v13, s5, v2
	s_delay_alu instid0(VALU_DEP_2) | instskip(SKIP_1) | instid1(VALU_DEP_1)
	v_mul_lo_u32 v14, s4, v9
	v_mad_co_u64_u32 v[9:10], null, s4, v2, 0
	v_add3_u32 v10, v10, v14, v13
	s_delay_alu instid0(VALU_DEP_2) | instskip(SKIP_1) | instid1(VALU_DEP_2)
	v_add_co_u32 v23, vcc_lo, v3, v9
                                        ; implicit-def: $vgpr13_vgpr14
	s_wait_alu 0xfffd
	v_add_co_ci_u32_e64 v24, null, v4, v10, vcc_lo
	s_delay_alu instid0(VALU_DEP_1) | instskip(SKIP_1) | instid1(VALU_DEP_2)
	v_or_b32_e32 v2, s35, v24
	v_ashrrev_i32_e32 v19, 31, v24
	v_cmpx_ne_u64_e32 0, v[1:2]
	s_wait_alu 0xfffe
	s_xor_b32 s84, exec_lo, s0
	s_cbranch_execz .LBB23_17
; %bb.16:                               ;   in Loop: Header=BB23_3 Depth=1
	s_ashr_i32 s76, s35, 31
	v_add_co_u32 v2, vcc_lo, v23, v19
	s_wait_alu 0xfffe
	s_mov_b32 s77, s76
	s_wait_alu 0xfffd
	v_add_co_ci_u32_e64 v13, null, v24, v19, vcc_lo
	s_wait_alu 0xfffe
	s_add_nc_u64 s[78:79], s[34:35], s[76:77]
	v_xor_b32_e32 v2, v2, v19
	s_wait_alu 0xfffe
	s_xor_b64 s[78:79], s[78:79], s[76:77]
	v_xor_b32_e32 v22, v13, v19
	s_wait_alu 0xfffe
	s_cvt_f32_u32 s0, s78
	s_cvt_f32_u32 s77, s79
	s_sub_nc_u64 s[88:89], 0, s[78:79]
	s_wait_alu 0xfffe
	s_delay_alu instid0(SALU_CYCLE_1) | instskip(SKIP_1) | instid1(SALU_CYCLE_2)
	s_fmamk_f32 s0, s77, 0x4f800000, s0
	s_wait_alu 0xfffe
	v_s_rcp_f32 s0, s0
	s_delay_alu instid0(TRANS32_DEP_1) | instskip(SKIP_1) | instid1(SALU_CYCLE_2)
	s_mul_f32 s0, s0, 0x5f7ffffc
	s_wait_alu 0xfffe
	s_mul_f32 s77, s0, 0x2f800000
	s_wait_alu 0xfffe
	s_delay_alu instid0(SALU_CYCLE_2) | instskip(SKIP_1) | instid1(SALU_CYCLE_2)
	s_trunc_f32 s77, s77
	s_wait_alu 0xfffe
	s_fmamk_f32 s0, s77, 0xcf800000, s0
	s_cvt_u32_f32 s87, s77
	s_wait_alu 0xfffe
	s_delay_alu instid0(SALU_CYCLE_1) | instskip(NEXT) | instid1(SALU_CYCLE_3)
	s_cvt_u32_f32 s86, s0
	s_mul_u64 s[90:91], s[88:89], s[86:87]
	s_delay_alu instid0(SALU_CYCLE_1)
	s_mul_hi_u32 s93, s86, s91
	s_mul_i32 s92, s86, s91
	s_mul_hi_u32 s0, s86, s90
	s_mul_i32 s85, s87, s90
	s_wait_alu 0xfffe
	s_add_nc_u64 s[92:93], s[0:1], s[92:93]
	s_mul_hi_u32 s77, s87, s90
	s_mul_hi_u32 s94, s87, s91
	s_add_co_u32 s0, s92, s85
	s_wait_alu 0xfffe
	s_add_co_ci_u32 s0, s93, s77
	s_mul_i32 s90, s87, s91
	s_add_co_ci_u32 s91, s94, 0
	s_wait_alu 0xfffe
	s_add_nc_u64 s[90:91], s[0:1], s[90:91]
	s_delay_alu instid0(SALU_CYCLE_1) | instskip(SKIP_4) | instid1(SALU_CYCLE_1)
	s_add_co_u32 s86, s86, s90
	s_cselect_b32 s0, -1, 0
	s_wait_alu 0xfffe
	s_cmp_lg_u32 s0, 0
	s_add_co_ci_u32 s87, s87, s91
	s_mul_u64 s[88:89], s[88:89], s[86:87]
	s_delay_alu instid0(SALU_CYCLE_1)
	s_mul_hi_u32 s91, s86, s89
	s_mul_i32 s90, s86, s89
	s_mul_hi_u32 s0, s86, s88
	s_mul_i32 s85, s87, s88
	s_wait_alu 0xfffe
	s_add_nc_u64 s[90:91], s[0:1], s[90:91]
	s_mul_hi_u32 s77, s87, s88
	s_mul_hi_u32 s92, s87, s89
	s_add_co_u32 s0, s90, s85
	s_wait_alu 0xfffe
	s_add_co_ci_u32 s0, s91, s77
	s_mul_i32 s88, s87, s89
	s_add_co_ci_u32 s89, s92, 0
	s_wait_alu 0xfffe
	s_add_nc_u64 s[88:89], s[0:1], s[88:89]
	s_delay_alu instid0(SALU_CYCLE_1)
	s_add_co_u32 s0, s86, s88
	s_cselect_b32 s77, -1, 0
	s_wait_alu 0xfffe
	v_mul_hi_u32 v32, v2, s0
	s_cmp_lg_u32 s77, 0
	v_mad_co_u64_u32 v[28:29], null, v22, s0, 0
	s_add_co_ci_u32 s77, s87, s89
	s_wait_alu 0xfffe
	v_mad_co_u64_u32 v[13:14], null, v2, s77, 0
	v_mad_co_u64_u32 v[30:31], null, v22, s77, 0
	s_delay_alu instid0(VALU_DEP_2) | instskip(SKIP_1) | instid1(VALU_DEP_3)
	v_add_co_u32 v13, vcc_lo, v32, v13
	s_wait_alu 0xfffd
	v_add_co_ci_u32_e64 v14, null, 0, v14, vcc_lo
	s_delay_alu instid0(VALU_DEP_2) | instskip(SKIP_1) | instid1(VALU_DEP_2)
	v_add_co_u32 v13, vcc_lo, v13, v28
	s_wait_alu 0xfffd
	v_add_co_ci_u32_e32 v13, vcc_lo, v14, v29, vcc_lo
	s_wait_alu 0xfffd
	v_add_co_ci_u32_e32 v14, vcc_lo, 0, v31, vcc_lo
	s_delay_alu instid0(VALU_DEP_2) | instskip(SKIP_1) | instid1(VALU_DEP_2)
	v_add_co_u32 v28, vcc_lo, v13, v30
	s_wait_alu 0xfffd
	v_add_co_ci_u32_e64 v29, null, 0, v14, vcc_lo
	s_delay_alu instid0(VALU_DEP_2) | instskip(SKIP_1) | instid1(VALU_DEP_3)
	v_mul_lo_u32 v30, s79, v28
	v_mad_co_u64_u32 v[13:14], null, s78, v28, 0
	v_mul_lo_u32 v31, s78, v29
	s_delay_alu instid0(VALU_DEP_2) | instskip(NEXT) | instid1(VALU_DEP_2)
	v_sub_co_u32 v2, vcc_lo, v2, v13
	v_add3_u32 v14, v14, v31, v30
	s_delay_alu instid0(VALU_DEP_1) | instskip(SKIP_2) | instid1(VALU_DEP_2)
	v_sub_nc_u32_e32 v30, v22, v14
	s_wait_alu 0xfffd
	v_sub_co_ci_u32_e64 v14, null, v22, v14, vcc_lo
	v_subrev_co_ci_u32_e64 v13, null, s79, v30, vcc_lo
	v_add_co_u32 v30, s0, v28, 2
	s_wait_alu 0xf1ff
	v_add_co_ci_u32_e64 v31, null, 0, v29, s0
	v_sub_co_u32 v32, s0, v2, s78
	s_wait_alu 0xf1ff
	v_subrev_co_ci_u32_e64 v13, null, 0, v13, s0
	s_delay_alu instid0(VALU_DEP_2) | instskip(SKIP_2) | instid1(VALU_DEP_3)
	v_cmp_le_u32_e32 vcc_lo, s78, v32
	s_wait_alu 0xfffd
	v_cndmask_b32_e64 v22, 0, -1, vcc_lo
	v_cmp_le_u32_e32 vcc_lo, s79, v13
	s_wait_alu 0xfffd
	v_cndmask_b32_e64 v32, 0, -1, vcc_lo
	;; [unrolled: 3-line block ×4, first 2 shown]
	v_cmp_eq_u32_e32 vcc_lo, s79, v13
	s_wait_alu 0xfffd
	v_cndmask_b32_e32 v13, v32, v22, vcc_lo
	v_add_co_u32 v22, vcc_lo, v28, 1
	s_wait_alu 0xfffd
	v_add_co_ci_u32_e64 v32, null, 0, v29, vcc_lo
	v_cmp_eq_u32_e32 vcc_lo, s79, v14
	v_xor_b32_e32 v14, s76, v19
	s_wait_alu 0xfffd
	v_cndmask_b32_e32 v2, v33, v2, vcc_lo
	v_cmp_ne_u32_e32 vcc_lo, 0, v13
	s_wait_alu 0xfffd
	v_cndmask_b32_e32 v13, v32, v31, vcc_lo
	s_delay_alu instid0(VALU_DEP_3) | instskip(SKIP_2) | instid1(VALU_DEP_2)
	v_cmp_ne_u32_e64 s0, 0, v2
	v_cndmask_b32_e32 v2, v22, v30, vcc_lo
	s_wait_alu 0xf1ff
	v_cndmask_b32_e64 v13, v29, v13, s0
	s_delay_alu instid0(VALU_DEP_2) | instskip(NEXT) | instid1(VALU_DEP_2)
	v_cndmask_b32_e64 v2, v28, v2, s0
	v_xor_b32_e32 v22, v13, v14
	s_delay_alu instid0(VALU_DEP_2) | instskip(NEXT) | instid1(VALU_DEP_1)
	v_xor_b32_e32 v2, v2, v14
	v_sub_co_u32 v13, vcc_lo, v2, v14
	s_wait_alu 0xfffd
	s_delay_alu instid0(VALU_DEP_3)
	v_sub_co_ci_u32_e64 v14, null, v22, v14, vcc_lo
.LBB23_17:                              ;   in Loop: Header=BB23_3 Depth=1
	s_and_not1_saveexec_b32 s0, s84
	s_cbranch_execz .LBB23_19
; %bb.18:                               ;   in Loop: Header=BB23_3 Depth=1
	s_sub_co_i32 s76, 0, s34
	s_wait_alu 0xfffe
	v_mul_lo_u32 v2, s76, v25
	s_delay_alu instid0(VALU_DEP_1) | instskip(NEXT) | instid1(VALU_DEP_1)
	v_mul_hi_u32 v2, v25, v2
	v_add_nc_u32_e32 v2, v25, v2
	s_delay_alu instid0(VALU_DEP_1) | instskip(NEXT) | instid1(VALU_DEP_1)
	v_mul_hi_u32 v2, v23, v2
	v_mul_lo_u32 v13, v2, s34
	v_add_nc_u32_e32 v14, 1, v2
	s_delay_alu instid0(VALU_DEP_2) | instskip(NEXT) | instid1(VALU_DEP_1)
	v_sub_nc_u32_e32 v13, v23, v13
	v_subrev_nc_u32_e32 v22, s34, v13
	v_cmp_le_u32_e32 vcc_lo, s34, v13
	s_wait_alu 0xfffd
	s_delay_alu instid0(VALU_DEP_2) | instskip(SKIP_1) | instid1(VALU_DEP_2)
	v_cndmask_b32_e32 v13, v13, v22, vcc_lo
	v_cndmask_b32_e32 v2, v2, v14, vcc_lo
	v_cmp_le_u32_e32 vcc_lo, s34, v13
	s_delay_alu instid0(VALU_DEP_2) | instskip(SKIP_1) | instid1(VALU_DEP_1)
	v_add_nc_u32_e32 v14, 1, v2
	s_wait_alu 0xfffd
	v_dual_cndmask_b32 v13, v2, v14 :: v_dual_mov_b32 v14, v1
.LBB23_19:                              ;   in Loop: Header=BB23_3 Depth=1
	s_wait_alu 0xfffe
	s_or_b32 exec_lo, exec_lo, s0
	s_delay_alu instid0(VALU_DEP_1) | instskip(NEXT) | instid1(VALU_DEP_2)
	v_mul_lo_u32 v2, v14, s34
	v_mul_lo_u32 v22, v13, s35
	v_mad_co_u64_u32 v[28:29], null, v13, s34, 0
	v_mul_lo_u32 v30, v13, s9
	s_mov_b32 s0, exec_lo
	s_delay_alu instid0(VALU_DEP_2) | instskip(SKIP_1) | instid1(VALU_DEP_4)
	v_add3_u32 v2, v29, v22, v2
	v_mul_lo_u32 v22, v14, s8
	v_sub_co_u32 v14, vcc_lo, v9, v28
	s_wait_alu 0xfffd
	s_delay_alu instid0(VALU_DEP_3) | instskip(NEXT) | instid1(VALU_DEP_2)
	v_sub_co_ci_u32_e64 v2, null, v10, v2, vcc_lo
	v_add_co_u32 v28, vcc_lo, v3, v14
	v_mad_co_u64_u32 v[13:14], null, v13, s8, 0
	s_wait_alu 0xfffd
	s_delay_alu instid0(VALU_DEP_3) | instskip(NEXT) | instid1(VALU_DEP_3)
	v_add_co_ci_u32_e64 v2, null, v4, v2, vcc_lo
	v_mul_lo_u32 v31, v28, s11
	v_mad_co_u64_u32 v[28:29], null, v28, s10, 0
	s_delay_alu instid0(VALU_DEP_3) | instskip(SKIP_1) | instid1(VALU_DEP_1)
	v_mul_lo_u32 v2, v2, s10
	v_add3_u32 v14, v14, v30, v22
	v_lshlrev_b64_e32 v[13:14], 2, v[13:14]
	s_delay_alu instid0(VALU_DEP_3) | instskip(NEXT) | instid1(VALU_DEP_2)
	v_add3_u32 v29, v29, v31, v2
	v_add_co_u32 v2, vcc_lo, s2, v13
	s_delay_alu instid0(VALU_DEP_2) | instskip(SKIP_1) | instid1(VALU_DEP_4)
	v_lshlrev_b64_e32 v[28:29], 2, v[28:29]
	s_wait_alu 0xfffd
	v_add_co_ci_u32_e64 v14, null, s3, v14, vcc_lo
	s_delay_alu instid0(VALU_DEP_2) | instskip(SKIP_1) | instid1(VALU_DEP_2)
	v_add_co_u32 v13, vcc_lo, v2, v28
	s_wait_alu 0xfffd
	v_add_co_ci_u32_e64 v14, null, v14, v29, vcc_lo
	v_add_co_u32 v2, vcc_lo, v11, 3
	s_wait_alu 0xfffd
	v_add_co_ci_u32_e64 v11, null, 0, v12, vcc_lo
	global_load_b32 v28, v[13:14], off
	v_mul_lo_u32 v13, s5, v2
	v_mul_lo_u32 v14, s4, v11
	v_mad_co_u64_u32 v[11:12], null, s4, v2, 0
	s_delay_alu instid0(VALU_DEP_1) | instskip(NEXT) | instid1(VALU_DEP_2)
	v_add3_u32 v12, v12, v14, v13
	v_add_co_u32 v30, vcc_lo, v3, v11
                                        ; implicit-def: $vgpr13_vgpr14
	s_wait_alu 0xfffd
	s_delay_alu instid0(VALU_DEP_2) | instskip(NEXT) | instid1(VALU_DEP_1)
	v_add_co_ci_u32_e64 v31, null, v4, v12, vcc_lo
	v_or_b32_e32 v2, s35, v31
	v_ashrrev_i32_e32 v22, 31, v31
	s_delay_alu instid0(VALU_DEP_2)
	v_cmpx_ne_u64_e32 0, v[1:2]
	s_wait_alu 0xfffe
	s_xor_b32 s84, exec_lo, s0
	s_cbranch_execz .LBB23_21
; %bb.20:                               ;   in Loop: Header=BB23_3 Depth=1
	s_ashr_i32 s76, s35, 31
	v_add_co_u32 v2, vcc_lo, v30, v22
	s_wait_alu 0xfffe
	s_mov_b32 s77, s76
	s_wait_alu 0xfffd
	v_add_co_ci_u32_e64 v13, null, v31, v22, vcc_lo
	s_wait_alu 0xfffe
	s_add_nc_u64 s[78:79], s[34:35], s[76:77]
	v_xor_b32_e32 v2, v2, v22
	s_wait_alu 0xfffe
	s_xor_b64 s[78:79], s[78:79], s[76:77]
	v_xor_b32_e32 v29, v13, v22
	s_wait_alu 0xfffe
	s_cvt_f32_u32 s0, s78
	s_cvt_f32_u32 s77, s79
	s_sub_nc_u64 s[88:89], 0, s[78:79]
	s_wait_alu 0xfffe
	s_delay_alu instid0(SALU_CYCLE_1) | instskip(SKIP_1) | instid1(SALU_CYCLE_2)
	s_fmamk_f32 s0, s77, 0x4f800000, s0
	s_wait_alu 0xfffe
	v_s_rcp_f32 s0, s0
	s_delay_alu instid0(TRANS32_DEP_1) | instskip(SKIP_1) | instid1(SALU_CYCLE_2)
	s_mul_f32 s0, s0, 0x5f7ffffc
	s_wait_alu 0xfffe
	s_mul_f32 s77, s0, 0x2f800000
	s_wait_alu 0xfffe
	s_delay_alu instid0(SALU_CYCLE_2) | instskip(SKIP_1) | instid1(SALU_CYCLE_2)
	s_trunc_f32 s77, s77
	s_wait_alu 0xfffe
	s_fmamk_f32 s0, s77, 0xcf800000, s0
	s_cvt_u32_f32 s87, s77
	s_wait_alu 0xfffe
	s_delay_alu instid0(SALU_CYCLE_1) | instskip(NEXT) | instid1(SALU_CYCLE_3)
	s_cvt_u32_f32 s86, s0
	s_mul_u64 s[90:91], s[88:89], s[86:87]
	s_delay_alu instid0(SALU_CYCLE_1)
	s_mul_hi_u32 s93, s86, s91
	s_mul_i32 s92, s86, s91
	s_mul_hi_u32 s0, s86, s90
	s_mul_i32 s85, s87, s90
	s_wait_alu 0xfffe
	s_add_nc_u64 s[92:93], s[0:1], s[92:93]
	s_mul_hi_u32 s77, s87, s90
	s_mul_hi_u32 s94, s87, s91
	s_add_co_u32 s0, s92, s85
	s_wait_alu 0xfffe
	s_add_co_ci_u32 s0, s93, s77
	s_mul_i32 s90, s87, s91
	s_add_co_ci_u32 s91, s94, 0
	s_wait_alu 0xfffe
	s_add_nc_u64 s[90:91], s[0:1], s[90:91]
	s_delay_alu instid0(SALU_CYCLE_1) | instskip(SKIP_4) | instid1(SALU_CYCLE_1)
	s_add_co_u32 s86, s86, s90
	s_cselect_b32 s0, -1, 0
	s_wait_alu 0xfffe
	s_cmp_lg_u32 s0, 0
	s_add_co_ci_u32 s87, s87, s91
	s_mul_u64 s[88:89], s[88:89], s[86:87]
	s_delay_alu instid0(SALU_CYCLE_1)
	s_mul_hi_u32 s91, s86, s89
	s_mul_i32 s90, s86, s89
	s_mul_hi_u32 s0, s86, s88
	s_mul_i32 s85, s87, s88
	s_wait_alu 0xfffe
	s_add_nc_u64 s[90:91], s[0:1], s[90:91]
	s_mul_hi_u32 s77, s87, s88
	s_mul_hi_u32 s92, s87, s89
	s_add_co_u32 s0, s90, s85
	s_wait_alu 0xfffe
	s_add_co_ci_u32 s0, s91, s77
	s_mul_i32 s88, s87, s89
	s_add_co_ci_u32 s89, s92, 0
	s_wait_alu 0xfffe
	s_add_nc_u64 s[88:89], s[0:1], s[88:89]
	s_delay_alu instid0(SALU_CYCLE_1)
	s_add_co_u32 s0, s86, s88
	s_cselect_b32 s77, -1, 0
	s_wait_alu 0xfffe
	v_mul_hi_u32 v36, v2, s0
	s_cmp_lg_u32 s77, 0
	v_mad_co_u64_u32 v[32:33], null, v29, s0, 0
	s_add_co_ci_u32 s77, s87, s89
	s_wait_alu 0xfffe
	v_mad_co_u64_u32 v[13:14], null, v2, s77, 0
	v_mad_co_u64_u32 v[34:35], null, v29, s77, 0
	s_delay_alu instid0(VALU_DEP_2) | instskip(SKIP_1) | instid1(VALU_DEP_3)
	v_add_co_u32 v13, vcc_lo, v36, v13
	s_wait_alu 0xfffd
	v_add_co_ci_u32_e64 v14, null, 0, v14, vcc_lo
	s_delay_alu instid0(VALU_DEP_2) | instskip(SKIP_1) | instid1(VALU_DEP_2)
	v_add_co_u32 v13, vcc_lo, v13, v32
	s_wait_alu 0xfffd
	v_add_co_ci_u32_e32 v13, vcc_lo, v14, v33, vcc_lo
	s_wait_alu 0xfffd
	v_add_co_ci_u32_e32 v14, vcc_lo, 0, v35, vcc_lo
	s_delay_alu instid0(VALU_DEP_2) | instskip(SKIP_1) | instid1(VALU_DEP_2)
	v_add_co_u32 v32, vcc_lo, v13, v34
	s_wait_alu 0xfffd
	v_add_co_ci_u32_e64 v33, null, 0, v14, vcc_lo
	s_delay_alu instid0(VALU_DEP_2) | instskip(SKIP_1) | instid1(VALU_DEP_3)
	v_mul_lo_u32 v34, s79, v32
	v_mad_co_u64_u32 v[13:14], null, s78, v32, 0
	v_mul_lo_u32 v35, s78, v33
	s_delay_alu instid0(VALU_DEP_2) | instskip(NEXT) | instid1(VALU_DEP_2)
	v_sub_co_u32 v2, vcc_lo, v2, v13
	v_add3_u32 v14, v14, v35, v34
	s_delay_alu instid0(VALU_DEP_1) | instskip(SKIP_2) | instid1(VALU_DEP_2)
	v_sub_nc_u32_e32 v34, v29, v14
	s_wait_alu 0xfffd
	v_sub_co_ci_u32_e64 v14, null, v29, v14, vcc_lo
	v_subrev_co_ci_u32_e64 v13, null, s79, v34, vcc_lo
	v_add_co_u32 v34, s0, v32, 2
	s_wait_alu 0xf1ff
	v_add_co_ci_u32_e64 v35, null, 0, v33, s0
	v_sub_co_u32 v36, s0, v2, s78
	s_wait_alu 0xf1ff
	v_subrev_co_ci_u32_e64 v13, null, 0, v13, s0
	s_delay_alu instid0(VALU_DEP_2) | instskip(SKIP_2) | instid1(VALU_DEP_3)
	v_cmp_le_u32_e32 vcc_lo, s78, v36
	s_wait_alu 0xfffd
	v_cndmask_b32_e64 v29, 0, -1, vcc_lo
	v_cmp_le_u32_e32 vcc_lo, s79, v13
	s_wait_alu 0xfffd
	v_cndmask_b32_e64 v36, 0, -1, vcc_lo
	;; [unrolled: 3-line block ×4, first 2 shown]
	v_cmp_eq_u32_e32 vcc_lo, s79, v13
	s_wait_alu 0xfffd
	v_cndmask_b32_e32 v13, v36, v29, vcc_lo
	v_add_co_u32 v29, vcc_lo, v32, 1
	s_wait_alu 0xfffd
	v_add_co_ci_u32_e64 v36, null, 0, v33, vcc_lo
	v_cmp_eq_u32_e32 vcc_lo, s79, v14
	v_xor_b32_e32 v14, s76, v22
	s_wait_alu 0xfffd
	v_cndmask_b32_e32 v2, v37, v2, vcc_lo
	v_cmp_ne_u32_e32 vcc_lo, 0, v13
	s_delay_alu instid0(VALU_DEP_2) | instskip(SKIP_3) | instid1(VALU_DEP_1)
	v_cmp_ne_u32_e64 s0, 0, v2
	s_wait_alu 0xfffd
	v_dual_cndmask_b32 v13, v36, v35 :: v_dual_cndmask_b32 v2, v29, v34
	s_wait_alu 0xf1ff
	v_cndmask_b32_e64 v13, v33, v13, s0
	s_delay_alu instid0(VALU_DEP_2) | instskip(NEXT) | instid1(VALU_DEP_2)
	v_cndmask_b32_e64 v2, v32, v2, s0
	v_xor_b32_e32 v29, v13, v14
	s_delay_alu instid0(VALU_DEP_2) | instskip(NEXT) | instid1(VALU_DEP_1)
	v_xor_b32_e32 v2, v2, v14
	v_sub_co_u32 v13, vcc_lo, v2, v14
	s_wait_alu 0xfffd
	s_delay_alu instid0(VALU_DEP_3)
	v_sub_co_ci_u32_e64 v14, null, v29, v14, vcc_lo
.LBB23_21:                              ;   in Loop: Header=BB23_3 Depth=1
	s_and_not1_saveexec_b32 s0, s84
	s_cbranch_execz .LBB23_23
; %bb.22:                               ;   in Loop: Header=BB23_3 Depth=1
	s_sub_co_i32 s76, 0, s34
	s_wait_alu 0xfffe
	v_mul_lo_u32 v2, s76, v25
	s_delay_alu instid0(VALU_DEP_1) | instskip(NEXT) | instid1(VALU_DEP_1)
	v_mul_hi_u32 v2, v25, v2
	v_add_nc_u32_e32 v2, v25, v2
	s_delay_alu instid0(VALU_DEP_1) | instskip(NEXT) | instid1(VALU_DEP_1)
	v_mul_hi_u32 v2, v30, v2
	v_mul_lo_u32 v13, v2, s34
	s_delay_alu instid0(VALU_DEP_1) | instskip(NEXT) | instid1(VALU_DEP_1)
	v_sub_nc_u32_e32 v13, v30, v13
	v_subrev_nc_u32_e32 v29, s34, v13
	v_cmp_le_u32_e32 vcc_lo, s34, v13
	s_wait_alu 0xfffd
	s_delay_alu instid0(VALU_DEP_2) | instskip(NEXT) | instid1(VALU_DEP_1)
	v_dual_cndmask_b32 v13, v13, v29 :: v_dual_add_nc_u32 v14, 1, v2
	v_cndmask_b32_e32 v2, v2, v14, vcc_lo
	s_delay_alu instid0(VALU_DEP_2) | instskip(NEXT) | instid1(VALU_DEP_2)
	v_cmp_le_u32_e32 vcc_lo, s34, v13
	v_add_nc_u32_e32 v14, 1, v2
	s_wait_alu 0xfffd
	s_delay_alu instid0(VALU_DEP_1)
	v_dual_cndmask_b32 v13, v2, v14 :: v_dual_mov_b32 v14, v1
.LBB23_23:                              ;   in Loop: Header=BB23_3 Depth=1
	s_wait_alu 0xfffe
	s_or_b32 exec_lo, exec_lo, s0
	s_delay_alu instid0(VALU_DEP_1) | instskip(NEXT) | instid1(VALU_DEP_2)
	v_mul_lo_u32 v2, v14, s34
	v_mul_lo_u32 v29, v13, s35
	v_mad_co_u64_u32 v[32:33], null, v13, s34, 0
	v_mul_lo_u32 v34, v13, s9
	s_mov_b32 s0, exec_lo
	s_delay_alu instid0(VALU_DEP_2) | instskip(SKIP_1) | instid1(VALU_DEP_4)
	v_add3_u32 v2, v33, v29, v2
	v_mul_lo_u32 v29, v14, s8
	v_sub_co_u32 v14, vcc_lo, v11, v32
	s_wait_alu 0xfffd
	s_delay_alu instid0(VALU_DEP_3) | instskip(NEXT) | instid1(VALU_DEP_2)
	v_sub_co_ci_u32_e64 v2, null, v12, v2, vcc_lo
	v_add_co_u32 v32, vcc_lo, v3, v14
	v_mad_co_u64_u32 v[13:14], null, v13, s8, 0
	s_wait_alu 0xfffd
	s_delay_alu instid0(VALU_DEP_3) | instskip(NEXT) | instid1(VALU_DEP_3)
	v_add_co_ci_u32_e64 v2, null, v4, v2, vcc_lo
	v_mul_lo_u32 v35, v32, s11
	v_mad_co_u64_u32 v[32:33], null, v32, s10, 0
	s_delay_alu instid0(VALU_DEP_3) | instskip(SKIP_1) | instid1(VALU_DEP_1)
	v_mul_lo_u32 v2, v2, s10
	v_add3_u32 v14, v14, v34, v29
	v_lshlrev_b64_e32 v[13:14], 2, v[13:14]
	s_delay_alu instid0(VALU_DEP_3) | instskip(NEXT) | instid1(VALU_DEP_2)
	v_add3_u32 v33, v33, v35, v2
	v_add_co_u32 v2, vcc_lo, s2, v13
	s_delay_alu instid0(VALU_DEP_2) | instskip(SKIP_1) | instid1(VALU_DEP_4)
	v_lshlrev_b64_e32 v[32:33], 2, v[32:33]
	s_wait_alu 0xfffd
	v_add_co_ci_u32_e64 v14, null, s3, v14, vcc_lo
	s_delay_alu instid0(VALU_DEP_2) | instskip(SKIP_1) | instid1(VALU_DEP_2)
	v_add_co_u32 v13, vcc_lo, v2, v32
	s_wait_alu 0xfffd
	v_add_co_ci_u32_e64 v14, null, v14, v33, vcc_lo
	v_or_b32_e32 v2, s45, v18
	global_load_b32 v29, v[13:14], off
                                        ; implicit-def: $vgpr13_vgpr14
	v_cmpx_ne_u64_e32 0, v[1:2]
	s_wait_alu 0xfffe
	s_xor_b32 s84, exec_lo, s0
	s_cbranch_execz .LBB23_25
; %bb.24:                               ;   in Loop: Header=BB23_3 Depth=1
	s_ashr_i32 s76, s45, 31
	v_add_co_u32 v2, vcc_lo, v16, v15
	s_wait_alu 0xfffe
	s_mov_b32 s77, s76
	s_wait_alu 0xfffd
	v_add_co_ci_u32_e64 v13, null, v18, v15, vcc_lo
	s_wait_alu 0xfffe
	s_add_nc_u64 s[78:79], s[44:45], s[76:77]
	v_xor_b32_e32 v2, v2, v15
	s_wait_alu 0xfffe
	s_xor_b64 s[78:79], s[78:79], s[76:77]
	v_xor_b32_e32 v16, v13, v15
	s_wait_alu 0xfffe
	s_cvt_f32_u32 s0, s78
	s_cvt_f32_u32 s77, s79
	s_sub_nc_u64 s[88:89], 0, s[78:79]
	s_wait_alu 0xfffe
	s_delay_alu instid0(SALU_CYCLE_1) | instskip(SKIP_1) | instid1(SALU_CYCLE_2)
	s_fmamk_f32 s0, s77, 0x4f800000, s0
	s_wait_alu 0xfffe
	v_s_rcp_f32 s0, s0
	s_delay_alu instid0(TRANS32_DEP_1) | instskip(SKIP_1) | instid1(SALU_CYCLE_2)
	s_mul_f32 s0, s0, 0x5f7ffffc
	s_wait_alu 0xfffe
	s_mul_f32 s77, s0, 0x2f800000
	s_wait_alu 0xfffe
	s_delay_alu instid0(SALU_CYCLE_2) | instskip(SKIP_1) | instid1(SALU_CYCLE_2)
	s_trunc_f32 s77, s77
	s_wait_alu 0xfffe
	s_fmamk_f32 s0, s77, 0xcf800000, s0
	s_cvt_u32_f32 s87, s77
	s_wait_alu 0xfffe
	s_delay_alu instid0(SALU_CYCLE_1) | instskip(NEXT) | instid1(SALU_CYCLE_3)
	s_cvt_u32_f32 s86, s0
	s_mul_u64 s[90:91], s[88:89], s[86:87]
	s_delay_alu instid0(SALU_CYCLE_1)
	s_mul_hi_u32 s93, s86, s91
	s_mul_i32 s92, s86, s91
	s_mul_hi_u32 s0, s86, s90
	s_mul_i32 s85, s87, s90
	s_wait_alu 0xfffe
	s_add_nc_u64 s[92:93], s[0:1], s[92:93]
	s_mul_hi_u32 s77, s87, s90
	s_mul_hi_u32 s94, s87, s91
	s_add_co_u32 s0, s92, s85
	s_wait_alu 0xfffe
	s_add_co_ci_u32 s0, s93, s77
	s_mul_i32 s90, s87, s91
	s_add_co_ci_u32 s91, s94, 0
	s_wait_alu 0xfffe
	s_add_nc_u64 s[90:91], s[0:1], s[90:91]
	s_delay_alu instid0(SALU_CYCLE_1) | instskip(SKIP_4) | instid1(SALU_CYCLE_1)
	s_add_co_u32 s86, s86, s90
	s_cselect_b32 s0, -1, 0
	s_wait_alu 0xfffe
	s_cmp_lg_u32 s0, 0
	s_add_co_ci_u32 s87, s87, s91
	s_mul_u64 s[88:89], s[88:89], s[86:87]
	s_delay_alu instid0(SALU_CYCLE_1)
	s_mul_hi_u32 s91, s86, s89
	s_mul_i32 s90, s86, s89
	s_mul_hi_u32 s0, s86, s88
	s_mul_i32 s85, s87, s88
	s_wait_alu 0xfffe
	s_add_nc_u64 s[90:91], s[0:1], s[90:91]
	s_mul_hi_u32 s77, s87, s88
	s_mul_hi_u32 s92, s87, s89
	s_add_co_u32 s0, s90, s85
	s_wait_alu 0xfffe
	s_add_co_ci_u32 s0, s91, s77
	s_mul_i32 s88, s87, s89
	s_add_co_ci_u32 s89, s92, 0
	s_wait_alu 0xfffe
	s_add_nc_u64 s[88:89], s[0:1], s[88:89]
	s_delay_alu instid0(SALU_CYCLE_1)
	s_add_co_u32 s0, s86, s88
	s_cselect_b32 s77, -1, 0
	s_wait_alu 0xfffe
	v_mul_hi_u32 v18, v2, s0
	s_cmp_lg_u32 s77, 0
	v_mad_co_u64_u32 v[32:33], null, v16, s0, 0
	s_add_co_ci_u32 s77, s87, s89
	s_wait_alu 0xfffe
	v_mad_co_u64_u32 v[13:14], null, v2, s77, 0
	v_mad_co_u64_u32 v[34:35], null, v16, s77, 0
	s_delay_alu instid0(VALU_DEP_2) | instskip(SKIP_1) | instid1(VALU_DEP_3)
	v_add_co_u32 v13, vcc_lo, v18, v13
	s_wait_alu 0xfffd
	v_add_co_ci_u32_e64 v14, null, 0, v14, vcc_lo
	s_delay_alu instid0(VALU_DEP_2) | instskip(SKIP_1) | instid1(VALU_DEP_2)
	v_add_co_u32 v13, vcc_lo, v13, v32
	s_wait_alu 0xfffd
	v_add_co_ci_u32_e32 v13, vcc_lo, v14, v33, vcc_lo
	s_wait_alu 0xfffd
	v_add_co_ci_u32_e32 v14, vcc_lo, 0, v35, vcc_lo
	s_delay_alu instid0(VALU_DEP_2) | instskip(SKIP_1) | instid1(VALU_DEP_2)
	v_add_co_u32 v18, vcc_lo, v13, v34
	s_wait_alu 0xfffd
	v_add_co_ci_u32_e64 v32, null, 0, v14, vcc_lo
	s_delay_alu instid0(VALU_DEP_2) | instskip(SKIP_1) | instid1(VALU_DEP_3)
	v_mul_lo_u32 v33, s79, v18
	v_mad_co_u64_u32 v[13:14], null, s78, v18, 0
	v_mul_lo_u32 v34, s78, v32
	s_delay_alu instid0(VALU_DEP_2) | instskip(NEXT) | instid1(VALU_DEP_2)
	v_sub_co_u32 v2, vcc_lo, v2, v13
	v_add3_u32 v14, v14, v34, v33
	s_delay_alu instid0(VALU_DEP_1) | instskip(SKIP_2) | instid1(VALU_DEP_2)
	v_sub_nc_u32_e32 v33, v16, v14
	s_wait_alu 0xfffd
	v_sub_co_ci_u32_e64 v14, null, v16, v14, vcc_lo
	v_subrev_co_ci_u32_e64 v13, null, s79, v33, vcc_lo
	v_add_co_u32 v33, s0, v18, 2
	s_wait_alu 0xf1ff
	v_add_co_ci_u32_e64 v34, null, 0, v32, s0
	v_sub_co_u32 v35, s0, v2, s78
	s_wait_alu 0xf1ff
	v_subrev_co_ci_u32_e64 v13, null, 0, v13, s0
	s_delay_alu instid0(VALU_DEP_2) | instskip(SKIP_2) | instid1(VALU_DEP_3)
	v_cmp_le_u32_e32 vcc_lo, s78, v35
	s_wait_alu 0xfffd
	v_cndmask_b32_e64 v16, 0, -1, vcc_lo
	v_cmp_le_u32_e32 vcc_lo, s79, v13
	s_wait_alu 0xfffd
	v_cndmask_b32_e64 v35, 0, -1, vcc_lo
	;; [unrolled: 3-line block ×4, first 2 shown]
	v_cmp_eq_u32_e32 vcc_lo, s79, v13
	s_wait_alu 0xfffd
	v_cndmask_b32_e32 v13, v35, v16, vcc_lo
	v_add_co_u32 v16, vcc_lo, v18, 1
	s_wait_alu 0xfffd
	v_add_co_ci_u32_e64 v35, null, 0, v32, vcc_lo
	v_cmp_eq_u32_e32 vcc_lo, s79, v14
	v_xor_b32_e32 v14, s76, v15
	s_wait_alu 0xfffd
	v_cndmask_b32_e32 v2, v36, v2, vcc_lo
	v_cmp_ne_u32_e32 vcc_lo, 0, v13
	s_delay_alu instid0(VALU_DEP_2) | instskip(SKIP_3) | instid1(VALU_DEP_1)
	v_cmp_ne_u32_e64 s0, 0, v2
	s_wait_alu 0xfffd
	v_dual_cndmask_b32 v13, v35, v34 :: v_dual_cndmask_b32 v2, v16, v33
                                        ; implicit-def: $vgpr16
	s_wait_alu 0xf1ff
	v_cndmask_b32_e64 v13, v32, v13, s0
	s_delay_alu instid0(VALU_DEP_2) | instskip(NEXT) | instid1(VALU_DEP_2)
	v_cndmask_b32_e64 v2, v18, v2, s0
	v_xor_b32_e32 v15, v13, v14
	s_delay_alu instid0(VALU_DEP_2) | instskip(NEXT) | instid1(VALU_DEP_1)
	v_xor_b32_e32 v2, v2, v14
	v_sub_co_u32 v13, vcc_lo, v2, v14
	s_wait_alu 0xfffd
	s_delay_alu instid0(VALU_DEP_3)
	v_sub_co_ci_u32_e64 v14, null, v15, v14, vcc_lo
.LBB23_25:                              ;   in Loop: Header=BB23_3 Depth=1
	s_or_saveexec_b32 s0, s84
	v_cvt_f32_u32_e32 v32, s44
	s_wait_alu 0xfffe
	s_xor_b32 exec_lo, exec_lo, s0
	s_cbranch_execz .LBB23_27
; %bb.26:                               ;   in Loop: Header=BB23_3 Depth=1
	s_delay_alu instid0(VALU_DEP_1) | instskip(SKIP_1) | instid1(TRANS32_DEP_1)
	v_rcp_iflag_f32_e32 v2, v32
	s_sub_co_i32 s76, 0, s44
	v_mul_f32_e32 v2, 0x4f7ffffe, v2
	s_delay_alu instid0(VALU_DEP_1) | instskip(SKIP_1) | instid1(VALU_DEP_1)
	v_cvt_u32_f32_e32 v2, v2
	s_wait_alu 0xfffe
	v_mul_lo_u32 v13, s76, v2
	s_delay_alu instid0(VALU_DEP_1) | instskip(NEXT) | instid1(VALU_DEP_1)
	v_mul_hi_u32 v13, v2, v13
	v_add_nc_u32_e32 v2, v2, v13
	s_delay_alu instid0(VALU_DEP_1) | instskip(NEXT) | instid1(VALU_DEP_1)
	v_mul_hi_u32 v2, v16, v2
	v_mul_lo_u32 v13, v2, s44
	v_add_nc_u32_e32 v14, 1, v2
	s_delay_alu instid0(VALU_DEP_2) | instskip(NEXT) | instid1(VALU_DEP_1)
	v_sub_nc_u32_e32 v13, v16, v13
	v_subrev_nc_u32_e32 v15, s44, v13
	v_cmp_le_u32_e32 vcc_lo, s44, v13
	s_wait_alu 0xfffd
	s_delay_alu instid0(VALU_DEP_2) | instskip(NEXT) | instid1(VALU_DEP_1)
	v_dual_cndmask_b32 v13, v13, v15 :: v_dual_cndmask_b32 v2, v2, v14
	v_cmp_le_u32_e32 vcc_lo, s44, v13
	s_delay_alu instid0(VALU_DEP_2) | instskip(SKIP_1) | instid1(VALU_DEP_1)
	v_add_nc_u32_e32 v14, 1, v2
	s_wait_alu 0xfffd
	v_dual_cndmask_b32 v13, v2, v14 :: v_dual_mov_b32 v14, v1
.LBB23_27:                              ;   in Loop: Header=BB23_3 Depth=1
	s_or_b32 exec_lo, exec_lo, s0
	v_or_b32_e32 v2, s45, v21
                                        ; implicit-def: $vgpr15_vgpr16
	s_mov_b32 s0, exec_lo
	s_delay_alu instid0(VALU_DEP_1)
	v_cmpx_ne_u64_e32 0, v[1:2]
	s_wait_alu 0xfffe
	s_xor_b32 s84, exec_lo, s0
	s_cbranch_execz .LBB23_29
; %bb.28:                               ;   in Loop: Header=BB23_3 Depth=1
	s_ashr_i32 s76, s45, 31
	v_add_co_u32 v2, vcc_lo, v20, v17
	s_wait_alu 0xfffe
	s_mov_b32 s77, s76
	s_wait_alu 0xfffd
	v_add_co_ci_u32_e64 v15, null, v21, v17, vcc_lo
	s_wait_alu 0xfffe
	s_add_nc_u64 s[78:79], s[44:45], s[76:77]
	v_xor_b32_e32 v2, v2, v17
	s_wait_alu 0xfffe
	s_xor_b64 s[78:79], s[78:79], s[76:77]
	v_xor_b32_e32 v18, v15, v17
	s_wait_alu 0xfffe
	s_cvt_f32_u32 s0, s78
	s_cvt_f32_u32 s77, s79
	s_sub_nc_u64 s[88:89], 0, s[78:79]
	s_wait_alu 0xfffe
	s_delay_alu instid0(SALU_CYCLE_1) | instskip(SKIP_1) | instid1(SALU_CYCLE_2)
	s_fmamk_f32 s0, s77, 0x4f800000, s0
	s_wait_alu 0xfffe
	v_s_rcp_f32 s0, s0
	s_delay_alu instid0(TRANS32_DEP_1) | instskip(SKIP_1) | instid1(SALU_CYCLE_2)
	s_mul_f32 s0, s0, 0x5f7ffffc
	s_wait_alu 0xfffe
	s_mul_f32 s77, s0, 0x2f800000
	s_wait_alu 0xfffe
	s_delay_alu instid0(SALU_CYCLE_2) | instskip(SKIP_1) | instid1(SALU_CYCLE_2)
	s_trunc_f32 s77, s77
	s_wait_alu 0xfffe
	s_fmamk_f32 s0, s77, 0xcf800000, s0
	s_cvt_u32_f32 s87, s77
	s_wait_alu 0xfffe
	s_delay_alu instid0(SALU_CYCLE_1) | instskip(NEXT) | instid1(SALU_CYCLE_3)
	s_cvt_u32_f32 s86, s0
	s_mul_u64 s[90:91], s[88:89], s[86:87]
	s_delay_alu instid0(SALU_CYCLE_1)
	s_mul_hi_u32 s93, s86, s91
	s_mul_i32 s92, s86, s91
	s_mul_hi_u32 s0, s86, s90
	s_mul_i32 s85, s87, s90
	s_wait_alu 0xfffe
	s_add_nc_u64 s[92:93], s[0:1], s[92:93]
	s_mul_hi_u32 s77, s87, s90
	s_mul_hi_u32 s94, s87, s91
	s_add_co_u32 s0, s92, s85
	s_wait_alu 0xfffe
	s_add_co_ci_u32 s0, s93, s77
	s_mul_i32 s90, s87, s91
	s_add_co_ci_u32 s91, s94, 0
	s_wait_alu 0xfffe
	s_add_nc_u64 s[90:91], s[0:1], s[90:91]
	s_delay_alu instid0(SALU_CYCLE_1) | instskip(SKIP_4) | instid1(SALU_CYCLE_1)
	s_add_co_u32 s86, s86, s90
	s_cselect_b32 s0, -1, 0
	s_wait_alu 0xfffe
	s_cmp_lg_u32 s0, 0
	s_add_co_ci_u32 s87, s87, s91
	s_mul_u64 s[88:89], s[88:89], s[86:87]
	s_delay_alu instid0(SALU_CYCLE_1)
	s_mul_hi_u32 s91, s86, s89
	s_mul_i32 s90, s86, s89
	s_mul_hi_u32 s0, s86, s88
	s_mul_i32 s85, s87, s88
	s_wait_alu 0xfffe
	s_add_nc_u64 s[90:91], s[0:1], s[90:91]
	s_mul_hi_u32 s77, s87, s88
	s_mul_hi_u32 s92, s87, s89
	s_add_co_u32 s0, s90, s85
	s_wait_alu 0xfffe
	s_add_co_ci_u32 s0, s91, s77
	s_mul_i32 s88, s87, s89
	s_add_co_ci_u32 s89, s92, 0
	s_wait_alu 0xfffe
	s_add_nc_u64 s[88:89], s[0:1], s[88:89]
	s_delay_alu instid0(SALU_CYCLE_1)
	s_add_co_u32 s0, s86, s88
	s_cselect_b32 s77, -1, 0
	s_wait_alu 0xfffe
	v_mul_hi_u32 v35, v2, s0
	s_cmp_lg_u32 s77, 0
	v_mad_co_u64_u32 v[20:21], null, v18, s0, 0
	s_add_co_ci_u32 s77, s87, s89
	s_wait_alu 0xfffe
	v_mad_co_u64_u32 v[15:16], null, v2, s77, 0
	v_mad_co_u64_u32 v[33:34], null, v18, s77, 0
	s_delay_alu instid0(VALU_DEP_2) | instskip(SKIP_1) | instid1(VALU_DEP_3)
	v_add_co_u32 v15, vcc_lo, v35, v15
	s_wait_alu 0xfffd
	v_add_co_ci_u32_e64 v16, null, 0, v16, vcc_lo
	s_delay_alu instid0(VALU_DEP_2) | instskip(SKIP_1) | instid1(VALU_DEP_2)
	v_add_co_u32 v15, vcc_lo, v15, v20
	s_wait_alu 0xfffd
	v_add_co_ci_u32_e32 v15, vcc_lo, v16, v21, vcc_lo
	s_wait_alu 0xfffd
	v_add_co_ci_u32_e32 v16, vcc_lo, 0, v34, vcc_lo
	s_delay_alu instid0(VALU_DEP_2) | instskip(SKIP_1) | instid1(VALU_DEP_2)
	v_add_co_u32 v20, vcc_lo, v15, v33
	s_wait_alu 0xfffd
	v_add_co_ci_u32_e64 v21, null, 0, v16, vcc_lo
	s_delay_alu instid0(VALU_DEP_2) | instskip(SKIP_1) | instid1(VALU_DEP_3)
	v_mul_lo_u32 v33, s79, v20
	v_mad_co_u64_u32 v[15:16], null, s78, v20, 0
	v_mul_lo_u32 v34, s78, v21
	s_delay_alu instid0(VALU_DEP_2) | instskip(NEXT) | instid1(VALU_DEP_2)
	v_sub_co_u32 v2, vcc_lo, v2, v15
	v_add3_u32 v16, v16, v34, v33
	s_delay_alu instid0(VALU_DEP_1) | instskip(SKIP_2) | instid1(VALU_DEP_2)
	v_sub_nc_u32_e32 v33, v18, v16
	s_wait_alu 0xfffd
	v_sub_co_ci_u32_e64 v16, null, v18, v16, vcc_lo
	v_subrev_co_ci_u32_e64 v15, null, s79, v33, vcc_lo
	v_add_co_u32 v33, s0, v20, 2
	s_wait_alu 0xf1ff
	v_add_co_ci_u32_e64 v34, null, 0, v21, s0
	v_sub_co_u32 v35, s0, v2, s78
	s_wait_alu 0xf1ff
	v_subrev_co_ci_u32_e64 v15, null, 0, v15, s0
	s_delay_alu instid0(VALU_DEP_2) | instskip(SKIP_2) | instid1(VALU_DEP_3)
	v_cmp_le_u32_e32 vcc_lo, s78, v35
	s_wait_alu 0xfffd
	v_cndmask_b32_e64 v18, 0, -1, vcc_lo
	v_cmp_le_u32_e32 vcc_lo, s79, v15
	s_wait_alu 0xfffd
	v_cndmask_b32_e64 v35, 0, -1, vcc_lo
	;; [unrolled: 3-line block ×4, first 2 shown]
	v_cmp_eq_u32_e32 vcc_lo, s79, v15
	s_wait_alu 0xfffd
	v_cndmask_b32_e32 v15, v35, v18, vcc_lo
	v_add_co_u32 v18, vcc_lo, v20, 1
	s_wait_alu 0xfffd
	v_add_co_ci_u32_e64 v35, null, 0, v21, vcc_lo
	v_cmp_eq_u32_e32 vcc_lo, s79, v16
	v_xor_b32_e32 v16, s76, v17
	s_wait_alu 0xfffd
	v_cndmask_b32_e32 v2, v36, v2, vcc_lo
	v_cmp_ne_u32_e32 vcc_lo, 0, v15
	s_delay_alu instid0(VALU_DEP_2) | instskip(SKIP_3) | instid1(VALU_DEP_1)
	v_cmp_ne_u32_e64 s0, 0, v2
	s_wait_alu 0xfffd
	v_dual_cndmask_b32 v2, v18, v33 :: v_dual_cndmask_b32 v15, v35, v34
	s_wait_alu 0xf1ff
	v_cndmask_b32_e64 v2, v20, v2, s0
	s_delay_alu instid0(VALU_DEP_2) | instskip(NEXT) | instid1(VALU_DEP_2)
	v_cndmask_b32_e64 v15, v21, v15, s0
                                        ; implicit-def: $vgpr20
	v_xor_b32_e32 v2, v2, v16
	s_delay_alu instid0(VALU_DEP_2) | instskip(NEXT) | instid1(VALU_DEP_2)
	v_xor_b32_e32 v17, v15, v16
	v_sub_co_u32 v15, vcc_lo, v2, v16
	s_wait_alu 0xfffd
	s_delay_alu instid0(VALU_DEP_2)
	v_sub_co_ci_u32_e64 v16, null, v17, v16, vcc_lo
.LBB23_29:                              ;   in Loop: Header=BB23_3 Depth=1
	s_and_not1_saveexec_b32 s0, s84
	s_cbranch_execz .LBB23_31
; %bb.30:                               ;   in Loop: Header=BB23_3 Depth=1
	v_rcp_iflag_f32_e32 v2, v32
	s_sub_co_i32 s76, 0, s44
	s_delay_alu instid0(TRANS32_DEP_1) | instskip(NEXT) | instid1(VALU_DEP_1)
	v_mul_f32_e32 v2, 0x4f7ffffe, v2
	v_cvt_u32_f32_e32 v2, v2
	s_wait_alu 0xfffe
	s_delay_alu instid0(VALU_DEP_1) | instskip(NEXT) | instid1(VALU_DEP_1)
	v_mul_lo_u32 v15, s76, v2
	v_mul_hi_u32 v15, v2, v15
	s_delay_alu instid0(VALU_DEP_1) | instskip(NEXT) | instid1(VALU_DEP_1)
	v_add_nc_u32_e32 v2, v2, v15
	v_mul_hi_u32 v2, v20, v2
	s_delay_alu instid0(VALU_DEP_1) | instskip(SKIP_1) | instid1(VALU_DEP_2)
	v_mul_lo_u32 v15, v2, s44
	v_add_nc_u32_e32 v16, 1, v2
	v_sub_nc_u32_e32 v15, v20, v15
	s_delay_alu instid0(VALU_DEP_1) | instskip(SKIP_2) | instid1(VALU_DEP_2)
	v_subrev_nc_u32_e32 v17, s44, v15
	v_cmp_le_u32_e32 vcc_lo, s44, v15
	s_wait_alu 0xfffd
	v_dual_cndmask_b32 v15, v15, v17 :: v_dual_cndmask_b32 v2, v2, v16
	s_delay_alu instid0(VALU_DEP_1) | instskip(NEXT) | instid1(VALU_DEP_2)
	v_cmp_le_u32_e32 vcc_lo, s44, v15
	v_add_nc_u32_e32 v16, 1, v2
	s_wait_alu 0xfffd
	s_delay_alu instid0(VALU_DEP_1)
	v_dual_cndmask_b32 v15, v2, v16 :: v_dual_mov_b32 v16, v1
.LBB23_31:                              ;   in Loop: Header=BB23_3 Depth=1
	s_wait_alu 0xfffe
	s_or_b32 exec_lo, exec_lo, s0
	v_or_b32_e32 v2, s45, v24
                                        ; implicit-def: $vgpr17_vgpr18
	s_mov_b32 s0, exec_lo
	s_delay_alu instid0(VALU_DEP_1)
	v_cmpx_ne_u64_e32 0, v[1:2]
	s_wait_alu 0xfffe
	s_xor_b32 s84, exec_lo, s0
	s_cbranch_execz .LBB23_33
; %bb.32:                               ;   in Loop: Header=BB23_3 Depth=1
	s_ashr_i32 s76, s45, 31
	v_add_co_u32 v2, vcc_lo, v23, v19
	s_wait_alu 0xfffe
	s_mov_b32 s77, s76
	s_wait_alu 0xfffd
	v_add_co_ci_u32_e64 v17, null, v24, v19, vcc_lo
	s_wait_alu 0xfffe
	s_add_nc_u64 s[78:79], s[44:45], s[76:77]
	v_xor_b32_e32 v2, v2, v19
	s_wait_alu 0xfffe
	s_xor_b64 s[78:79], s[78:79], s[76:77]
	v_xor_b32_e32 v33, v17, v19
	s_wait_alu 0xfffe
	s_cvt_f32_u32 s0, s78
	s_cvt_f32_u32 s77, s79
	s_sub_nc_u64 s[88:89], 0, s[78:79]
	s_wait_alu 0xfffe
	s_delay_alu instid0(SALU_CYCLE_1) | instskip(SKIP_1) | instid1(SALU_CYCLE_2)
	s_fmamk_f32 s0, s77, 0x4f800000, s0
	s_wait_alu 0xfffe
	v_s_rcp_f32 s0, s0
	s_delay_alu instid0(TRANS32_DEP_1) | instskip(SKIP_1) | instid1(SALU_CYCLE_2)
	s_mul_f32 s0, s0, 0x5f7ffffc
	s_wait_alu 0xfffe
	s_mul_f32 s77, s0, 0x2f800000
	s_wait_alu 0xfffe
	s_delay_alu instid0(SALU_CYCLE_2) | instskip(SKIP_1) | instid1(SALU_CYCLE_2)
	s_trunc_f32 s77, s77
	s_wait_alu 0xfffe
	s_fmamk_f32 s0, s77, 0xcf800000, s0
	s_cvt_u32_f32 s87, s77
	s_wait_alu 0xfffe
	s_delay_alu instid0(SALU_CYCLE_1) | instskip(NEXT) | instid1(SALU_CYCLE_3)
	s_cvt_u32_f32 s86, s0
	s_mul_u64 s[90:91], s[88:89], s[86:87]
	s_delay_alu instid0(SALU_CYCLE_1)
	s_mul_hi_u32 s93, s86, s91
	s_mul_i32 s92, s86, s91
	s_mul_hi_u32 s0, s86, s90
	s_mul_i32 s85, s87, s90
	s_wait_alu 0xfffe
	s_add_nc_u64 s[92:93], s[0:1], s[92:93]
	s_mul_hi_u32 s77, s87, s90
	s_mul_hi_u32 s94, s87, s91
	s_add_co_u32 s0, s92, s85
	s_wait_alu 0xfffe
	s_add_co_ci_u32 s0, s93, s77
	s_mul_i32 s90, s87, s91
	s_add_co_ci_u32 s91, s94, 0
	s_wait_alu 0xfffe
	s_add_nc_u64 s[90:91], s[0:1], s[90:91]
	s_delay_alu instid0(SALU_CYCLE_1) | instskip(SKIP_4) | instid1(SALU_CYCLE_1)
	s_add_co_u32 s86, s86, s90
	s_cselect_b32 s0, -1, 0
	s_wait_alu 0xfffe
	s_cmp_lg_u32 s0, 0
	s_add_co_ci_u32 s87, s87, s91
	s_mul_u64 s[88:89], s[88:89], s[86:87]
	s_delay_alu instid0(SALU_CYCLE_1)
	s_mul_hi_u32 s91, s86, s89
	s_mul_i32 s90, s86, s89
	s_mul_hi_u32 s0, s86, s88
	s_mul_i32 s85, s87, s88
	s_wait_alu 0xfffe
	s_add_nc_u64 s[90:91], s[0:1], s[90:91]
	s_mul_hi_u32 s77, s87, s88
	s_mul_hi_u32 s92, s87, s89
	s_add_co_u32 s0, s90, s85
	s_wait_alu 0xfffe
	s_add_co_ci_u32 s0, s91, s77
	s_mul_i32 s88, s87, s89
	s_add_co_ci_u32 s89, s92, 0
	s_wait_alu 0xfffe
	s_add_nc_u64 s[88:89], s[0:1], s[88:89]
	s_delay_alu instid0(SALU_CYCLE_1)
	s_add_co_u32 s0, s86, s88
	s_cselect_b32 s77, -1, 0
	s_wait_alu 0xfffe
	v_mul_hi_u32 v34, v2, s0
	s_cmp_lg_u32 s77, 0
	v_mad_co_u64_u32 v[20:21], null, v33, s0, 0
	s_add_co_ci_u32 s77, s87, s89
	s_wait_alu 0xfffe
	v_mad_co_u64_u32 v[17:18], null, v2, s77, 0
	v_mad_co_u64_u32 v[23:24], null, v33, s77, 0
	s_delay_alu instid0(VALU_DEP_2) | instskip(SKIP_1) | instid1(VALU_DEP_3)
	v_add_co_u32 v17, vcc_lo, v34, v17
	s_wait_alu 0xfffd
	v_add_co_ci_u32_e64 v18, null, 0, v18, vcc_lo
	s_delay_alu instid0(VALU_DEP_2) | instskip(SKIP_1) | instid1(VALU_DEP_2)
	v_add_co_u32 v17, vcc_lo, v17, v20
	s_wait_alu 0xfffd
	v_add_co_ci_u32_e32 v17, vcc_lo, v18, v21, vcc_lo
	s_wait_alu 0xfffd
	v_add_co_ci_u32_e32 v18, vcc_lo, 0, v24, vcc_lo
	s_delay_alu instid0(VALU_DEP_2) | instskip(SKIP_1) | instid1(VALU_DEP_2)
	v_add_co_u32 v20, vcc_lo, v17, v23
	s_wait_alu 0xfffd
	v_add_co_ci_u32_e64 v21, null, 0, v18, vcc_lo
	s_delay_alu instid0(VALU_DEP_2) | instskip(SKIP_1) | instid1(VALU_DEP_3)
	v_mul_lo_u32 v23, s79, v20
	v_mad_co_u64_u32 v[17:18], null, s78, v20, 0
	v_mul_lo_u32 v24, s78, v21
	s_delay_alu instid0(VALU_DEP_2) | instskip(NEXT) | instid1(VALU_DEP_2)
	v_sub_co_u32 v2, vcc_lo, v2, v17
	v_add3_u32 v18, v18, v24, v23
	s_delay_alu instid0(VALU_DEP_1) | instskip(SKIP_2) | instid1(VALU_DEP_2)
	v_sub_nc_u32_e32 v23, v33, v18
	s_wait_alu 0xfffd
	v_sub_co_ci_u32_e64 v18, null, v33, v18, vcc_lo
	v_subrev_co_ci_u32_e64 v17, null, s79, v23, vcc_lo
	v_add_co_u32 v23, s0, v20, 2
	s_wait_alu 0xf1ff
	v_add_co_ci_u32_e64 v24, null, 0, v21, s0
	v_sub_co_u32 v34, s0, v2, s78
	s_wait_alu 0xf1ff
	v_subrev_co_ci_u32_e64 v17, null, 0, v17, s0
	s_delay_alu instid0(VALU_DEP_2) | instskip(SKIP_2) | instid1(VALU_DEP_3)
	v_cmp_le_u32_e32 vcc_lo, s78, v34
	s_wait_alu 0xfffd
	v_cndmask_b32_e64 v33, 0, -1, vcc_lo
	v_cmp_le_u32_e32 vcc_lo, s79, v17
	s_wait_alu 0xfffd
	v_cndmask_b32_e64 v34, 0, -1, vcc_lo
	;; [unrolled: 3-line block ×4, first 2 shown]
	v_cmp_eq_u32_e32 vcc_lo, s79, v17
	s_wait_alu 0xfffd
	v_cndmask_b32_e32 v17, v34, v33, vcc_lo
	v_add_co_u32 v33, vcc_lo, v20, 1
	s_wait_alu 0xfffd
	v_add_co_ci_u32_e64 v34, null, 0, v21, vcc_lo
	v_cmp_eq_u32_e32 vcc_lo, s79, v18
	v_xor_b32_e32 v18, s76, v19
	s_wait_alu 0xfffd
	v_cndmask_b32_e32 v2, v35, v2, vcc_lo
	v_cmp_ne_u32_e32 vcc_lo, 0, v17
	s_delay_alu instid0(VALU_DEP_2) | instskip(SKIP_3) | instid1(VALU_DEP_1)
	v_cmp_ne_u32_e64 s0, 0, v2
	s_wait_alu 0xfffd
	v_dual_cndmask_b32 v17, v34, v24 :: v_dual_cndmask_b32 v2, v33, v23
                                        ; implicit-def: $vgpr23
	s_wait_alu 0xf1ff
	v_cndmask_b32_e64 v17, v21, v17, s0
	s_delay_alu instid0(VALU_DEP_2) | instskip(NEXT) | instid1(VALU_DEP_2)
	v_cndmask_b32_e64 v2, v20, v2, s0
	v_xor_b32_e32 v19, v17, v18
	s_delay_alu instid0(VALU_DEP_2) | instskip(NEXT) | instid1(VALU_DEP_1)
	v_xor_b32_e32 v2, v2, v18
	v_sub_co_u32 v17, vcc_lo, v2, v18
	s_wait_alu 0xfffd
	s_delay_alu instid0(VALU_DEP_3)
	v_sub_co_ci_u32_e64 v18, null, v19, v18, vcc_lo
.LBB23_33:                              ;   in Loop: Header=BB23_3 Depth=1
	s_and_not1_saveexec_b32 s0, s84
	s_cbranch_execz .LBB23_35
; %bb.34:                               ;   in Loop: Header=BB23_3 Depth=1
	v_rcp_iflag_f32_e32 v2, v32
	s_sub_co_i32 s76, 0, s44
	s_delay_alu instid0(TRANS32_DEP_1) | instskip(NEXT) | instid1(VALU_DEP_1)
	v_mul_f32_e32 v2, 0x4f7ffffe, v2
	v_cvt_u32_f32_e32 v2, v2
	s_wait_alu 0xfffe
	s_delay_alu instid0(VALU_DEP_1) | instskip(NEXT) | instid1(VALU_DEP_1)
	v_mul_lo_u32 v17, s76, v2
	v_mul_hi_u32 v17, v2, v17
	s_delay_alu instid0(VALU_DEP_1) | instskip(NEXT) | instid1(VALU_DEP_1)
	v_add_nc_u32_e32 v2, v2, v17
	v_mul_hi_u32 v2, v23, v2
	s_delay_alu instid0(VALU_DEP_1) | instskip(SKIP_1) | instid1(VALU_DEP_2)
	v_mul_lo_u32 v17, v2, s44
	v_add_nc_u32_e32 v18, 1, v2
	v_sub_nc_u32_e32 v17, v23, v17
	s_delay_alu instid0(VALU_DEP_1) | instskip(SKIP_2) | instid1(VALU_DEP_2)
	v_subrev_nc_u32_e32 v19, s44, v17
	v_cmp_le_u32_e32 vcc_lo, s44, v17
	s_wait_alu 0xfffd
	v_dual_cndmask_b32 v17, v17, v19 :: v_dual_cndmask_b32 v2, v2, v18
	s_delay_alu instid0(VALU_DEP_1) | instskip(NEXT) | instid1(VALU_DEP_2)
	v_cmp_le_u32_e32 vcc_lo, s44, v17
	v_add_nc_u32_e32 v18, 1, v2
	s_wait_alu 0xfffd
	s_delay_alu instid0(VALU_DEP_1)
	v_dual_cndmask_b32 v17, v2, v18 :: v_dual_mov_b32 v18, v1
.LBB23_35:                              ;   in Loop: Header=BB23_3 Depth=1
	s_wait_alu 0xfffe
	s_or_b32 exec_lo, exec_lo, s0
	v_or_b32_e32 v2, s45, v31
                                        ; implicit-def: $vgpr19_vgpr20
	s_mov_b32 s0, exec_lo
	s_delay_alu instid0(VALU_DEP_1)
	v_cmpx_ne_u64_e32 0, v[1:2]
	s_wait_alu 0xfffe
	s_xor_b32 s84, exec_lo, s0
	s_cbranch_execz .LBB23_37
; %bb.36:                               ;   in Loop: Header=BB23_3 Depth=1
	s_ashr_i32 s76, s45, 31
	v_add_co_u32 v2, vcc_lo, v30, v22
	s_wait_alu 0xfffe
	s_mov_b32 s77, s76
	s_wait_alu 0xfffd
	v_add_co_ci_u32_e64 v19, null, v31, v22, vcc_lo
	s_wait_alu 0xfffe
	s_add_nc_u64 s[78:79], s[44:45], s[76:77]
	v_xor_b32_e32 v2, v2, v22
	s_wait_alu 0xfffe
	s_xor_b64 s[78:79], s[78:79], s[76:77]
	v_xor_b32_e32 v21, v19, v22
	s_wait_alu 0xfffe
	s_cvt_f32_u32 s0, s78
	s_cvt_f32_u32 s77, s79
	s_sub_nc_u64 s[88:89], 0, s[78:79]
	s_wait_alu 0xfffe
	s_delay_alu instid0(SALU_CYCLE_1) | instskip(SKIP_1) | instid1(SALU_CYCLE_2)
	s_fmamk_f32 s0, s77, 0x4f800000, s0
	s_wait_alu 0xfffe
	v_s_rcp_f32 s0, s0
	s_delay_alu instid0(TRANS32_DEP_1) | instskip(SKIP_1) | instid1(SALU_CYCLE_2)
	s_mul_f32 s0, s0, 0x5f7ffffc
	s_wait_alu 0xfffe
	s_mul_f32 s77, s0, 0x2f800000
	s_wait_alu 0xfffe
	s_delay_alu instid0(SALU_CYCLE_2) | instskip(SKIP_1) | instid1(SALU_CYCLE_2)
	s_trunc_f32 s77, s77
	s_wait_alu 0xfffe
	s_fmamk_f32 s0, s77, 0xcf800000, s0
	s_cvt_u32_f32 s87, s77
	s_wait_alu 0xfffe
	s_delay_alu instid0(SALU_CYCLE_1) | instskip(NEXT) | instid1(SALU_CYCLE_3)
	s_cvt_u32_f32 s86, s0
	s_mul_u64 s[90:91], s[88:89], s[86:87]
	s_delay_alu instid0(SALU_CYCLE_1)
	s_mul_hi_u32 s93, s86, s91
	s_mul_i32 s92, s86, s91
	s_mul_hi_u32 s0, s86, s90
	s_mul_i32 s85, s87, s90
	s_wait_alu 0xfffe
	s_add_nc_u64 s[92:93], s[0:1], s[92:93]
	s_mul_hi_u32 s77, s87, s90
	s_mul_hi_u32 s94, s87, s91
	s_add_co_u32 s0, s92, s85
	s_wait_alu 0xfffe
	s_add_co_ci_u32 s0, s93, s77
	s_mul_i32 s90, s87, s91
	s_add_co_ci_u32 s91, s94, 0
	s_wait_alu 0xfffe
	s_add_nc_u64 s[90:91], s[0:1], s[90:91]
	s_delay_alu instid0(SALU_CYCLE_1) | instskip(SKIP_4) | instid1(SALU_CYCLE_1)
	s_add_co_u32 s86, s86, s90
	s_cselect_b32 s0, -1, 0
	s_wait_alu 0xfffe
	s_cmp_lg_u32 s0, 0
	s_add_co_ci_u32 s87, s87, s91
	s_mul_u64 s[88:89], s[88:89], s[86:87]
	s_delay_alu instid0(SALU_CYCLE_1)
	s_mul_hi_u32 s91, s86, s89
	s_mul_i32 s90, s86, s89
	s_mul_hi_u32 s0, s86, s88
	s_mul_i32 s85, s87, s88
	s_wait_alu 0xfffe
	s_add_nc_u64 s[90:91], s[0:1], s[90:91]
	s_mul_hi_u32 s77, s87, s88
	s_mul_hi_u32 s92, s87, s89
	s_add_co_u32 s0, s90, s85
	s_wait_alu 0xfffe
	s_add_co_ci_u32 s0, s91, s77
	s_mul_i32 s88, s87, s89
	s_add_co_ci_u32 s89, s92, 0
	s_wait_alu 0xfffe
	s_add_nc_u64 s[88:89], s[0:1], s[88:89]
	s_delay_alu instid0(SALU_CYCLE_1)
	s_add_co_u32 s0, s86, s88
	s_cselect_b32 s77, -1, 0
	s_wait_alu 0xfffe
	v_mul_hi_u32 v32, v2, s0
	s_cmp_lg_u32 s77, 0
	v_mad_co_u64_u32 v[23:24], null, v21, s0, 0
	s_add_co_ci_u32 s77, s87, s89
	s_wait_alu 0xfffe
	v_mad_co_u64_u32 v[19:20], null, v2, s77, 0
	v_mad_co_u64_u32 v[30:31], null, v21, s77, 0
	s_delay_alu instid0(VALU_DEP_2) | instskip(SKIP_1) | instid1(VALU_DEP_3)
	v_add_co_u32 v19, vcc_lo, v32, v19
	s_wait_alu 0xfffd
	v_add_co_ci_u32_e64 v20, null, 0, v20, vcc_lo
	s_delay_alu instid0(VALU_DEP_2) | instskip(SKIP_1) | instid1(VALU_DEP_2)
	v_add_co_u32 v19, vcc_lo, v19, v23
	s_wait_alu 0xfffd
	v_add_co_ci_u32_e32 v19, vcc_lo, v20, v24, vcc_lo
	s_wait_alu 0xfffd
	v_add_co_ci_u32_e32 v20, vcc_lo, 0, v31, vcc_lo
	s_delay_alu instid0(VALU_DEP_2) | instskip(SKIP_1) | instid1(VALU_DEP_2)
	v_add_co_u32 v23, vcc_lo, v19, v30
	s_wait_alu 0xfffd
	v_add_co_ci_u32_e64 v24, null, 0, v20, vcc_lo
	s_delay_alu instid0(VALU_DEP_2) | instskip(SKIP_1) | instid1(VALU_DEP_3)
	v_mul_lo_u32 v30, s79, v23
	v_mad_co_u64_u32 v[19:20], null, s78, v23, 0
	v_mul_lo_u32 v31, s78, v24
	s_delay_alu instid0(VALU_DEP_2) | instskip(NEXT) | instid1(VALU_DEP_2)
	v_sub_co_u32 v2, vcc_lo, v2, v19
	v_add3_u32 v20, v20, v31, v30
	s_delay_alu instid0(VALU_DEP_1) | instskip(SKIP_2) | instid1(VALU_DEP_2)
	v_sub_nc_u32_e32 v30, v21, v20
	s_wait_alu 0xfffd
	v_sub_co_ci_u32_e64 v20, null, v21, v20, vcc_lo
	v_subrev_co_ci_u32_e64 v19, null, s79, v30, vcc_lo
	v_add_co_u32 v30, s0, v23, 2
	s_wait_alu 0xf1ff
	v_add_co_ci_u32_e64 v31, null, 0, v24, s0
	v_sub_co_u32 v32, s0, v2, s78
	s_wait_alu 0xf1ff
	v_subrev_co_ci_u32_e64 v19, null, 0, v19, s0
	s_delay_alu instid0(VALU_DEP_2) | instskip(SKIP_2) | instid1(VALU_DEP_3)
	v_cmp_le_u32_e32 vcc_lo, s78, v32
	s_wait_alu 0xfffd
	v_cndmask_b32_e64 v21, 0, -1, vcc_lo
	v_cmp_le_u32_e32 vcc_lo, s79, v19
	s_wait_alu 0xfffd
	v_cndmask_b32_e64 v32, 0, -1, vcc_lo
	;; [unrolled: 3-line block ×4, first 2 shown]
	v_cmp_eq_u32_e32 vcc_lo, s79, v19
	s_wait_alu 0xfffd
	v_cndmask_b32_e32 v19, v32, v21, vcc_lo
	v_add_co_u32 v21, vcc_lo, v23, 1
	s_wait_alu 0xfffd
	v_add_co_ci_u32_e64 v32, null, 0, v24, vcc_lo
	v_cmp_eq_u32_e32 vcc_lo, s79, v20
	v_xor_b32_e32 v20, s76, v22
	s_wait_alu 0xfffd
	v_cndmask_b32_e32 v2, v33, v2, vcc_lo
	v_cmp_ne_u32_e32 vcc_lo, 0, v19
	s_delay_alu instid0(VALU_DEP_2) | instskip(SKIP_3) | instid1(VALU_DEP_1)
	v_cmp_ne_u32_e64 s0, 0, v2
	s_wait_alu 0xfffd
	v_dual_cndmask_b32 v19, v32, v31 :: v_dual_cndmask_b32 v2, v21, v30
                                        ; implicit-def: $vgpr32
                                        ; implicit-def: $vgpr30
	s_wait_alu 0xf1ff
	v_cndmask_b32_e64 v19, v24, v19, s0
	s_delay_alu instid0(VALU_DEP_2) | instskip(NEXT) | instid1(VALU_DEP_2)
	v_cndmask_b32_e64 v2, v23, v2, s0
	v_xor_b32_e32 v21, v19, v20
	s_delay_alu instid0(VALU_DEP_2) | instskip(NEXT) | instid1(VALU_DEP_1)
	v_xor_b32_e32 v2, v2, v20
	v_sub_co_u32 v19, vcc_lo, v2, v20
	s_wait_alu 0xfffd
	s_delay_alu instid0(VALU_DEP_3)
	v_sub_co_ci_u32_e64 v20, null, v21, v20, vcc_lo
.LBB23_37:                              ;   in Loop: Header=BB23_3 Depth=1
	s_and_not1_saveexec_b32 s0, s84
	s_cbranch_execz .LBB23_39
; %bb.38:                               ;   in Loop: Header=BB23_3 Depth=1
	v_rcp_iflag_f32_e32 v2, v32
	s_sub_co_i32 s76, 0, s44
	s_delay_alu instid0(TRANS32_DEP_1) | instskip(NEXT) | instid1(VALU_DEP_1)
	v_mul_f32_e32 v2, 0x4f7ffffe, v2
	v_cvt_u32_f32_e32 v2, v2
	s_wait_alu 0xfffe
	s_delay_alu instid0(VALU_DEP_1) | instskip(NEXT) | instid1(VALU_DEP_1)
	v_mul_lo_u32 v19, s76, v2
	v_mul_hi_u32 v19, v2, v19
	s_delay_alu instid0(VALU_DEP_1) | instskip(NEXT) | instid1(VALU_DEP_1)
	v_add_nc_u32_e32 v2, v2, v19
	v_mul_hi_u32 v2, v30, v2
	s_delay_alu instid0(VALU_DEP_1) | instskip(SKIP_1) | instid1(VALU_DEP_2)
	v_mul_lo_u32 v19, v2, s44
	v_add_nc_u32_e32 v20, 1, v2
	v_sub_nc_u32_e32 v19, v30, v19
	s_delay_alu instid0(VALU_DEP_1) | instskip(SKIP_2) | instid1(VALU_DEP_2)
	v_subrev_nc_u32_e32 v21, s44, v19
	v_cmp_le_u32_e32 vcc_lo, s44, v19
	s_wait_alu 0xfffd
	v_dual_cndmask_b32 v19, v19, v21 :: v_dual_cndmask_b32 v2, v2, v20
	s_delay_alu instid0(VALU_DEP_1) | instskip(NEXT) | instid1(VALU_DEP_2)
	v_cmp_le_u32_e32 vcc_lo, s44, v19
	v_add_nc_u32_e32 v20, 1, v2
	s_wait_alu 0xfffd
	s_delay_alu instid0(VALU_DEP_1)
	v_dual_cndmask_b32 v19, v2, v20 :: v_dual_mov_b32 v20, v1
.LBB23_39:                              ;   in Loop: Header=BB23_3 Depth=1
	s_wait_alu 0xfffe
	s_or_b32 exec_lo, exec_lo, s0
	v_or_b32_e32 v2, s51, v4
                                        ; implicit-def: $vgpr21_vgpr22
	s_mov_b32 s0, exec_lo
	s_delay_alu instid0(VALU_DEP_1)
	v_cmpx_ne_u64_e32 0, v[1:2]
	s_wait_alu 0xfffe
	s_xor_b32 s84, exec_lo, s0
	s_cbranch_execz .LBB23_41
; %bb.40:                               ;   in Loop: Header=BB23_3 Depth=1
	s_ashr_i32 s76, s51, 31
	v_ashrrev_i32_e32 v2, 31, v4
	s_wait_alu 0xfffe
	s_mov_b32 s77, s76
	s_wait_alu 0xfffe
	s_add_nc_u64 s[78:79], s[50:51], s[76:77]
	v_add_co_u32 v21, vcc_lo, v3, v2
	s_wait_alu 0xfffe
	s_xor_b64 s[78:79], s[78:79], s[76:77]
	s_wait_alu 0xfffd
	v_add_co_ci_u32_e64 v22, null, v4, v2, vcc_lo
	s_wait_alu 0xfffe
	s_cvt_f32_u32 s0, s78
	s_cvt_f32_u32 s77, s79
	s_sub_nc_u64 s[88:89], 0, s[78:79]
	v_xor_b32_e32 v32, v21, v2
	v_xor_b32_e32 v33, v22, v2
	s_wait_alu 0xfffe
	s_fmamk_f32 s0, s77, 0x4f800000, s0
	v_xor_b32_e32 v2, s76, v2
	s_wait_alu 0xfffe
	s_delay_alu instid0(SALU_CYCLE_1) | instskip(NEXT) | instid1(TRANS32_DEP_1)
	v_s_rcp_f32 s0, s0
	s_mul_f32 s0, s0, 0x5f7ffffc
	s_wait_alu 0xfffe
	s_delay_alu instid0(SALU_CYCLE_2) | instskip(SKIP_1) | instid1(SALU_CYCLE_2)
	s_mul_f32 s77, s0, 0x2f800000
	s_wait_alu 0xfffe
	s_trunc_f32 s77, s77
	s_wait_alu 0xfffe
	s_delay_alu instid0(SALU_CYCLE_2) | instskip(SKIP_2) | instid1(SALU_CYCLE_1)
	s_fmamk_f32 s0, s77, 0xcf800000, s0
	s_cvt_u32_f32 s87, s77
	s_wait_alu 0xfffe
	s_cvt_u32_f32 s86, s0
	s_delay_alu instid0(SALU_CYCLE_3) | instskip(NEXT) | instid1(SALU_CYCLE_1)
	s_mul_u64 s[90:91], s[88:89], s[86:87]
	s_mul_hi_u32 s93, s86, s91
	s_mul_i32 s92, s86, s91
	s_mul_hi_u32 s0, s86, s90
	s_mul_i32 s85, s87, s90
	s_wait_alu 0xfffe
	s_add_nc_u64 s[92:93], s[0:1], s[92:93]
	s_mul_hi_u32 s77, s87, s90
	s_mul_hi_u32 s94, s87, s91
	s_add_co_u32 s0, s92, s85
	s_wait_alu 0xfffe
	s_add_co_ci_u32 s0, s93, s77
	s_mul_i32 s90, s87, s91
	s_add_co_ci_u32 s91, s94, 0
	s_wait_alu 0xfffe
	s_add_nc_u64 s[90:91], s[0:1], s[90:91]
	s_delay_alu instid0(SALU_CYCLE_1) | instskip(SKIP_4) | instid1(SALU_CYCLE_1)
	s_add_co_u32 s86, s86, s90
	s_cselect_b32 s0, -1, 0
	s_wait_alu 0xfffe
	s_cmp_lg_u32 s0, 0
	s_add_co_ci_u32 s87, s87, s91
	s_mul_u64 s[88:89], s[88:89], s[86:87]
	s_delay_alu instid0(SALU_CYCLE_1)
	s_mul_hi_u32 s91, s86, s89
	s_mul_i32 s90, s86, s89
	s_mul_hi_u32 s0, s86, s88
	s_mul_i32 s85, s87, s88
	s_wait_alu 0xfffe
	s_add_nc_u64 s[90:91], s[0:1], s[90:91]
	s_mul_hi_u32 s77, s87, s88
	s_mul_hi_u32 s92, s87, s89
	s_add_co_u32 s0, s90, s85
	s_wait_alu 0xfffe
	s_add_co_ci_u32 s0, s91, s77
	s_mul_i32 s88, s87, s89
	s_add_co_ci_u32 s89, s92, 0
	s_wait_alu 0xfffe
	s_add_nc_u64 s[88:89], s[0:1], s[88:89]
	s_delay_alu instid0(SALU_CYCLE_1)
	s_add_co_u32 s0, s86, s88
	s_cselect_b32 s77, -1, 0
	s_wait_alu 0xfffe
	v_mul_hi_u32 v34, v32, s0
	s_cmp_lg_u32 s77, 0
	v_mad_co_u64_u32 v[23:24], null, v33, s0, 0
	s_add_co_ci_u32 s77, s87, s89
	s_wait_alu 0xfffe
	v_mad_co_u64_u32 v[21:22], null, v32, s77, 0
	v_mad_co_u64_u32 v[30:31], null, v33, s77, 0
	s_delay_alu instid0(VALU_DEP_2) | instskip(SKIP_1) | instid1(VALU_DEP_3)
	v_add_co_u32 v21, vcc_lo, v34, v21
	s_wait_alu 0xfffd
	v_add_co_ci_u32_e64 v22, null, 0, v22, vcc_lo
	s_delay_alu instid0(VALU_DEP_2) | instskip(SKIP_1) | instid1(VALU_DEP_2)
	v_add_co_u32 v21, vcc_lo, v21, v23
	s_wait_alu 0xfffd
	v_add_co_ci_u32_e32 v21, vcc_lo, v22, v24, vcc_lo
	s_wait_alu 0xfffd
	v_add_co_ci_u32_e32 v22, vcc_lo, 0, v31, vcc_lo
	s_delay_alu instid0(VALU_DEP_2) | instskip(SKIP_1) | instid1(VALU_DEP_2)
	v_add_co_u32 v23, vcc_lo, v21, v30
	s_wait_alu 0xfffd
	v_add_co_ci_u32_e64 v24, null, 0, v22, vcc_lo
	s_delay_alu instid0(VALU_DEP_2) | instskip(SKIP_1) | instid1(VALU_DEP_3)
	v_mul_lo_u32 v30, s79, v23
	v_mad_co_u64_u32 v[21:22], null, s78, v23, 0
	v_mul_lo_u32 v31, s78, v24
	s_delay_alu instid0(VALU_DEP_2) | instskip(NEXT) | instid1(VALU_DEP_2)
	v_sub_co_u32 v21, vcc_lo, v32, v21
	v_add3_u32 v22, v22, v31, v30
	v_add_co_u32 v31, s0, v23, 2
	s_wait_alu 0xf1ff
	v_add_co_ci_u32_e64 v32, null, 0, v24, s0
	s_delay_alu instid0(VALU_DEP_3) | instskip(SKIP_3) | instid1(VALU_DEP_3)
	v_sub_nc_u32_e32 v30, v33, v22
	v_sub_co_u32 v34, s0, v21, s78
	s_wait_alu 0xfffd
	v_sub_co_ci_u32_e64 v22, null, v33, v22, vcc_lo
	v_subrev_co_ci_u32_e64 v30, null, s79, v30, vcc_lo
	s_delay_alu instid0(VALU_DEP_3) | instskip(SKIP_1) | instid1(VALU_DEP_2)
	v_cmp_le_u32_e32 vcc_lo, s78, v34
	s_wait_alu 0xf1ff
	v_subrev_co_ci_u32_e64 v30, null, 0, v30, s0
	s_wait_alu 0xfffd
	v_cndmask_b32_e64 v33, 0, -1, vcc_lo
	s_delay_alu instid0(VALU_DEP_2)
	v_cmp_le_u32_e32 vcc_lo, s79, v30
	s_wait_alu 0xfffd
	v_cndmask_b32_e64 v34, 0, -1, vcc_lo
	v_cmp_le_u32_e32 vcc_lo, s78, v21
	s_wait_alu 0xfffd
	v_cndmask_b32_e64 v21, 0, -1, vcc_lo
	;; [unrolled: 3-line block ×3, first 2 shown]
	v_cmp_eq_u32_e32 vcc_lo, s79, v30
	s_wait_alu 0xfffd
	v_cndmask_b32_e32 v30, v34, v33, vcc_lo
	v_add_co_u32 v33, vcc_lo, v23, 1
	s_wait_alu 0xfffd
	v_add_co_ci_u32_e64 v34, null, 0, v24, vcc_lo
	v_cmp_eq_u32_e32 vcc_lo, s79, v22
	s_wait_alu 0xfffd
	v_cndmask_b32_e32 v21, v35, v21, vcc_lo
	v_cmp_ne_u32_e32 vcc_lo, 0, v30
	s_wait_alu 0xfffd
	v_cndmask_b32_e32 v22, v34, v32, vcc_lo
	s_delay_alu instid0(VALU_DEP_3) | instskip(SKIP_2) | instid1(VALU_DEP_2)
	v_cmp_ne_u32_e64 s0, 0, v21
	v_cndmask_b32_e32 v21, v33, v31, vcc_lo
	s_wait_alu 0xf1ff
	v_cndmask_b32_e64 v22, v24, v22, s0
	s_delay_alu instid0(VALU_DEP_2) | instskip(NEXT) | instid1(VALU_DEP_2)
	v_cndmask_b32_e64 v21, v23, v21, s0
	v_xor_b32_e32 v22, v22, v2
	s_delay_alu instid0(VALU_DEP_2) | instskip(NEXT) | instid1(VALU_DEP_1)
	v_xor_b32_e32 v21, v21, v2
	v_sub_co_u32 v21, vcc_lo, v21, v2
	s_wait_alu 0xfffd
	s_delay_alu instid0(VALU_DEP_3)
	v_sub_co_ci_u32_e64 v22, null, v22, v2, vcc_lo
.LBB23_41:                              ;   in Loop: Header=BB23_3 Depth=1
	s_and_not1_saveexec_b32 s0, s84
	s_cbranch_execz .LBB23_43
; %bb.42:                               ;   in Loop: Header=BB23_3 Depth=1
	v_cvt_f32_u32_e32 v2, s50
	s_sub_co_i32 s76, 0, s50
	s_delay_alu instid0(VALU_DEP_1) | instskip(NEXT) | instid1(TRANS32_DEP_1)
	v_rcp_iflag_f32_e32 v2, v2
	v_mul_f32_e32 v2, 0x4f7ffffe, v2
	s_delay_alu instid0(VALU_DEP_1) | instskip(SKIP_1) | instid1(VALU_DEP_1)
	v_cvt_u32_f32_e32 v2, v2
	s_wait_alu 0xfffe
	v_mul_lo_u32 v21, s76, v2
	s_delay_alu instid0(VALU_DEP_1) | instskip(NEXT) | instid1(VALU_DEP_1)
	v_mul_hi_u32 v21, v2, v21
	v_add_nc_u32_e32 v2, v2, v21
	s_delay_alu instid0(VALU_DEP_1) | instskip(NEXT) | instid1(VALU_DEP_1)
	v_mul_hi_u32 v2, v3, v2
	v_mul_lo_u32 v21, v2, s50
	v_add_nc_u32_e32 v22, 1, v2
	s_delay_alu instid0(VALU_DEP_2) | instskip(NEXT) | instid1(VALU_DEP_1)
	v_sub_nc_u32_e32 v21, v3, v21
	v_subrev_nc_u32_e32 v23, s50, v21
	v_cmp_le_u32_e32 vcc_lo, s50, v21
	s_wait_alu 0xfffd
	s_delay_alu instid0(VALU_DEP_2) | instskip(NEXT) | instid1(VALU_DEP_1)
	v_dual_cndmask_b32 v21, v21, v23 :: v_dual_cndmask_b32 v2, v2, v22
	v_cmp_le_u32_e32 vcc_lo, s50, v21
	s_delay_alu instid0(VALU_DEP_2) | instskip(SKIP_1) | instid1(VALU_DEP_1)
	v_add_nc_u32_e32 v22, 1, v2
	s_wait_alu 0xfffd
	v_dual_cndmask_b32 v21, v2, v22 :: v_dual_mov_b32 v22, v1
.LBB23_43:                              ;   in Loop: Header=BB23_3 Depth=1
	s_wait_alu 0xfffe
	s_or_b32 exec_lo, exec_lo, s0
	s_delay_alu instid0(VALU_DEP_1) | instskip(NEXT) | instid1(VALU_DEP_2)
	v_mad_co_u64_u32 v[23:24], null, s66, v21, v[3:4]
	v_mul_lo_u32 v2, s66, v22
	v_mul_lo_u32 v30, s67, v21
	;; [unrolled: 1-line block ×4, first 2 shown]
	v_mad_co_u64_u32 v[21:22], null, v21, s20, 0
	s_mov_b32 s0, exec_lo
	v_add3_u32 v2, v30, v24, v2
	v_mul_lo_u32 v30, v23, s23
	v_mad_co_u64_u32 v[23:24], null, v23, s22, 0
	v_add3_u32 v22, v22, v32, v31
	s_delay_alu instid0(VALU_DEP_4) | instskip(NEXT) | instid1(VALU_DEP_2)
	v_mul_lo_u32 v2, v2, s22
	v_lshlrev_b64_e32 v[21:22], 2, v[21:22]
	s_delay_alu instid0(VALU_DEP_2) | instskip(NEXT) | instid1(VALU_DEP_2)
	v_add3_u32 v24, v24, v30, v2
	v_add_co_u32 v2, vcc_lo, s48, v21
	s_wait_alu 0xfffd
	s_delay_alu instid0(VALU_DEP_3) | instskip(NEXT) | instid1(VALU_DEP_3)
	v_add_co_ci_u32_e64 v22, null, s49, v22, vcc_lo
	v_lshlrev_b64_e32 v[23:24], 2, v[23:24]
	s_delay_alu instid0(VALU_DEP_1) | instskip(SKIP_1) | instid1(VALU_DEP_2)
	v_add_co_u32 v21, vcc_lo, v2, v23
	s_wait_alu 0xfffd
	v_add_co_ci_u32_e64 v22, null, v22, v24, vcc_lo
	v_or_b32_e32 v2, s55, v4
	global_load_b32 v30, v[21:22], off
                                        ; implicit-def: $vgpr21_vgpr22
	v_cmpx_ne_u64_e32 0, v[1:2]
	s_wait_alu 0xfffe
	s_xor_b32 s84, exec_lo, s0
	s_cbranch_execz .LBB23_45
; %bb.44:                               ;   in Loop: Header=BB23_3 Depth=1
	s_ashr_i32 s76, s55, 31
	v_ashrrev_i32_e32 v2, 31, v4
	s_wait_alu 0xfffe
	s_mov_b32 s77, s76
	s_wait_alu 0xfffe
	s_add_nc_u64 s[78:79], s[54:55], s[76:77]
	v_add_co_u32 v21, vcc_lo, v3, v2
	s_wait_alu 0xfffe
	s_xor_b64 s[78:79], s[78:79], s[76:77]
	s_wait_alu 0xfffd
	v_add_co_ci_u32_e64 v22, null, v4, v2, vcc_lo
	s_wait_alu 0xfffe
	s_cvt_f32_u32 s0, s78
	s_cvt_f32_u32 s77, s79
	s_sub_nc_u64 s[88:89], 0, s[78:79]
	v_xor_b32_e32 v33, v21, v2
	v_xor_b32_e32 v34, v22, v2
	s_wait_alu 0xfffe
	s_fmamk_f32 s0, s77, 0x4f800000, s0
	v_xor_b32_e32 v2, s76, v2
	s_wait_alu 0xfffe
	s_delay_alu instid0(SALU_CYCLE_1) | instskip(NEXT) | instid1(TRANS32_DEP_1)
	v_s_rcp_f32 s0, s0
	s_mul_f32 s0, s0, 0x5f7ffffc
	s_wait_alu 0xfffe
	s_delay_alu instid0(SALU_CYCLE_2) | instskip(SKIP_1) | instid1(SALU_CYCLE_2)
	s_mul_f32 s77, s0, 0x2f800000
	s_wait_alu 0xfffe
	s_trunc_f32 s77, s77
	s_wait_alu 0xfffe
	s_delay_alu instid0(SALU_CYCLE_2) | instskip(SKIP_2) | instid1(SALU_CYCLE_1)
	s_fmamk_f32 s0, s77, 0xcf800000, s0
	s_cvt_u32_f32 s87, s77
	s_wait_alu 0xfffe
	s_cvt_u32_f32 s86, s0
	s_delay_alu instid0(SALU_CYCLE_3) | instskip(NEXT) | instid1(SALU_CYCLE_1)
	s_mul_u64 s[90:91], s[88:89], s[86:87]
	s_mul_hi_u32 s93, s86, s91
	s_mul_i32 s92, s86, s91
	s_mul_hi_u32 s0, s86, s90
	s_mul_i32 s85, s87, s90
	s_wait_alu 0xfffe
	s_add_nc_u64 s[92:93], s[0:1], s[92:93]
	s_mul_hi_u32 s77, s87, s90
	s_mul_hi_u32 s94, s87, s91
	s_add_co_u32 s0, s92, s85
	s_wait_alu 0xfffe
	s_add_co_ci_u32 s0, s93, s77
	s_mul_i32 s90, s87, s91
	s_add_co_ci_u32 s91, s94, 0
	s_wait_alu 0xfffe
	s_add_nc_u64 s[90:91], s[0:1], s[90:91]
	s_delay_alu instid0(SALU_CYCLE_1) | instskip(SKIP_4) | instid1(SALU_CYCLE_1)
	s_add_co_u32 s86, s86, s90
	s_cselect_b32 s0, -1, 0
	s_wait_alu 0xfffe
	s_cmp_lg_u32 s0, 0
	s_add_co_ci_u32 s87, s87, s91
	s_mul_u64 s[88:89], s[88:89], s[86:87]
	s_delay_alu instid0(SALU_CYCLE_1)
	s_mul_hi_u32 s91, s86, s89
	s_mul_i32 s90, s86, s89
	s_mul_hi_u32 s0, s86, s88
	s_mul_i32 s85, s87, s88
	s_wait_alu 0xfffe
	s_add_nc_u64 s[90:91], s[0:1], s[90:91]
	s_mul_hi_u32 s77, s87, s88
	s_mul_hi_u32 s92, s87, s89
	s_add_co_u32 s0, s90, s85
	s_wait_alu 0xfffe
	s_add_co_ci_u32 s0, s91, s77
	s_mul_i32 s88, s87, s89
	s_add_co_ci_u32 s89, s92, 0
	s_wait_alu 0xfffe
	s_add_nc_u64 s[88:89], s[0:1], s[88:89]
	s_delay_alu instid0(SALU_CYCLE_1)
	s_add_co_u32 s0, s86, s88
	s_cselect_b32 s77, -1, 0
	s_wait_alu 0xfffe
	v_mul_hi_u32 v35, v33, s0
	s_cmp_lg_u32 s77, 0
	v_mad_co_u64_u32 v[23:24], null, v34, s0, 0
	s_add_co_ci_u32 s77, s87, s89
	s_wait_alu 0xfffe
	v_mad_co_u64_u32 v[21:22], null, v33, s77, 0
	v_mad_co_u64_u32 v[31:32], null, v34, s77, 0
	s_delay_alu instid0(VALU_DEP_2) | instskip(SKIP_1) | instid1(VALU_DEP_3)
	v_add_co_u32 v21, vcc_lo, v35, v21
	s_wait_alu 0xfffd
	v_add_co_ci_u32_e64 v22, null, 0, v22, vcc_lo
	s_delay_alu instid0(VALU_DEP_2) | instskip(SKIP_1) | instid1(VALU_DEP_2)
	v_add_co_u32 v21, vcc_lo, v21, v23
	s_wait_alu 0xfffd
	v_add_co_ci_u32_e32 v21, vcc_lo, v22, v24, vcc_lo
	s_wait_alu 0xfffd
	v_add_co_ci_u32_e32 v22, vcc_lo, 0, v32, vcc_lo
	s_delay_alu instid0(VALU_DEP_2) | instskip(SKIP_1) | instid1(VALU_DEP_2)
	v_add_co_u32 v23, vcc_lo, v21, v31
	s_wait_alu 0xfffd
	v_add_co_ci_u32_e64 v24, null, 0, v22, vcc_lo
	s_delay_alu instid0(VALU_DEP_2) | instskip(SKIP_1) | instid1(VALU_DEP_3)
	v_mul_lo_u32 v31, s79, v23
	v_mad_co_u64_u32 v[21:22], null, s78, v23, 0
	v_mul_lo_u32 v32, s78, v24
	s_delay_alu instid0(VALU_DEP_2) | instskip(NEXT) | instid1(VALU_DEP_2)
	v_sub_co_u32 v21, vcc_lo, v33, v21
	v_add3_u32 v22, v22, v32, v31
	v_add_co_u32 v32, s0, v23, 2
	s_wait_alu 0xf1ff
	v_add_co_ci_u32_e64 v33, null, 0, v24, s0
	s_delay_alu instid0(VALU_DEP_3) | instskip(SKIP_3) | instid1(VALU_DEP_3)
	v_sub_nc_u32_e32 v31, v34, v22
	v_sub_co_u32 v35, s0, v21, s78
	s_wait_alu 0xfffd
	v_sub_co_ci_u32_e64 v22, null, v34, v22, vcc_lo
	v_subrev_co_ci_u32_e64 v31, null, s79, v31, vcc_lo
	s_delay_alu instid0(VALU_DEP_3) | instskip(SKIP_1) | instid1(VALU_DEP_2)
	v_cmp_le_u32_e32 vcc_lo, s78, v35
	s_wait_alu 0xf1ff
	v_subrev_co_ci_u32_e64 v31, null, 0, v31, s0
	s_wait_alu 0xfffd
	v_cndmask_b32_e64 v34, 0, -1, vcc_lo
	s_delay_alu instid0(VALU_DEP_2)
	v_cmp_le_u32_e32 vcc_lo, s79, v31
	s_wait_alu 0xfffd
	v_cndmask_b32_e64 v35, 0, -1, vcc_lo
	v_cmp_le_u32_e32 vcc_lo, s78, v21
	s_wait_alu 0xfffd
	v_cndmask_b32_e64 v21, 0, -1, vcc_lo
	v_cmp_le_u32_e32 vcc_lo, s79, v22
	s_wait_alu 0xfffd
	v_cndmask_b32_e64 v36, 0, -1, vcc_lo
	v_cmp_eq_u32_e32 vcc_lo, s79, v31
	s_wait_alu 0xfffd
	v_cndmask_b32_e32 v31, v35, v34, vcc_lo
	v_add_co_u32 v34, vcc_lo, v23, 1
	s_wait_alu 0xfffd
	v_add_co_ci_u32_e64 v35, null, 0, v24, vcc_lo
	v_cmp_eq_u32_e32 vcc_lo, s79, v22
	s_wait_alu 0xfffd
	v_cndmask_b32_e32 v21, v36, v21, vcc_lo
	v_cmp_ne_u32_e32 vcc_lo, 0, v31
	s_delay_alu instid0(VALU_DEP_2) | instskip(SKIP_3) | instid1(VALU_DEP_1)
	v_cmp_ne_u32_e64 s0, 0, v21
	s_wait_alu 0xfffd
	v_dual_cndmask_b32 v22, v35, v33 :: v_dual_cndmask_b32 v21, v34, v32
	s_wait_alu 0xf1ff
	v_cndmask_b32_e64 v22, v24, v22, s0
	s_delay_alu instid0(VALU_DEP_2) | instskip(NEXT) | instid1(VALU_DEP_2)
	v_cndmask_b32_e64 v21, v23, v21, s0
	v_xor_b32_e32 v22, v22, v2
	s_delay_alu instid0(VALU_DEP_2) | instskip(NEXT) | instid1(VALU_DEP_1)
	v_xor_b32_e32 v21, v21, v2
	v_sub_co_u32 v21, vcc_lo, v21, v2
	s_wait_alu 0xfffd
	s_delay_alu instid0(VALU_DEP_3)
	v_sub_co_ci_u32_e64 v22, null, v22, v2, vcc_lo
.LBB23_45:                              ;   in Loop: Header=BB23_3 Depth=1
	s_and_not1_saveexec_b32 s0, s84
	s_cbranch_execz .LBB23_47
; %bb.46:                               ;   in Loop: Header=BB23_3 Depth=1
	v_cvt_f32_u32_e32 v2, s54
	s_sub_co_i32 s76, 0, s54
	s_delay_alu instid0(VALU_DEP_1) | instskip(NEXT) | instid1(TRANS32_DEP_1)
	v_rcp_iflag_f32_e32 v2, v2
	v_mul_f32_e32 v2, 0x4f7ffffe, v2
	s_delay_alu instid0(VALU_DEP_1) | instskip(SKIP_1) | instid1(VALU_DEP_1)
	v_cvt_u32_f32_e32 v2, v2
	s_wait_alu 0xfffe
	v_mul_lo_u32 v21, s76, v2
	s_delay_alu instid0(VALU_DEP_1) | instskip(NEXT) | instid1(VALU_DEP_1)
	v_mul_hi_u32 v21, v2, v21
	v_add_nc_u32_e32 v2, v2, v21
	s_delay_alu instid0(VALU_DEP_1) | instskip(NEXT) | instid1(VALU_DEP_1)
	v_mul_hi_u32 v2, v3, v2
	v_mul_lo_u32 v21, v2, s54
	v_add_nc_u32_e32 v22, 1, v2
	s_delay_alu instid0(VALU_DEP_2) | instskip(NEXT) | instid1(VALU_DEP_1)
	v_sub_nc_u32_e32 v21, v3, v21
	v_subrev_nc_u32_e32 v23, s54, v21
	v_cmp_le_u32_e32 vcc_lo, s54, v21
	s_wait_alu 0xfffd
	s_delay_alu instid0(VALU_DEP_2) | instskip(NEXT) | instid1(VALU_DEP_1)
	v_dual_cndmask_b32 v21, v21, v23 :: v_dual_cndmask_b32 v2, v2, v22
	v_cmp_le_u32_e32 vcc_lo, s54, v21
	s_delay_alu instid0(VALU_DEP_2) | instskip(SKIP_1) | instid1(VALU_DEP_1)
	v_add_nc_u32_e32 v22, 1, v2
	s_wait_alu 0xfffd
	v_dual_cndmask_b32 v21, v2, v22 :: v_dual_mov_b32 v22, v1
.LBB23_47:                              ;   in Loop: Header=BB23_3 Depth=1
	s_wait_alu 0xfffe
	s_or_b32 exec_lo, exec_lo, s0
	s_delay_alu instid0(VALU_DEP_1) | instskip(NEXT) | instid1(VALU_DEP_2)
	v_mad_co_u64_u32 v[23:24], null, s68, v21, v[3:4]
	v_mul_lo_u32 v2, s68, v22
	v_mul_lo_u32 v31, s69, v21
	;; [unrolled: 1-line block ×4, first 2 shown]
	v_mad_co_u64_u32 v[21:22], null, v21, s24, 0
	s_mov_b32 s0, exec_lo
	v_add3_u32 v2, v31, v24, v2
	v_mul_lo_u32 v31, v23, s27
	v_mad_co_u64_u32 v[23:24], null, v23, s26, 0
	v_add3_u32 v22, v22, v33, v32
	s_delay_alu instid0(VALU_DEP_4) | instskip(NEXT) | instid1(VALU_DEP_2)
	v_mul_lo_u32 v2, v2, s26
	v_lshlrev_b64_e32 v[21:22], 2, v[21:22]
	s_delay_alu instid0(VALU_DEP_2) | instskip(NEXT) | instid1(VALU_DEP_2)
	v_add3_u32 v24, v24, v31, v2
	v_add_co_u32 v2, vcc_lo, s52, v21
	s_wait_alu 0xfffd
	s_delay_alu instid0(VALU_DEP_3) | instskip(NEXT) | instid1(VALU_DEP_3)
	v_add_co_ci_u32_e64 v22, null, s53, v22, vcc_lo
	v_lshlrev_b64_e32 v[23:24], 2, v[23:24]
	s_delay_alu instid0(VALU_DEP_1) | instskip(SKIP_1) | instid1(VALU_DEP_2)
	v_add_co_u32 v21, vcc_lo, v2, v23
	s_wait_alu 0xfffd
	v_add_co_ci_u32_e64 v22, null, v22, v24, vcc_lo
	v_or_b32_e32 v2, s61, v4
	global_load_b32 v31, v[21:22], off
                                        ; implicit-def: $vgpr21_vgpr22
	v_cmpx_ne_u64_e32 0, v[1:2]
	s_wait_alu 0xfffe
	s_xor_b32 s84, exec_lo, s0
	s_cbranch_execz .LBB23_63
; %bb.48:                               ;   in Loop: Header=BB23_3 Depth=1
	s_ashr_i32 s76, s61, 31
	v_ashrrev_i32_e32 v2, 31, v4
	s_wait_alu 0xfffe
	s_mov_b32 s77, s76
	s_wait_alu 0xfffe
	s_add_nc_u64 s[78:79], s[60:61], s[76:77]
	v_add_co_u32 v21, vcc_lo, v3, v2
	s_wait_alu 0xfffe
	s_xor_b64 s[78:79], s[78:79], s[76:77]
	s_wait_alu 0xfffd
	v_add_co_ci_u32_e64 v22, null, v4, v2, vcc_lo
	s_wait_alu 0xfffe
	s_cvt_f32_u32 s0, s78
	s_cvt_f32_u32 s77, s79
	s_sub_nc_u64 s[88:89], 0, s[78:79]
	v_xor_b32_e32 v34, v21, v2
	v_xor_b32_e32 v35, v22, v2
	s_wait_alu 0xfffe
	s_fmamk_f32 s0, s77, 0x4f800000, s0
	v_xor_b32_e32 v2, s76, v2
	s_wait_alu 0xfffe
	s_delay_alu instid0(SALU_CYCLE_1) | instskip(NEXT) | instid1(TRANS32_DEP_1)
	v_s_rcp_f32 s0, s0
	s_mul_f32 s0, s0, 0x5f7ffffc
	s_wait_alu 0xfffe
	s_delay_alu instid0(SALU_CYCLE_2) | instskip(SKIP_1) | instid1(SALU_CYCLE_2)
	s_mul_f32 s77, s0, 0x2f800000
	s_wait_alu 0xfffe
	s_trunc_f32 s77, s77
	s_wait_alu 0xfffe
	s_delay_alu instid0(SALU_CYCLE_2) | instskip(SKIP_2) | instid1(SALU_CYCLE_1)
	s_fmamk_f32 s0, s77, 0xcf800000, s0
	s_cvt_u32_f32 s87, s77
	s_wait_alu 0xfffe
	s_cvt_u32_f32 s86, s0
	s_delay_alu instid0(SALU_CYCLE_3) | instskip(NEXT) | instid1(SALU_CYCLE_1)
	s_mul_u64 s[90:91], s[88:89], s[86:87]
	s_mul_hi_u32 s93, s86, s91
	s_mul_i32 s92, s86, s91
	s_mul_hi_u32 s0, s86, s90
	s_mul_i32 s85, s87, s90
	s_wait_alu 0xfffe
	s_add_nc_u64 s[92:93], s[0:1], s[92:93]
	s_mul_hi_u32 s77, s87, s90
	s_mul_hi_u32 s94, s87, s91
	s_add_co_u32 s0, s92, s85
	s_wait_alu 0xfffe
	s_add_co_ci_u32 s0, s93, s77
	s_mul_i32 s90, s87, s91
	s_add_co_ci_u32 s91, s94, 0
	s_wait_alu 0xfffe
	s_add_nc_u64 s[90:91], s[0:1], s[90:91]
	s_delay_alu instid0(SALU_CYCLE_1) | instskip(SKIP_4) | instid1(SALU_CYCLE_1)
	s_add_co_u32 s86, s86, s90
	s_cselect_b32 s0, -1, 0
	s_wait_alu 0xfffe
	s_cmp_lg_u32 s0, 0
	s_add_co_ci_u32 s87, s87, s91
	s_mul_u64 s[88:89], s[88:89], s[86:87]
	s_delay_alu instid0(SALU_CYCLE_1)
	s_mul_hi_u32 s91, s86, s89
	s_mul_i32 s90, s86, s89
	s_mul_hi_u32 s0, s86, s88
	s_mul_i32 s85, s87, s88
	s_wait_alu 0xfffe
	s_add_nc_u64 s[90:91], s[0:1], s[90:91]
	s_mul_hi_u32 s77, s87, s88
	s_mul_hi_u32 s92, s87, s89
	s_add_co_u32 s0, s90, s85
	s_wait_alu 0xfffe
	s_add_co_ci_u32 s0, s91, s77
	s_mul_i32 s88, s87, s89
	s_add_co_ci_u32 s89, s92, 0
	s_wait_alu 0xfffe
	s_add_nc_u64 s[88:89], s[0:1], s[88:89]
	s_delay_alu instid0(SALU_CYCLE_1)
	s_add_co_u32 s0, s86, s88
	s_cselect_b32 s77, -1, 0
	s_wait_alu 0xfffe
	v_mul_hi_u32 v36, v34, s0
	s_cmp_lg_u32 s77, 0
	v_mad_co_u64_u32 v[23:24], null, v35, s0, 0
	s_add_co_ci_u32 s77, s87, s89
	s_wait_alu 0xfffe
	v_mad_co_u64_u32 v[21:22], null, v34, s77, 0
	v_mad_co_u64_u32 v[32:33], null, v35, s77, 0
	s_delay_alu instid0(VALU_DEP_2) | instskip(SKIP_1) | instid1(VALU_DEP_3)
	v_add_co_u32 v21, vcc_lo, v36, v21
	s_wait_alu 0xfffd
	v_add_co_ci_u32_e64 v22, null, 0, v22, vcc_lo
	s_delay_alu instid0(VALU_DEP_2) | instskip(SKIP_1) | instid1(VALU_DEP_2)
	v_add_co_u32 v21, vcc_lo, v21, v23
	s_wait_alu 0xfffd
	v_add_co_ci_u32_e32 v21, vcc_lo, v22, v24, vcc_lo
	s_wait_alu 0xfffd
	v_add_co_ci_u32_e32 v22, vcc_lo, 0, v33, vcc_lo
	s_delay_alu instid0(VALU_DEP_2) | instskip(SKIP_1) | instid1(VALU_DEP_2)
	v_add_co_u32 v23, vcc_lo, v21, v32
	s_wait_alu 0xfffd
	v_add_co_ci_u32_e64 v24, null, 0, v22, vcc_lo
	s_delay_alu instid0(VALU_DEP_2) | instskip(SKIP_1) | instid1(VALU_DEP_3)
	v_mul_lo_u32 v32, s79, v23
	v_mad_co_u64_u32 v[21:22], null, s78, v23, 0
	v_mul_lo_u32 v33, s78, v24
	s_delay_alu instid0(VALU_DEP_2) | instskip(NEXT) | instid1(VALU_DEP_2)
	v_sub_co_u32 v21, vcc_lo, v34, v21
	v_add3_u32 v22, v22, v33, v32
	v_add_co_u32 v33, s0, v23, 2
	s_wait_alu 0xf1ff
	v_add_co_ci_u32_e64 v34, null, 0, v24, s0
	s_delay_alu instid0(VALU_DEP_3) | instskip(SKIP_3) | instid1(VALU_DEP_3)
	v_sub_nc_u32_e32 v32, v35, v22
	v_sub_co_u32 v36, s0, v21, s78
	s_wait_alu 0xfffd
	v_sub_co_ci_u32_e64 v22, null, v35, v22, vcc_lo
	v_subrev_co_ci_u32_e64 v32, null, s79, v32, vcc_lo
	s_delay_alu instid0(VALU_DEP_3) | instskip(SKIP_1) | instid1(VALU_DEP_2)
	v_cmp_le_u32_e32 vcc_lo, s78, v36
	s_wait_alu 0xf1ff
	v_subrev_co_ci_u32_e64 v32, null, 0, v32, s0
	s_wait_alu 0xfffd
	v_cndmask_b32_e64 v35, 0, -1, vcc_lo
	s_delay_alu instid0(VALU_DEP_2)
	v_cmp_le_u32_e32 vcc_lo, s79, v32
	s_wait_alu 0xfffd
	v_cndmask_b32_e64 v36, 0, -1, vcc_lo
	v_cmp_le_u32_e32 vcc_lo, s78, v21
	s_wait_alu 0xfffd
	v_cndmask_b32_e64 v21, 0, -1, vcc_lo
	;; [unrolled: 3-line block ×3, first 2 shown]
	v_cmp_eq_u32_e32 vcc_lo, s79, v32
	s_wait_alu 0xfffd
	v_cndmask_b32_e32 v32, v36, v35, vcc_lo
	v_add_co_u32 v35, vcc_lo, v23, 1
	s_wait_alu 0xfffd
	v_add_co_ci_u32_e64 v36, null, 0, v24, vcc_lo
	v_cmp_eq_u32_e32 vcc_lo, s79, v22
	s_wait_alu 0xfffd
	v_cndmask_b32_e32 v21, v37, v21, vcc_lo
	v_cmp_ne_u32_e32 vcc_lo, 0, v32
	s_delay_alu instid0(VALU_DEP_2) | instskip(SKIP_3) | instid1(VALU_DEP_1)
	v_cmp_ne_u32_e64 s0, 0, v21
	s_wait_alu 0xfffd
	v_dual_cndmask_b32 v22, v36, v34 :: v_dual_cndmask_b32 v21, v35, v33
	s_wait_alu 0xf1ff
	v_cndmask_b32_e64 v22, v24, v22, s0
	s_delay_alu instid0(VALU_DEP_2) | instskip(NEXT) | instid1(VALU_DEP_2)
	v_cndmask_b32_e64 v21, v23, v21, s0
	v_xor_b32_e32 v22, v22, v2
	s_delay_alu instid0(VALU_DEP_2) | instskip(NEXT) | instid1(VALU_DEP_1)
	v_xor_b32_e32 v21, v21, v2
	v_sub_co_u32 v21, vcc_lo, v21, v2
	s_wait_alu 0xfffd
	s_delay_alu instid0(VALU_DEP_3)
	v_sub_co_ci_u32_e64 v22, null, v22, v2, vcc_lo
	s_and_not1_saveexec_b32 s0, s84
	s_cbranch_execnz .LBB23_64
.LBB23_49:                              ;   in Loop: Header=BB23_3 Depth=1
	s_wait_alu 0xfffe
	s_or_b32 exec_lo, exec_lo, s0
	s_delay_alu instid0(SALU_CYCLE_1)
	s_and_not1_b32 vcc_lo, exec_lo, s33
	s_wait_alu 0xfffe
	s_cbranch_vccnz .LBB23_65
.LBB23_50:                              ;   in Loop: Header=BB23_3 Depth=1
	v_or_b32_e32 v2, s57, v4
                                        ; implicit-def: $vgpr23_vgpr24
	s_mov_b32 s0, exec_lo
	s_delay_alu instid0(VALU_DEP_1)
	v_cmpx_ne_u64_e32 0, v[1:2]
	s_wait_alu 0xfffe
	s_xor_b32 s84, exec_lo, s0
	s_cbranch_execz .LBB23_52
; %bb.51:                               ;   in Loop: Header=BB23_3 Depth=1
	s_ashr_i32 s76, s57, 31
	v_ashrrev_i32_e32 v2, 31, v4
	s_wait_alu 0xfffe
	s_mov_b32 s77, s76
	s_wait_alu 0xfffe
	s_add_nc_u64 s[78:79], s[56:57], s[76:77]
	v_add_co_u32 v23, vcc_lo, v3, v2
	s_wait_alu 0xfffe
	s_xor_b64 s[78:79], s[78:79], s[76:77]
	s_wait_alu 0xfffd
	v_add_co_ci_u32_e64 v24, null, v4, v2, vcc_lo
	s_wait_alu 0xfffe
	s_cvt_f32_u32 s0, s78
	s_cvt_f32_u32 s77, s79
	s_sub_nc_u64 s[88:89], 0, s[78:79]
	v_xor_b32_e32 v36, v23, v2
	v_xor_b32_e32 v37, v24, v2
	s_wait_alu 0xfffe
	s_fmamk_f32 s0, s77, 0x4f800000, s0
	v_xor_b32_e32 v2, s76, v2
	s_wait_alu 0xfffe
	s_delay_alu instid0(SALU_CYCLE_1) | instskip(NEXT) | instid1(TRANS32_DEP_1)
	v_s_rcp_f32 s0, s0
	s_mul_f32 s0, s0, 0x5f7ffffc
	s_wait_alu 0xfffe
	s_delay_alu instid0(SALU_CYCLE_2) | instskip(SKIP_1) | instid1(SALU_CYCLE_2)
	s_mul_f32 s77, s0, 0x2f800000
	s_wait_alu 0xfffe
	s_trunc_f32 s77, s77
	s_wait_alu 0xfffe
	s_delay_alu instid0(SALU_CYCLE_2) | instskip(SKIP_2) | instid1(SALU_CYCLE_1)
	s_fmamk_f32 s0, s77, 0xcf800000, s0
	s_cvt_u32_f32 s87, s77
	s_wait_alu 0xfffe
	s_cvt_u32_f32 s86, s0
	s_delay_alu instid0(SALU_CYCLE_3) | instskip(NEXT) | instid1(SALU_CYCLE_1)
	s_mul_u64 s[90:91], s[88:89], s[86:87]
	s_mul_hi_u32 s93, s86, s91
	s_mul_i32 s92, s86, s91
	s_mul_hi_u32 s0, s86, s90
	s_mul_i32 s85, s87, s90
	s_wait_alu 0xfffe
	s_add_nc_u64 s[92:93], s[0:1], s[92:93]
	s_mul_hi_u32 s77, s87, s90
	s_mul_hi_u32 s94, s87, s91
	s_add_co_u32 s0, s92, s85
	s_wait_alu 0xfffe
	s_add_co_ci_u32 s0, s93, s77
	s_mul_i32 s90, s87, s91
	s_add_co_ci_u32 s91, s94, 0
	s_wait_alu 0xfffe
	s_add_nc_u64 s[90:91], s[0:1], s[90:91]
	s_delay_alu instid0(SALU_CYCLE_1) | instskip(SKIP_4) | instid1(SALU_CYCLE_1)
	s_add_co_u32 s86, s86, s90
	s_cselect_b32 s0, -1, 0
	s_wait_alu 0xfffe
	s_cmp_lg_u32 s0, 0
	s_add_co_ci_u32 s87, s87, s91
	s_mul_u64 s[88:89], s[88:89], s[86:87]
	s_delay_alu instid0(SALU_CYCLE_1)
	s_mul_hi_u32 s91, s86, s89
	s_mul_i32 s90, s86, s89
	s_mul_hi_u32 s0, s86, s88
	s_mul_i32 s85, s87, s88
	s_wait_alu 0xfffe
	s_add_nc_u64 s[90:91], s[0:1], s[90:91]
	s_mul_hi_u32 s77, s87, s88
	s_mul_hi_u32 s92, s87, s89
	s_add_co_u32 s0, s90, s85
	s_wait_alu 0xfffe
	s_add_co_ci_u32 s0, s91, s77
	s_mul_i32 s88, s87, s89
	s_add_co_ci_u32 s89, s92, 0
	s_wait_alu 0xfffe
	s_add_nc_u64 s[88:89], s[0:1], s[88:89]
	s_delay_alu instid0(SALU_CYCLE_1)
	s_add_co_u32 s0, s86, s88
	s_cselect_b32 s77, -1, 0
	s_wait_alu 0xfffe
	v_mul_hi_u32 v38, v36, s0
	s_cmp_lg_u32 s77, 0
	v_mad_co_u64_u32 v[32:33], null, v37, s0, 0
	s_add_co_ci_u32 s77, s87, s89
	s_wait_alu 0xfffe
	v_mad_co_u64_u32 v[23:24], null, v36, s77, 0
	v_mad_co_u64_u32 v[34:35], null, v37, s77, 0
	s_delay_alu instid0(VALU_DEP_2) | instskip(SKIP_1) | instid1(VALU_DEP_3)
	v_add_co_u32 v23, vcc_lo, v38, v23
	s_wait_alu 0xfffd
	v_add_co_ci_u32_e64 v24, null, 0, v24, vcc_lo
	s_delay_alu instid0(VALU_DEP_2) | instskip(SKIP_1) | instid1(VALU_DEP_2)
	v_add_co_u32 v23, vcc_lo, v23, v32
	s_wait_alu 0xfffd
	v_add_co_ci_u32_e32 v23, vcc_lo, v24, v33, vcc_lo
	s_wait_alu 0xfffd
	v_add_co_ci_u32_e32 v24, vcc_lo, 0, v35, vcc_lo
	s_delay_alu instid0(VALU_DEP_2) | instskip(SKIP_1) | instid1(VALU_DEP_2)
	v_add_co_u32 v32, vcc_lo, v23, v34
	s_wait_alu 0xfffd
	v_add_co_ci_u32_e64 v33, null, 0, v24, vcc_lo
	s_delay_alu instid0(VALU_DEP_2) | instskip(SKIP_1) | instid1(VALU_DEP_3)
	v_mul_lo_u32 v34, s79, v32
	v_mad_co_u64_u32 v[23:24], null, s78, v32, 0
	v_mul_lo_u32 v35, s78, v33
	s_delay_alu instid0(VALU_DEP_2) | instskip(NEXT) | instid1(VALU_DEP_2)
	v_sub_co_u32 v23, vcc_lo, v36, v23
	v_add3_u32 v24, v24, v35, v34
	v_add_co_u32 v35, s0, v32, 2
	s_wait_alu 0xf1ff
	v_add_co_ci_u32_e64 v36, null, 0, v33, s0
	s_delay_alu instid0(VALU_DEP_3) | instskip(SKIP_3) | instid1(VALU_DEP_3)
	v_sub_nc_u32_e32 v34, v37, v24
	v_sub_co_u32 v38, s0, v23, s78
	s_wait_alu 0xfffd
	v_sub_co_ci_u32_e64 v24, null, v37, v24, vcc_lo
	v_subrev_co_ci_u32_e64 v34, null, s79, v34, vcc_lo
	s_delay_alu instid0(VALU_DEP_3) | instskip(SKIP_1) | instid1(VALU_DEP_2)
	v_cmp_le_u32_e32 vcc_lo, s78, v38
	s_wait_alu 0xf1ff
	v_subrev_co_ci_u32_e64 v34, null, 0, v34, s0
	s_wait_alu 0xfffd
	v_cndmask_b32_e64 v37, 0, -1, vcc_lo
	s_delay_alu instid0(VALU_DEP_2)
	v_cmp_le_u32_e32 vcc_lo, s79, v34
	s_wait_alu 0xfffd
	v_cndmask_b32_e64 v38, 0, -1, vcc_lo
	v_cmp_le_u32_e32 vcc_lo, s78, v23
	s_wait_alu 0xfffd
	v_cndmask_b32_e64 v23, 0, -1, vcc_lo
	;; [unrolled: 3-line block ×3, first 2 shown]
	v_cmp_eq_u32_e32 vcc_lo, s79, v34
	s_wait_alu 0xfffd
	v_cndmask_b32_e32 v34, v38, v37, vcc_lo
	v_add_co_u32 v37, vcc_lo, v32, 1
	s_wait_alu 0xfffd
	v_add_co_ci_u32_e64 v38, null, 0, v33, vcc_lo
	v_cmp_eq_u32_e32 vcc_lo, s79, v24
	s_wait_alu 0xfffd
	v_cndmask_b32_e32 v23, v39, v23, vcc_lo
	v_cmp_ne_u32_e32 vcc_lo, 0, v34
	s_delay_alu instid0(VALU_DEP_2) | instskip(SKIP_3) | instid1(VALU_DEP_1)
	v_cmp_ne_u32_e64 s0, 0, v23
	s_wait_alu 0xfffd
	v_dual_cndmask_b32 v24, v38, v36 :: v_dual_cndmask_b32 v23, v37, v35
	s_wait_alu 0xf1ff
	v_cndmask_b32_e64 v24, v33, v24, s0
	s_delay_alu instid0(VALU_DEP_2) | instskip(NEXT) | instid1(VALU_DEP_2)
	v_cndmask_b32_e64 v23, v32, v23, s0
	v_xor_b32_e32 v24, v24, v2
	s_delay_alu instid0(VALU_DEP_2) | instskip(NEXT) | instid1(VALU_DEP_1)
	v_xor_b32_e32 v23, v23, v2
	v_sub_co_u32 v23, vcc_lo, v23, v2
	s_wait_alu 0xfffd
	s_delay_alu instid0(VALU_DEP_3)
	v_sub_co_ci_u32_e64 v24, null, v24, v2, vcc_lo
.LBB23_52:                              ;   in Loop: Header=BB23_3 Depth=1
	s_and_not1_saveexec_b32 s0, s84
	s_cbranch_execz .LBB23_54
; %bb.53:                               ;   in Loop: Header=BB23_3 Depth=1
	v_cvt_f32_u32_e32 v2, s56
	s_sub_co_i32 s76, 0, s56
	s_delay_alu instid0(VALU_DEP_1) | instskip(NEXT) | instid1(TRANS32_DEP_1)
	v_rcp_iflag_f32_e32 v2, v2
	v_mul_f32_e32 v2, 0x4f7ffffe, v2
	s_delay_alu instid0(VALU_DEP_1) | instskip(SKIP_1) | instid1(VALU_DEP_1)
	v_cvt_u32_f32_e32 v2, v2
	s_wait_alu 0xfffe
	v_mul_lo_u32 v23, s76, v2
	s_delay_alu instid0(VALU_DEP_1) | instskip(NEXT) | instid1(VALU_DEP_1)
	v_mul_hi_u32 v23, v2, v23
	v_add_nc_u32_e32 v2, v2, v23
	s_delay_alu instid0(VALU_DEP_1) | instskip(NEXT) | instid1(VALU_DEP_1)
	v_mul_hi_u32 v2, v3, v2
	v_mul_lo_u32 v23, v2, s56
	v_add_nc_u32_e32 v24, 1, v2
	s_delay_alu instid0(VALU_DEP_2) | instskip(NEXT) | instid1(VALU_DEP_1)
	v_sub_nc_u32_e32 v23, v3, v23
	v_subrev_nc_u32_e32 v32, s56, v23
	v_cmp_le_u32_e32 vcc_lo, s56, v23
	s_wait_alu 0xfffd
	s_delay_alu instid0(VALU_DEP_2) | instskip(SKIP_1) | instid1(VALU_DEP_2)
	v_cndmask_b32_e32 v23, v23, v32, vcc_lo
	v_cndmask_b32_e32 v2, v2, v24, vcc_lo
	v_cmp_le_u32_e32 vcc_lo, s56, v23
	s_delay_alu instid0(VALU_DEP_2) | instskip(SKIP_1) | instid1(VALU_DEP_1)
	v_add_nc_u32_e32 v24, 1, v2
	s_wait_alu 0xfffd
	v_dual_cndmask_b32 v23, v2, v24 :: v_dual_mov_b32 v24, v1
.LBB23_54:                              ;   in Loop: Header=BB23_3 Depth=1
	s_wait_alu 0xfffe
	s_or_b32 exec_lo, exec_lo, s0
	s_delay_alu instid0(VALU_DEP_1) | instskip(NEXT) | instid1(VALU_DEP_2)
	v_mad_co_u64_u32 v[32:33], null, s72, v23, v[3:4]
	v_mul_lo_u32 v2, s72, v24
	v_mul_lo_u32 v34, s73, v23
	;; [unrolled: 1-line block ×4, first 2 shown]
	v_mad_co_u64_u32 v[23:24], null, v23, s16, 0
	s_delay_alu instid0(VALU_DEP_4) | instskip(SKIP_2) | instid1(VALU_DEP_4)
	v_add3_u32 v2, v34, v33, v2
	v_mul_lo_u32 v34, v32, s19
	v_mad_co_u64_u32 v[32:33], null, v32, s18, 0
	v_add3_u32 v24, v24, v36, v35
	s_delay_alu instid0(VALU_DEP_4) | instskip(NEXT) | instid1(VALU_DEP_2)
	v_mul_lo_u32 v2, v2, s18
	v_lshlrev_b64_e32 v[23:24], 2, v[23:24]
	s_delay_alu instid0(VALU_DEP_2) | instskip(NEXT) | instid1(VALU_DEP_2)
	v_add3_u32 v33, v33, v34, v2
	v_add_co_u32 v2, vcc_lo, s42, v23
	s_wait_alu 0xfffd
	s_delay_alu instid0(VALU_DEP_3) | instskip(NEXT) | instid1(VALU_DEP_3)
	v_add_co_ci_u32_e64 v24, null, s43, v24, vcc_lo
	v_lshlrev_b64_e32 v[32:33], 2, v[32:33]
	s_delay_alu instid0(VALU_DEP_1) | instskip(SKIP_1) | instid1(VALU_DEP_2)
	v_add_co_u32 v23, vcc_lo, v2, v32
	s_wait_alu 0xfffd
	v_add_co_ci_u32_e64 v24, null, v24, v33, vcc_lo
	global_load_b32 v32, v[23:24], off
	s_and_not1_b32 vcc_lo, exec_lo, s80
	s_wait_alu 0xfffe
	s_cbranch_vccnz .LBB23_66
.LBB23_55:                              ;   in Loop: Header=BB23_3 Depth=1
	v_or_b32_e32 v2, s63, v4
                                        ; implicit-def: $vgpr23_vgpr24
	s_mov_b32 s0, exec_lo
	s_delay_alu instid0(VALU_DEP_1)
	v_cmpx_ne_u64_e32 0, v[1:2]
	s_wait_alu 0xfffe
	s_xor_b32 s84, exec_lo, s0
	s_cbranch_execz .LBB23_57
; %bb.56:                               ;   in Loop: Header=BB23_3 Depth=1
	s_ashr_i32 s76, s63, 31
	v_ashrrev_i32_e32 v2, 31, v4
	s_wait_alu 0xfffe
	s_mov_b32 s77, s76
	s_wait_alu 0xfffe
	s_add_nc_u64 s[78:79], s[62:63], s[76:77]
	v_add_co_u32 v23, vcc_lo, v3, v2
	s_wait_alu 0xfffe
	s_xor_b64 s[78:79], s[78:79], s[76:77]
	s_wait_alu 0xfffd
	v_add_co_ci_u32_e64 v24, null, v4, v2, vcc_lo
	s_wait_alu 0xfffe
	s_cvt_f32_u32 s0, s78
	s_cvt_f32_u32 s77, s79
	s_sub_nc_u64 s[88:89], 0, s[78:79]
	v_xor_b32_e32 v37, v23, v2
	v_xor_b32_e32 v38, v24, v2
	s_wait_alu 0xfffe
	s_fmamk_f32 s0, s77, 0x4f800000, s0
	v_xor_b32_e32 v2, s76, v2
	s_wait_alu 0xfffe
	s_delay_alu instid0(SALU_CYCLE_1) | instskip(NEXT) | instid1(TRANS32_DEP_1)
	v_s_rcp_f32 s0, s0
	s_mul_f32 s0, s0, 0x5f7ffffc
	s_wait_alu 0xfffe
	s_delay_alu instid0(SALU_CYCLE_2) | instskip(SKIP_1) | instid1(SALU_CYCLE_2)
	s_mul_f32 s77, s0, 0x2f800000
	s_wait_alu 0xfffe
	s_trunc_f32 s77, s77
	s_wait_alu 0xfffe
	s_delay_alu instid0(SALU_CYCLE_2) | instskip(SKIP_2) | instid1(SALU_CYCLE_1)
	s_fmamk_f32 s0, s77, 0xcf800000, s0
	s_cvt_u32_f32 s87, s77
	s_wait_alu 0xfffe
	s_cvt_u32_f32 s86, s0
	s_delay_alu instid0(SALU_CYCLE_3) | instskip(NEXT) | instid1(SALU_CYCLE_1)
	s_mul_u64 s[90:91], s[88:89], s[86:87]
	s_mul_hi_u32 s93, s86, s91
	s_mul_i32 s92, s86, s91
	s_mul_hi_u32 s0, s86, s90
	s_mul_i32 s85, s87, s90
	s_wait_alu 0xfffe
	s_add_nc_u64 s[92:93], s[0:1], s[92:93]
	s_mul_hi_u32 s77, s87, s90
	s_mul_hi_u32 s94, s87, s91
	s_add_co_u32 s0, s92, s85
	s_wait_alu 0xfffe
	s_add_co_ci_u32 s0, s93, s77
	s_mul_i32 s90, s87, s91
	s_add_co_ci_u32 s91, s94, 0
	s_wait_alu 0xfffe
	s_add_nc_u64 s[90:91], s[0:1], s[90:91]
	s_delay_alu instid0(SALU_CYCLE_1) | instskip(SKIP_4) | instid1(SALU_CYCLE_1)
	s_add_co_u32 s86, s86, s90
	s_cselect_b32 s0, -1, 0
	s_wait_alu 0xfffe
	s_cmp_lg_u32 s0, 0
	s_add_co_ci_u32 s87, s87, s91
	s_mul_u64 s[88:89], s[88:89], s[86:87]
	s_delay_alu instid0(SALU_CYCLE_1)
	s_mul_hi_u32 s91, s86, s89
	s_mul_i32 s90, s86, s89
	s_mul_hi_u32 s0, s86, s88
	s_mul_i32 s85, s87, s88
	s_wait_alu 0xfffe
	s_add_nc_u64 s[90:91], s[0:1], s[90:91]
	s_mul_hi_u32 s77, s87, s88
	s_mul_hi_u32 s92, s87, s89
	s_add_co_u32 s0, s90, s85
	s_wait_alu 0xfffe
	s_add_co_ci_u32 s0, s91, s77
	s_mul_i32 s88, s87, s89
	s_add_co_ci_u32 s89, s92, 0
	s_wait_alu 0xfffe
	s_add_nc_u64 s[88:89], s[0:1], s[88:89]
	s_delay_alu instid0(SALU_CYCLE_1)
	s_add_co_u32 s0, s86, s88
	s_cselect_b32 s77, -1, 0
	s_wait_alu 0xfffe
	v_mul_hi_u32 v39, v37, s0
	s_cmp_lg_u32 s77, 0
	v_mad_co_u64_u32 v[33:34], null, v38, s0, 0
	s_add_co_ci_u32 s77, s87, s89
	s_wait_alu 0xfffe
	v_mad_co_u64_u32 v[23:24], null, v37, s77, 0
	v_mad_co_u64_u32 v[35:36], null, v38, s77, 0
	s_delay_alu instid0(VALU_DEP_2) | instskip(SKIP_1) | instid1(VALU_DEP_3)
	v_add_co_u32 v23, vcc_lo, v39, v23
	s_wait_alu 0xfffd
	v_add_co_ci_u32_e64 v24, null, 0, v24, vcc_lo
	s_delay_alu instid0(VALU_DEP_2) | instskip(SKIP_1) | instid1(VALU_DEP_2)
	v_add_co_u32 v23, vcc_lo, v23, v33
	s_wait_alu 0xfffd
	v_add_co_ci_u32_e32 v23, vcc_lo, v24, v34, vcc_lo
	s_wait_alu 0xfffd
	v_add_co_ci_u32_e32 v24, vcc_lo, 0, v36, vcc_lo
	s_delay_alu instid0(VALU_DEP_2) | instskip(SKIP_1) | instid1(VALU_DEP_2)
	v_add_co_u32 v33, vcc_lo, v23, v35
	s_wait_alu 0xfffd
	v_add_co_ci_u32_e64 v34, null, 0, v24, vcc_lo
	s_delay_alu instid0(VALU_DEP_2) | instskip(SKIP_1) | instid1(VALU_DEP_3)
	v_mul_lo_u32 v35, s79, v33
	v_mad_co_u64_u32 v[23:24], null, s78, v33, 0
	v_mul_lo_u32 v36, s78, v34
	s_delay_alu instid0(VALU_DEP_2) | instskip(NEXT) | instid1(VALU_DEP_2)
	v_sub_co_u32 v23, vcc_lo, v37, v23
	v_add3_u32 v24, v24, v36, v35
	v_add_co_u32 v36, s0, v33, 2
	s_wait_alu 0xf1ff
	v_add_co_ci_u32_e64 v37, null, 0, v34, s0
	s_delay_alu instid0(VALU_DEP_3) | instskip(SKIP_3) | instid1(VALU_DEP_3)
	v_sub_nc_u32_e32 v35, v38, v24
	v_sub_co_u32 v39, s0, v23, s78
	s_wait_alu 0xfffd
	v_sub_co_ci_u32_e64 v24, null, v38, v24, vcc_lo
	v_subrev_co_ci_u32_e64 v35, null, s79, v35, vcc_lo
	s_delay_alu instid0(VALU_DEP_3) | instskip(SKIP_1) | instid1(VALU_DEP_2)
	v_cmp_le_u32_e32 vcc_lo, s78, v39
	s_wait_alu 0xf1ff
	v_subrev_co_ci_u32_e64 v35, null, 0, v35, s0
	s_wait_alu 0xfffd
	v_cndmask_b32_e64 v38, 0, -1, vcc_lo
	s_delay_alu instid0(VALU_DEP_2)
	v_cmp_le_u32_e32 vcc_lo, s79, v35
	s_wait_alu 0xfffd
	v_cndmask_b32_e64 v39, 0, -1, vcc_lo
	v_cmp_le_u32_e32 vcc_lo, s78, v23
	s_wait_alu 0xfffd
	v_cndmask_b32_e64 v23, 0, -1, vcc_lo
	;; [unrolled: 3-line block ×3, first 2 shown]
	v_cmp_eq_u32_e32 vcc_lo, s79, v35
	s_wait_alu 0xfffd
	v_cndmask_b32_e32 v35, v39, v38, vcc_lo
	v_add_co_u32 v38, vcc_lo, v33, 1
	s_wait_alu 0xfffd
	v_add_co_ci_u32_e64 v39, null, 0, v34, vcc_lo
	v_cmp_eq_u32_e32 vcc_lo, s79, v24
	s_wait_alu 0xfffd
	v_cndmask_b32_e32 v23, v40, v23, vcc_lo
	v_cmp_ne_u32_e32 vcc_lo, 0, v35
	s_wait_alu 0xfffd
	v_cndmask_b32_e32 v24, v39, v37, vcc_lo
	s_delay_alu instid0(VALU_DEP_3) | instskip(SKIP_2) | instid1(VALU_DEP_2)
	v_cmp_ne_u32_e64 s0, 0, v23
	v_cndmask_b32_e32 v23, v38, v36, vcc_lo
	s_wait_alu 0xf1ff
	v_cndmask_b32_e64 v24, v34, v24, s0
	s_delay_alu instid0(VALU_DEP_2) | instskip(NEXT) | instid1(VALU_DEP_2)
	v_cndmask_b32_e64 v23, v33, v23, s0
	v_xor_b32_e32 v24, v24, v2
	s_delay_alu instid0(VALU_DEP_2) | instskip(NEXT) | instid1(VALU_DEP_1)
	v_xor_b32_e32 v23, v23, v2
	v_sub_co_u32 v23, vcc_lo, v23, v2
	s_wait_alu 0xfffd
	s_delay_alu instid0(VALU_DEP_3)
	v_sub_co_ci_u32_e64 v24, null, v24, v2, vcc_lo
.LBB23_57:                              ;   in Loop: Header=BB23_3 Depth=1
	s_and_not1_saveexec_b32 s0, s84
	s_cbranch_execz .LBB23_59
; %bb.58:                               ;   in Loop: Header=BB23_3 Depth=1
	v_cvt_f32_u32_e32 v2, s62
	s_sub_co_i32 s76, 0, s62
	s_delay_alu instid0(VALU_DEP_1) | instskip(NEXT) | instid1(TRANS32_DEP_1)
	v_rcp_iflag_f32_e32 v2, v2
	v_mul_f32_e32 v2, 0x4f7ffffe, v2
	s_delay_alu instid0(VALU_DEP_1) | instskip(SKIP_1) | instid1(VALU_DEP_1)
	v_cvt_u32_f32_e32 v2, v2
	s_wait_alu 0xfffe
	v_mul_lo_u32 v23, s76, v2
	s_delay_alu instid0(VALU_DEP_1) | instskip(NEXT) | instid1(VALU_DEP_1)
	v_mul_hi_u32 v23, v2, v23
	v_add_nc_u32_e32 v2, v2, v23
	s_delay_alu instid0(VALU_DEP_1) | instskip(NEXT) | instid1(VALU_DEP_1)
	v_mul_hi_u32 v2, v3, v2
	v_mul_lo_u32 v23, v2, s62
	v_add_nc_u32_e32 v24, 1, v2
	s_delay_alu instid0(VALU_DEP_2) | instskip(NEXT) | instid1(VALU_DEP_1)
	v_sub_nc_u32_e32 v23, v3, v23
	v_subrev_nc_u32_e32 v33, s62, v23
	v_cmp_le_u32_e32 vcc_lo, s62, v23
	s_wait_alu 0xfffd
	s_delay_alu instid0(VALU_DEP_2) | instskip(NEXT) | instid1(VALU_DEP_1)
	v_dual_cndmask_b32 v23, v23, v33 :: v_dual_cndmask_b32 v2, v2, v24
	v_cmp_le_u32_e32 vcc_lo, s62, v23
	s_delay_alu instid0(VALU_DEP_2) | instskip(SKIP_1) | instid1(VALU_DEP_1)
	v_add_nc_u32_e32 v24, 1, v2
	s_wait_alu 0xfffd
	v_dual_cndmask_b32 v23, v2, v24 :: v_dual_mov_b32 v24, v1
.LBB23_59:                              ;   in Loop: Header=BB23_3 Depth=1
	s_wait_alu 0xfffe
	s_or_b32 exec_lo, exec_lo, s0
	s_delay_alu instid0(VALU_DEP_1) | instskip(NEXT) | instid1(VALU_DEP_2)
	v_mad_co_u64_u32 v[33:34], null, s74, v23, v[3:4]
	v_mul_lo_u32 v2, s74, v24
	v_mul_lo_u32 v35, s75, v23
	;; [unrolled: 1-line block ×4, first 2 shown]
	v_mad_co_u64_u32 v[23:24], null, v23, s28, 0
	s_delay_alu instid0(VALU_DEP_4) | instskip(SKIP_2) | instid1(VALU_DEP_4)
	v_add3_u32 v2, v35, v34, v2
	v_mul_lo_u32 v35, v33, s31
	v_mad_co_u64_u32 v[33:34], null, v33, s30, 0
	v_add3_u32 v24, v24, v37, v36
	s_delay_alu instid0(VALU_DEP_4) | instskip(NEXT) | instid1(VALU_DEP_2)
	v_mul_lo_u32 v2, v2, s30
	v_lshlrev_b64_e32 v[23:24], 2, v[23:24]
	s_delay_alu instid0(VALU_DEP_2) | instskip(NEXT) | instid1(VALU_DEP_2)
	v_add3_u32 v34, v34, v35, v2
	v_add_co_u32 v2, vcc_lo, s46, v23
	s_wait_alu 0xfffd
	s_delay_alu instid0(VALU_DEP_3) | instskip(NEXT) | instid1(VALU_DEP_3)
	v_add_co_ci_u32_e64 v24, null, s47, v24, vcc_lo
	v_lshlrev_b64_e32 v[33:34], 2, v[33:34]
	s_delay_alu instid0(VALU_DEP_1) | instskip(SKIP_1) | instid1(VALU_DEP_2)
	v_add_co_u32 v23, vcc_lo, v2, v33
	s_wait_alu 0xfffd
	v_add_co_ci_u32_e64 v24, null, v24, v34, vcc_lo
	global_load_b32 v2, v[23:24], off
	s_wait_loadcnt 0x1
	v_cmp_ngt_f32_e64 s0, 0x3f200000, |v31|
                                        ; implicit-def: $vgpr23
	s_and_saveexec_b32 s76, s0
	s_wait_alu 0xfffe
	s_xor_b32 s0, exec_lo, s76
	s_cbranch_execz .LBB23_61
.LBB23_60:                              ;   in Loop: Header=BB23_3 Depth=1
	v_add_f32_e64 v23, |v31|, |v31|
	s_delay_alu instid0(VALU_DEP_1) | instskip(SKIP_1) | instid1(VALU_DEP_2)
	v_mul_f32_e32 v24, 0x3fb8aa3b, v23
	v_cmp_ngt_f32_e32 vcc_lo, 0xc2ce8ed0, v23
	v_rndne_f32_e32 v33, v24
	v_fma_f32 v34, 0x3fb8aa3b, v23, -v24
	s_delay_alu instid0(VALU_DEP_2) | instskip(NEXT) | instid1(VALU_DEP_2)
	v_sub_f32_e32 v24, v24, v33
	v_fmac_f32_e32 v34, 0x32a5705f, v23
	v_cvt_i32_f32_e32 v33, v33
	s_delay_alu instid0(VALU_DEP_2) | instskip(NEXT) | instid1(VALU_DEP_1)
	v_add_f32_e32 v24, v24, v34
	v_exp_f32_e32 v24, v24
	s_delay_alu instid0(TRANS32_DEP_1) | instskip(SKIP_1) | instid1(VALU_DEP_1)
	v_ldexp_f32 v24, v24, v33
	s_wait_alu 0xfffd
	v_cndmask_b32_e32 v24, 0, v24, vcc_lo
	v_cmp_nlt_f32_e32 vcc_lo, 0x42b17218, v23
	s_wait_alu 0xfffd
	s_delay_alu instid0(VALU_DEP_2) | instskip(NEXT) | instid1(VALU_DEP_1)
	v_cndmask_b32_e32 v23, 0x7f800000, v24, vcc_lo
	v_add_f32_e32 v23, 1.0, v23
	s_delay_alu instid0(VALU_DEP_1) | instskip(NEXT) | instid1(TRANS32_DEP_1)
	v_rcp_f32_e32 v23, v23
	v_fma_f32 v23, v23, -2.0, 1.0
.LBB23_61:                              ;   in Loop: Header=BB23_3 Depth=1
	s_wait_alu 0xfffe
	s_and_not1_saveexec_b32 s0, s0
	s_cbranch_execz .LBB23_2
; %bb.62:                               ;   in Loop: Header=BB23_3 Depth=1
	v_mul_f32_e32 v23, v31, v31
	s_delay_alu instid0(VALU_DEP_1) | instskip(NEXT) | instid1(VALU_DEP_1)
	v_fmaak_f32 v24, s82, v23, 0x3ca908c9
	v_fmaak_f32 v24, v23, v24, 0xbd5c1c4e
	s_delay_alu instid0(VALU_DEP_1) | instskip(NEXT) | instid1(VALU_DEP_1)
	v_fmaak_f32 v24, v23, v24, 0x3e088382
	v_fmaak_f32 v24, v23, v24, 0xbeaaaa99
	s_delay_alu instid0(VALU_DEP_1) | instskip(NEXT) | instid1(VALU_DEP_1)
	v_mul_f32_e64 v24, |v31|, v24
	v_fma_f32 v23, v23, v24, |v31|
	s_branch .LBB23_2
.LBB23_63:                              ;   in Loop: Header=BB23_3 Depth=1
	s_and_not1_saveexec_b32 s0, s84
	s_cbranch_execz .LBB23_49
.LBB23_64:                              ;   in Loop: Header=BB23_3 Depth=1
	v_cvt_f32_u32_e32 v2, s60
	s_sub_co_i32 s76, 0, s60
	s_delay_alu instid0(VALU_DEP_1) | instskip(NEXT) | instid1(TRANS32_DEP_1)
	v_rcp_iflag_f32_e32 v2, v2
	v_mul_f32_e32 v2, 0x4f7ffffe, v2
	s_delay_alu instid0(VALU_DEP_1) | instskip(SKIP_1) | instid1(VALU_DEP_1)
	v_cvt_u32_f32_e32 v2, v2
	s_wait_alu 0xfffe
	v_mul_lo_u32 v21, s76, v2
	s_delay_alu instid0(VALU_DEP_1) | instskip(NEXT) | instid1(VALU_DEP_1)
	v_mul_hi_u32 v21, v2, v21
	v_add_nc_u32_e32 v2, v2, v21
	s_delay_alu instid0(VALU_DEP_1) | instskip(NEXT) | instid1(VALU_DEP_1)
	v_mul_hi_u32 v2, v3, v2
	v_mul_lo_u32 v21, v2, s60
	v_add_nc_u32_e32 v22, 1, v2
	s_delay_alu instid0(VALU_DEP_2) | instskip(NEXT) | instid1(VALU_DEP_1)
	v_sub_nc_u32_e32 v21, v3, v21
	v_subrev_nc_u32_e32 v23, s60, v21
	v_cmp_le_u32_e32 vcc_lo, s60, v21
	s_wait_alu 0xfffd
	s_delay_alu instid0(VALU_DEP_2) | instskip(NEXT) | instid1(VALU_DEP_1)
	v_dual_cndmask_b32 v21, v21, v23 :: v_dual_cndmask_b32 v2, v2, v22
	v_cmp_le_u32_e32 vcc_lo, s60, v21
	s_delay_alu instid0(VALU_DEP_2) | instskip(SKIP_1) | instid1(VALU_DEP_1)
	v_add_nc_u32_e32 v22, 1, v2
	s_wait_alu 0xfffd
	v_dual_cndmask_b32 v21, v2, v22 :: v_dual_mov_b32 v22, v1
	s_or_b32 exec_lo, exec_lo, s0
	s_delay_alu instid0(SALU_CYCLE_1)
	s_and_not1_b32 vcc_lo, exec_lo, s33
	s_wait_alu 0xfffe
	s_cbranch_vccz .LBB23_50
.LBB23_65:                              ;   in Loop: Header=BB23_3 Depth=1
	v_mov_b32_e32 v32, 0
	s_and_not1_b32 vcc_lo, exec_lo, s80
	s_wait_alu 0xfffe
	s_cbranch_vccz .LBB23_55
.LBB23_66:                              ;   in Loop: Header=BB23_3 Depth=1
	v_mov_b32_e32 v2, 0
	s_wait_loadcnt 0x0
	v_cmp_ngt_f32_e64 s0, 0x3f200000, |v31|
                                        ; implicit-def: $vgpr23
	s_and_saveexec_b32 s76, s0
	s_wait_alu 0xfffe
	s_xor_b32 s0, exec_lo, s76
	s_cbranch_execz .LBB23_61
	s_branch .LBB23_60
.LBB23_67:
	s_endpgm
	.section	.rodata,"a",@progbits
	.p2align	6, 0x0
	.amdhsa_kernel _ZN2at6native12_GLOBAL__N_16kernel18lstm_cell_backwardIfflLi2EEEvNS_4cuda6detail10TensorInfoIT_T1_EES9_S9_S9_S9_S9_S9_S8_S8_
		.amdhsa_group_segment_fixed_size 0
		.amdhsa_private_segment_fixed_size 0
		.amdhsa_kernarg_size 3184
		.amdhsa_user_sgpr_count 2
		.amdhsa_user_sgpr_dispatch_ptr 0
		.amdhsa_user_sgpr_queue_ptr 0
		.amdhsa_user_sgpr_kernarg_segment_ptr 1
		.amdhsa_user_sgpr_dispatch_id 0
		.amdhsa_user_sgpr_private_segment_size 0
		.amdhsa_wavefront_size32 1
		.amdhsa_uses_dynamic_stack 0
		.amdhsa_enable_private_segment 0
		.amdhsa_system_sgpr_workgroup_id_x 1
		.amdhsa_system_sgpr_workgroup_id_y 0
		.amdhsa_system_sgpr_workgroup_id_z 0
		.amdhsa_system_sgpr_workgroup_info 0
		.amdhsa_system_vgpr_workitem_id 0
		.amdhsa_next_free_vgpr 43
		.amdhsa_next_free_sgpr 95
		.amdhsa_reserve_vcc 1
		.amdhsa_float_round_mode_32 0
		.amdhsa_float_round_mode_16_64 0
		.amdhsa_float_denorm_mode_32 3
		.amdhsa_float_denorm_mode_16_64 3
		.amdhsa_fp16_overflow 0
		.amdhsa_workgroup_processor_mode 1
		.amdhsa_memory_ordered 1
		.amdhsa_forward_progress 1
		.amdhsa_inst_pref_size 135
		.amdhsa_round_robin_scheduling 0
		.amdhsa_exception_fp_ieee_invalid_op 0
		.amdhsa_exception_fp_denorm_src 0
		.amdhsa_exception_fp_ieee_div_zero 0
		.amdhsa_exception_fp_ieee_overflow 0
		.amdhsa_exception_fp_ieee_underflow 0
		.amdhsa_exception_fp_ieee_inexact 0
		.amdhsa_exception_int_div_zero 0
	.end_amdhsa_kernel
	.section	.text._ZN2at6native12_GLOBAL__N_16kernel18lstm_cell_backwardIfflLi2EEEvNS_4cuda6detail10TensorInfoIT_T1_EES9_S9_S9_S9_S9_S9_S8_S8_,"axG",@progbits,_ZN2at6native12_GLOBAL__N_16kernel18lstm_cell_backwardIfflLi2EEEvNS_4cuda6detail10TensorInfoIT_T1_EES9_S9_S9_S9_S9_S9_S8_S8_,comdat
.Lfunc_end23:
	.size	_ZN2at6native12_GLOBAL__N_16kernel18lstm_cell_backwardIfflLi2EEEvNS_4cuda6detail10TensorInfoIT_T1_EES9_S9_S9_S9_S9_S9_S8_S8_, .Lfunc_end23-_ZN2at6native12_GLOBAL__N_16kernel18lstm_cell_backwardIfflLi2EEEvNS_4cuda6detail10TensorInfoIT_T1_EES9_S9_S9_S9_S9_S9_S8_S8_
                                        ; -- End function
	.set _ZN2at6native12_GLOBAL__N_16kernel18lstm_cell_backwardIfflLi2EEEvNS_4cuda6detail10TensorInfoIT_T1_EES9_S9_S9_S9_S9_S9_S8_S8_.num_vgpr, 43
	.set _ZN2at6native12_GLOBAL__N_16kernel18lstm_cell_backwardIfflLi2EEEvNS_4cuda6detail10TensorInfoIT_T1_EES9_S9_S9_S9_S9_S9_S8_S8_.num_agpr, 0
	.set _ZN2at6native12_GLOBAL__N_16kernel18lstm_cell_backwardIfflLi2EEEvNS_4cuda6detail10TensorInfoIT_T1_EES9_S9_S9_S9_S9_S9_S8_S8_.numbered_sgpr, 95
	.set _ZN2at6native12_GLOBAL__N_16kernel18lstm_cell_backwardIfflLi2EEEvNS_4cuda6detail10TensorInfoIT_T1_EES9_S9_S9_S9_S9_S9_S8_S8_.num_named_barrier, 0
	.set _ZN2at6native12_GLOBAL__N_16kernel18lstm_cell_backwardIfflLi2EEEvNS_4cuda6detail10TensorInfoIT_T1_EES9_S9_S9_S9_S9_S9_S8_S8_.private_seg_size, 0
	.set _ZN2at6native12_GLOBAL__N_16kernel18lstm_cell_backwardIfflLi2EEEvNS_4cuda6detail10TensorInfoIT_T1_EES9_S9_S9_S9_S9_S9_S8_S8_.uses_vcc, 1
	.set _ZN2at6native12_GLOBAL__N_16kernel18lstm_cell_backwardIfflLi2EEEvNS_4cuda6detail10TensorInfoIT_T1_EES9_S9_S9_S9_S9_S9_S8_S8_.uses_flat_scratch, 0
	.set _ZN2at6native12_GLOBAL__N_16kernel18lstm_cell_backwardIfflLi2EEEvNS_4cuda6detail10TensorInfoIT_T1_EES9_S9_S9_S9_S9_S9_S8_S8_.has_dyn_sized_stack, 0
	.set _ZN2at6native12_GLOBAL__N_16kernel18lstm_cell_backwardIfflLi2EEEvNS_4cuda6detail10TensorInfoIT_T1_EES9_S9_S9_S9_S9_S9_S8_S8_.has_recursion, 0
	.set _ZN2at6native12_GLOBAL__N_16kernel18lstm_cell_backwardIfflLi2EEEvNS_4cuda6detail10TensorInfoIT_T1_EES9_S9_S9_S9_S9_S9_S8_S8_.has_indirect_call, 0
	.section	.AMDGPU.csdata,"",@progbits
; Kernel info:
; codeLenInByte = 17192
; TotalNumSgprs: 97
; NumVgprs: 43
; ScratchSize: 0
; MemoryBound: 0
; FloatMode: 240
; IeeeMode: 1
; LDSByteSize: 0 bytes/workgroup (compile time only)
; SGPRBlocks: 0
; VGPRBlocks: 5
; NumSGPRsForWavesPerEU: 97
; NumVGPRsForWavesPerEU: 43
; Occupancy: 16
; WaveLimiterHint : 1
; COMPUTE_PGM_RSRC2:SCRATCH_EN: 0
; COMPUTE_PGM_RSRC2:USER_SGPR: 2
; COMPUTE_PGM_RSRC2:TRAP_HANDLER: 0
; COMPUTE_PGM_RSRC2:TGID_X_EN: 1
; COMPUTE_PGM_RSRC2:TGID_Y_EN: 0
; COMPUTE_PGM_RSRC2:TGID_Z_EN: 0
; COMPUTE_PGM_RSRC2:TIDIG_COMP_CNT: 0
	.section	.text._ZN2at6native12_GLOBAL__N_16kernel18lstm_cell_backwardIN3c104HalfEfiLi1EEEvNS_4cuda6detail10TensorInfoIT_T1_EESB_SB_SB_SB_SB_SB_SA_SA_,"axG",@progbits,_ZN2at6native12_GLOBAL__N_16kernel18lstm_cell_backwardIN3c104HalfEfiLi1EEEvNS_4cuda6detail10TensorInfoIT_T1_EESB_SB_SB_SB_SB_SB_SA_SA_,comdat
	.globl	_ZN2at6native12_GLOBAL__N_16kernel18lstm_cell_backwardIN3c104HalfEfiLi1EEEvNS_4cuda6detail10TensorInfoIT_T1_EESB_SB_SB_SB_SB_SB_SA_SA_ ; -- Begin function _ZN2at6native12_GLOBAL__N_16kernel18lstm_cell_backwardIN3c104HalfEfiLi1EEEvNS_4cuda6detail10TensorInfoIT_T1_EESB_SB_SB_SB_SB_SB_SA_SA_
	.p2align	8
	.type	_ZN2at6native12_GLOBAL__N_16kernel18lstm_cell_backwardIN3c104HalfEfiLi1EEEvNS_4cuda6detail10TensorInfoIT_T1_EESB_SB_SB_SB_SB_SB_SA_SA_,@function
_ZN2at6native12_GLOBAL__N_16kernel18lstm_cell_backwardIN3c104HalfEfiLi1EEEvNS_4cuda6detail10TensorInfoIT_T1_EESB_SB_SB_SB_SB_SB_SA_SA_: ; @_ZN2at6native12_GLOBAL__N_16kernel18lstm_cell_backwardIN3c104HalfEfiLi1EEEvNS_4cuda6detail10TensorInfoIT_T1_EESB_SB_SB_SB_SB_SB_SA_SA_
; %bb.0:
	s_clause 0x1
	s_load_b32 s4, s[0:1], 0x5fc
	s_load_b64 s[2:3], s[0:1], 0x5e8
	s_wait_kmcnt 0x0
	s_and_b32 s24, s4, 0xffff
	s_mov_b32 s4, exec_lo
	v_mad_co_u64_u32 v[0:1], null, ttmp9, s24, v[0:1]
	s_delay_alu instid0(VALU_DEP_1)
	v_cmpx_gt_i32_e64 s3, v0
	s_cbranch_execz .LBB24_11
; %bb.1:
	s_clause 0x6
	s_load_b64 s[4:5], s[0:1], 0x360
	s_load_b64 s[6:7], s[0:1], 0x438
	s_load_b32 s26, s[0:1], 0x21c
	s_load_b32 s27, s[0:1], 0x2f4
	;; [unrolled: 1-line block ×5, first 2 shown]
	s_add_nc_u64 s[8:9], s[0:1], 0x5f0
	s_mul_i32 s22, s2, 3
	s_load_b32 s25, s[8:9], 0x0
	s_clause 0x2
	s_load_b64 s[8:9], s[0:1], 0x1b0
	s_load_b64 s[10:11], s[0:1], 0x288
	;; [unrolled: 1-line block ×3, first 2 shown]
	s_mov_b32 s23, 0xbbbac73d
	s_wait_kmcnt 0x0
	v_mul_lo_u32 v1, v0, s26
	s_cmp_lg_u64 s[4:5], 0
	v_mul_lo_u32 v3, v0, s27
	s_cselect_b32 s18, -1, 0
	s_cmp_lg_u64 s[6:7], 0
	v_mul_lo_u32 v5, v0, s28
	s_cselect_b32 s19, -1, 0
	s_abs_i32 s20, s2
	v_mul_lo_u32 v7, v0, s29
	s_cvt_f32_u32 s14, s20
	v_mul_lo_u32 v9, v0, s30
	s_sub_co_i32 s33, 0, s20
	s_mul_i32 s24, s25, s24
	v_rcp_iflag_f32_e32 v2, s14
	s_clause 0x3
	s_load_b64 s[14:15], s[0:1], 0x0
	s_load_b32 s21, s[0:1], 0x6c
	s_load_b64 s[16:17], s[0:1], 0xd8
	s_load_b32 s0, s[0:1], 0x144
	s_mov_b32 s1, 0
	s_ashr_i32 s25, s2, 31
	s_mul_i32 s26, s24, s26
	s_mul_i32 s27, s24, s27
	;; [unrolled: 1-line block ×5, first 2 shown]
	v_readfirstlane_b32 s31, v2
	s_mul_f32 s31, s31, 0x4f7ffffe
	s_wait_alu 0xfffe
	s_delay_alu instid0(SALU_CYCLE_2) | instskip(SKIP_1) | instid1(SALU_CYCLE_2)
	s_cvt_u32_f32 s31, s31
	s_wait_alu 0xfffe
	s_mul_i32 s33, s33, s31
	s_delay_alu instid0(SALU_CYCLE_1) | instskip(NEXT) | instid1(SALU_CYCLE_1)
	s_mul_hi_u32 s33, s31, s33
	s_add_co_i32 s31, s31, s33
	s_mov_b32 s33, 1.0
	s_branch .LBB24_3
.LBB24_2:                               ;   in Loop: Header=BB24_3 Depth=1
	s_or_b32 exec_lo, exec_lo, s34
	v_mul_lo_u32 v19, v11, s0
	v_mul_lo_u32 v11, v16, s0
	;; [unrolled: 1-line block ×4, first 2 shown]
	v_bfi_b32 v14, 0x7fffffff, v18, v17
	v_cvt_f32_f16_e32 v24, v4
	v_cvt_f32_f16_e32 v26, v2
	v_add_nc_u32_e32 v0, s24, v0
	v_ashrrev_i32_e32 v20, 31, v19
	v_ashrrev_i32_e32 v12, 31, v11
	;; [unrolled: 1-line block ×3, first 2 shown]
	v_dual_mul_f32 v23, v8, v24 :: v_dual_sub_f32 v26, 1.0, v26
	s_delay_alu instid0(VALU_DEP_4) | instskip(NEXT) | instid1(VALU_DEP_4)
	v_lshlrev_b64_e32 v[19:20], 1, v[19:20]
	v_lshlrev_b64_e32 v[11:12], 1, v[11:12]
	s_delay_alu instid0(VALU_DEP_4)
	v_lshlrev_b64_e32 v[21:22], 1, v[21:22]
	v_fma_f32 v25, -v14, v14, 1.0
	v_ashrrev_i32_e32 v17, 31, v16
	v_add_nc_u32_e32 v3, s27, v3
	v_add_co_u32 v18, vcc_lo, s16, v19
	s_wait_alu 0xfffd
	v_add_co_ci_u32_e64 v19, null, s17, v20, vcc_lo
	v_add_co_u32 v11, vcc_lo, s16, v11
	s_wait_alu 0xfffd
	v_add_co_ci_u32_e64 v12, null, s17, v12, vcc_lo
	;; [unrolled: 3-line block ×3, first 2 shown]
	v_fmac_f32_e32 v10, v23, v25
	v_cvt_f32_f16_e32 v22, v15
	v_cvt_f32_f16_e32 v23, v6
	;; [unrolled: 1-line block ×3, first 2 shown]
	v_ashrrev_i32_e32 v6, 31, v5
	v_lshlrev_b64_e32 v[16:17], 1, v[16:17]
	v_dual_mul_f32 v27, v10, v22 :: v_dual_sub_f32 v24, 1.0, v24
	s_delay_alu instid0(VALU_DEP_4) | instskip(NEXT) | instid1(VALU_DEP_4)
	v_dual_mul_f32 v28, v10, v23 :: v_dual_sub_f32 v29, 1.0, v25
	v_lshlrev_b64_e32 v[22:23], 1, v[5:6]
	v_dual_mul_f32 v6, v8, v14 :: v_dual_mul_f32 v25, v10, v25
	s_delay_alu instid0(VALU_DEP_3) | instskip(NEXT) | instid1(VALU_DEP_4)
	v_dual_mul_f32 v14, v26, v28 :: v_dual_add_nc_u32 v5, s28, v5
	v_dual_mul_f32 v8, v29, v27 :: v_dual_add_nc_u32 v1, s26, v1
	v_add_co_u32 v16, vcc_lo, s16, v16
	v_fma_mix_f32 v15, -v15, v15, s33 op_sel_hi:[1,1,0]
	s_delay_alu instid0(VALU_DEP_3)
	v_fma_mixlo_f16 v8, v8, v13, 0 op_sel_hi:[0,1,0]
	v_dual_mul_f32 v6, v24, v6 :: v_dual_add_nc_u32 v7, s29, v7
	s_wait_alu 0xfffd
	v_add_co_ci_u32_e64 v17, null, s17, v17, vcc_lo
	v_fma_mixlo_f16 v26, v14, v2, 0 op_sel_hi:[0,1,0]
	v_add_co_u32 v13, vcc_lo, s12, v22
	s_wait_alu 0xfffd
	v_add_co_ci_u32_e64 v14, null, s13, v23, vcc_lo
	v_cmp_le_i32_e32 vcc_lo, s3, v0
	s_clause 0x1
	global_store_b16 v[18:19], v8, off
	global_store_b16 v[11:12], v26, off
	v_fma_mixlo_f16 v8, v15, v25, 0
	v_fma_mixlo_f16 v4, v6, v4, 0 op_sel_hi:[0,1,0]
	v_add_nc_u32_e32 v9, s30, v9
	v_fma_mixlo_f16 v2, v10, v2, 0 op_sel_hi:[0,1,0]
	s_or_b32 s1, vcc_lo, s1
	s_clause 0x1
	global_store_b16 v[20:21], v8, off
	global_store_b16 v[16:17], v4, off
	;; [unrolled: 1-line block ×3, first 2 shown]
	s_wait_alu 0xfffe
	s_and_not1_b32 exec_lo, exec_lo, s1
	s_cbranch_execz .LBB24_11
.LBB24_3:                               ; =>This Inner Loop Header: Depth=1
	v_sub_nc_u32_e32 v2, 0, v0
	v_mov_b32_e32 v10, 0
	s_delay_alu instid0(VALU_DEP_2) | instskip(SKIP_1) | instid1(VALU_DEP_1)
	v_max_i32_e32 v2, v0, v2
	s_wait_alu 0xfffe
	v_mul_hi_u32 v4, v2, s31
	s_delay_alu instid0(VALU_DEP_1) | instskip(NEXT) | instid1(VALU_DEP_1)
	v_mul_lo_u32 v6, v4, s20
	v_sub_nc_u32_e32 v2, v2, v6
	v_add_nc_u32_e32 v6, 1, v4
	s_delay_alu instid0(VALU_DEP_2) | instskip(SKIP_2) | instid1(VALU_DEP_3)
	v_subrev_nc_u32_e32 v8, s20, v2
	v_cmp_le_u32_e32 vcc_lo, s20, v2
	s_wait_alu 0xfffd
	v_cndmask_b32_e32 v4, v4, v6, vcc_lo
	s_delay_alu instid0(VALU_DEP_3) | instskip(SKIP_1) | instid1(VALU_DEP_3)
	v_cndmask_b32_e32 v2, v2, v8, vcc_lo
	v_ashrrev_i32_e32 v6, 31, v0
	v_add_nc_u32_e32 v8, 1, v4
	s_delay_alu instid0(VALU_DEP_3) | instskip(NEXT) | instid1(VALU_DEP_3)
	v_cmp_le_u32_e32 vcc_lo, s20, v2
	v_xor_b32_e32 v6, s25, v6
	s_wait_alu 0xfffd
	s_delay_alu instid0(VALU_DEP_3) | instskip(NEXT) | instid1(VALU_DEP_2)
	v_cndmask_b32_e32 v2, v4, v8, vcc_lo
	v_mul_i32_i24_e32 v4, 3, v6
	s_delay_alu instid0(VALU_DEP_2) | instskip(NEXT) | instid1(VALU_DEP_1)
	v_xor_b32_e32 v2, v2, v6
	v_lshl_add_u32 v8, v2, 1, v2
	v_sub_nc_u32_e32 v2, v2, v6
	s_delay_alu instid0(VALU_DEP_2) | instskip(NEXT) | instid1(VALU_DEP_2)
	v_sub_nc_u32_e32 v6, v8, v4
	v_mad_co_u64_u32 v[11:12], null, s22, v2, v[0:1]
	v_ashrrev_i32_e32 v2, 31, v1
	v_ashrrev_i32_e32 v4, 31, v3
	s_delay_alu instid0(VALU_DEP_4) | instskip(NEXT) | instid1(VALU_DEP_3)
	v_mul_lo_u32 v8, s2, v6
	v_lshlrev_b64_e32 v[17:18], 1, v[1:2]
	v_add_nc_u32_e32 v2, 2, v6
	s_delay_alu instid0(VALU_DEP_4)
	v_lshlrev_b64_e32 v[21:22], 1, v[3:4]
	v_add_nc_u32_e32 v4, 3, v6
	s_wait_kmcnt 0x0
	v_mul_lo_u32 v19, v11, s21
	v_add3_u32 v16, v8, s2, v0
	v_mad_co_u64_u32 v[14:15], null, s2, v2, v[0:1]
	v_mad_co_u64_u32 v[12:13], null, s2, v4, v[0:1]
	s_delay_alu instid0(VALU_DEP_3)
	v_mul_lo_u32 v23, v16, s21
	v_add_co_u32 v17, vcc_lo, s8, v17
	v_ashrrev_i32_e32 v20, 31, v19
	v_mul_lo_u32 v25, v14, s21
	s_wait_alu 0xfffd
	v_add_co_ci_u32_e64 v18, null, s9, v18, vcc_lo
	v_mul_lo_u32 v27, v12, s21
	v_ashrrev_i32_e32 v24, 31, v23
	v_lshlrev_b64_e32 v[19:20], 1, v[19:20]
	v_add_co_u32 v21, vcc_lo, s10, v21
	v_ashrrev_i32_e32 v26, 31, v25
	s_delay_alu instid0(VALU_DEP_4)
	v_lshlrev_b64_e32 v[23:24], 1, v[23:24]
	s_wait_alu 0xfffd
	v_add_co_ci_u32_e64 v22, null, s11, v22, vcc_lo
	v_ashrrev_i32_e32 v28, 31, v27
	v_lshlrev_b64_e32 v[25:26], 1, v[25:26]
	v_add_co_u32 v19, vcc_lo, s14, v19
	s_wait_alu 0xfffd
	v_add_co_ci_u32_e64 v20, null, s15, v20, vcc_lo
	v_lshlrev_b64_e32 v[27:28], 1, v[27:28]
	v_add_co_u32 v23, vcc_lo, s14, v23
	s_wait_alu 0xfffd
	v_add_co_ci_u32_e64 v24, null, s15, v24, vcc_lo
	v_add_co_u32 v25, vcc_lo, s14, v25
	s_wait_alu 0xfffd
	v_add_co_ci_u32_e64 v26, null, s15, v26, vcc_lo
	;; [unrolled: 3-line block ×3, first 2 shown]
	global_load_u16 v6, v[17:18], off
	s_clause 0x3
	global_load_u16 v13, v[19:20], off
	global_load_u16 v2, v[23:24], off
	;; [unrolled: 1-line block ×5, first 2 shown]
	v_mov_b32_e32 v8, 0
	s_and_not1_b32 vcc_lo, exec_lo, s18
	s_wait_alu 0xfffe
	s_cbranch_vccnz .LBB24_5
; %bb.4:                                ;   in Loop: Header=BB24_3 Depth=1
	v_ashrrev_i32_e32 v8, 31, v7
	s_delay_alu instid0(VALU_DEP_1) | instskip(NEXT) | instid1(VALU_DEP_1)
	v_lshlrev_b64_e32 v[18:19], 1, v[7:8]
	v_add_co_u32 v18, vcc_lo, s4, v18
	s_wait_alu 0xfffd
	s_delay_alu instid0(VALU_DEP_2)
	v_add_co_ci_u32_e64 v19, null, s5, v19, vcc_lo
	global_load_u16 v8, v[18:19], off
	s_wait_loadcnt 0x0
	v_cvt_f32_f16_e32 v8, v8
.LBB24_5:                               ;   in Loop: Header=BB24_3 Depth=1
	s_and_not1_b32 vcc_lo, exec_lo, s19
	s_wait_alu 0xfffe
	s_cbranch_vccnz .LBB24_7
; %bb.6:                                ;   in Loop: Header=BB24_3 Depth=1
	v_ashrrev_i32_e32 v10, 31, v9
	s_delay_alu instid0(VALU_DEP_1) | instskip(NEXT) | instid1(VALU_DEP_1)
	v_lshlrev_b64_e32 v[18:19], 1, v[9:10]
	v_add_co_u32 v18, vcc_lo, s6, v18
	s_wait_alu 0xfffd
	s_delay_alu instid0(VALU_DEP_2)
	v_add_co_ci_u32_e64 v19, null, s7, v19, vcc_lo
	global_load_u16 v10, v[18:19], off
	s_wait_loadcnt 0x0
	v_cvt_f32_f16_e32 v10, v10
.LBB24_7:                               ;   in Loop: Header=BB24_3 Depth=1
	s_wait_loadcnt 0x0
	v_cvt_f32_f16_e32 v17, v17
                                        ; implicit-def: $vgpr18
	s_delay_alu instid0(VALU_DEP_1) | instskip(SKIP_1) | instid1(SALU_CYCLE_1)
	v_cmp_ngt_f32_e64 s34, 0x3f200000, |v17|
	s_and_saveexec_b32 s35, s34
	s_xor_b32 s34, exec_lo, s35
	s_cbranch_execz .LBB24_9
; %bb.8:                                ;   in Loop: Header=BB24_3 Depth=1
	v_add_f32_e64 v18, |v17|, |v17|
	s_delay_alu instid0(VALU_DEP_1) | instskip(SKIP_1) | instid1(VALU_DEP_2)
	v_mul_f32_e32 v19, 0x3fb8aa3b, v18
	v_cmp_ngt_f32_e32 vcc_lo, 0xc2ce8ed0, v18
	v_rndne_f32_e32 v20, v19
	v_fma_f32 v21, 0x3fb8aa3b, v18, -v19
	s_delay_alu instid0(VALU_DEP_2) | instskip(NEXT) | instid1(VALU_DEP_2)
	v_sub_f32_e32 v19, v19, v20
	v_fmac_f32_e32 v21, 0x32a5705f, v18
	v_cvt_i32_f32_e32 v20, v20
	s_delay_alu instid0(VALU_DEP_2) | instskip(NEXT) | instid1(VALU_DEP_1)
	v_add_f32_e32 v19, v19, v21
	v_exp_f32_e32 v19, v19
	s_delay_alu instid0(TRANS32_DEP_1) | instskip(SKIP_1) | instid1(VALU_DEP_1)
	v_ldexp_f32 v19, v19, v20
	s_wait_alu 0xfffd
	v_cndmask_b32_e32 v19, 0, v19, vcc_lo
	v_cmp_nlt_f32_e32 vcc_lo, 0x42b17218, v18
	s_wait_alu 0xfffd
	s_delay_alu instid0(VALU_DEP_2) | instskip(NEXT) | instid1(VALU_DEP_1)
	v_cndmask_b32_e32 v18, 0x7f800000, v19, vcc_lo
	v_add_f32_e32 v18, 1.0, v18
	s_delay_alu instid0(VALU_DEP_1) | instskip(NEXT) | instid1(TRANS32_DEP_1)
	v_rcp_f32_e32 v18, v18
	v_fma_f32 v18, v18, -2.0, 1.0
.LBB24_9:                               ;   in Loop: Header=BB24_3 Depth=1
	s_and_not1_saveexec_b32 s34, s34
	s_cbranch_execz .LBB24_2
; %bb.10:                               ;   in Loop: Header=BB24_3 Depth=1
	v_mul_f32_e32 v18, v17, v17
	s_delay_alu instid0(VALU_DEP_1) | instskip(NEXT) | instid1(VALU_DEP_1)
	v_fmaak_f32 v19, s23, v18, 0x3ca908c9
	v_fmaak_f32 v19, v18, v19, 0xbd5c1c4e
	s_delay_alu instid0(VALU_DEP_1) | instskip(NEXT) | instid1(VALU_DEP_1)
	v_fmaak_f32 v19, v18, v19, 0x3e088382
	v_fmaak_f32 v19, v18, v19, 0xbeaaaa99
	s_delay_alu instid0(VALU_DEP_1) | instskip(NEXT) | instid1(VALU_DEP_1)
	v_mul_f32_e64 v19, |v17|, v19
	v_fma_f32 v18, v18, v19, |v17|
	s_branch .LBB24_2
.LBB24_11:
	s_endpgm
	.section	.rodata,"a",@progbits
	.p2align	6, 0x0
	.amdhsa_kernel _ZN2at6native12_GLOBAL__N_16kernel18lstm_cell_backwardIN3c104HalfEfiLi1EEEvNS_4cuda6detail10TensorInfoIT_T1_EESB_SB_SB_SB_SB_SB_SA_SA_
		.amdhsa_group_segment_fixed_size 0
		.amdhsa_private_segment_fixed_size 0
		.amdhsa_kernarg_size 1776
		.amdhsa_user_sgpr_count 2
		.amdhsa_user_sgpr_dispatch_ptr 0
		.amdhsa_user_sgpr_queue_ptr 0
		.amdhsa_user_sgpr_kernarg_segment_ptr 1
		.amdhsa_user_sgpr_dispatch_id 0
		.amdhsa_user_sgpr_private_segment_size 0
		.amdhsa_wavefront_size32 1
		.amdhsa_uses_dynamic_stack 0
		.amdhsa_enable_private_segment 0
		.amdhsa_system_sgpr_workgroup_id_x 1
		.amdhsa_system_sgpr_workgroup_id_y 0
		.amdhsa_system_sgpr_workgroup_id_z 0
		.amdhsa_system_sgpr_workgroup_info 0
		.amdhsa_system_vgpr_workitem_id 0
		.amdhsa_next_free_vgpr 30
		.amdhsa_next_free_sgpr 36
		.amdhsa_reserve_vcc 1
		.amdhsa_float_round_mode_32 0
		.amdhsa_float_round_mode_16_64 0
		.amdhsa_float_denorm_mode_32 3
		.amdhsa_float_denorm_mode_16_64 3
		.amdhsa_fp16_overflow 0
		.amdhsa_workgroup_processor_mode 1
		.amdhsa_memory_ordered 1
		.amdhsa_forward_progress 1
		.amdhsa_inst_pref_size 14
		.amdhsa_round_robin_scheduling 0
		.amdhsa_exception_fp_ieee_invalid_op 0
		.amdhsa_exception_fp_denorm_src 0
		.amdhsa_exception_fp_ieee_div_zero 0
		.amdhsa_exception_fp_ieee_overflow 0
		.amdhsa_exception_fp_ieee_underflow 0
		.amdhsa_exception_fp_ieee_inexact 0
		.amdhsa_exception_int_div_zero 0
	.end_amdhsa_kernel
	.section	.text._ZN2at6native12_GLOBAL__N_16kernel18lstm_cell_backwardIN3c104HalfEfiLi1EEEvNS_4cuda6detail10TensorInfoIT_T1_EESB_SB_SB_SB_SB_SB_SA_SA_,"axG",@progbits,_ZN2at6native12_GLOBAL__N_16kernel18lstm_cell_backwardIN3c104HalfEfiLi1EEEvNS_4cuda6detail10TensorInfoIT_T1_EESB_SB_SB_SB_SB_SB_SA_SA_,comdat
.Lfunc_end24:
	.size	_ZN2at6native12_GLOBAL__N_16kernel18lstm_cell_backwardIN3c104HalfEfiLi1EEEvNS_4cuda6detail10TensorInfoIT_T1_EESB_SB_SB_SB_SB_SB_SA_SA_, .Lfunc_end24-_ZN2at6native12_GLOBAL__N_16kernel18lstm_cell_backwardIN3c104HalfEfiLi1EEEvNS_4cuda6detail10TensorInfoIT_T1_EESB_SB_SB_SB_SB_SB_SA_SA_
                                        ; -- End function
	.set _ZN2at6native12_GLOBAL__N_16kernel18lstm_cell_backwardIN3c104HalfEfiLi1EEEvNS_4cuda6detail10TensorInfoIT_T1_EESB_SB_SB_SB_SB_SB_SA_SA_.num_vgpr, 30
	.set _ZN2at6native12_GLOBAL__N_16kernel18lstm_cell_backwardIN3c104HalfEfiLi1EEEvNS_4cuda6detail10TensorInfoIT_T1_EESB_SB_SB_SB_SB_SB_SA_SA_.num_agpr, 0
	.set _ZN2at6native12_GLOBAL__N_16kernel18lstm_cell_backwardIN3c104HalfEfiLi1EEEvNS_4cuda6detail10TensorInfoIT_T1_EESB_SB_SB_SB_SB_SB_SA_SA_.numbered_sgpr, 36
	.set _ZN2at6native12_GLOBAL__N_16kernel18lstm_cell_backwardIN3c104HalfEfiLi1EEEvNS_4cuda6detail10TensorInfoIT_T1_EESB_SB_SB_SB_SB_SB_SA_SA_.num_named_barrier, 0
	.set _ZN2at6native12_GLOBAL__N_16kernel18lstm_cell_backwardIN3c104HalfEfiLi1EEEvNS_4cuda6detail10TensorInfoIT_T1_EESB_SB_SB_SB_SB_SB_SA_SA_.private_seg_size, 0
	.set _ZN2at6native12_GLOBAL__N_16kernel18lstm_cell_backwardIN3c104HalfEfiLi1EEEvNS_4cuda6detail10TensorInfoIT_T1_EESB_SB_SB_SB_SB_SB_SA_SA_.uses_vcc, 1
	.set _ZN2at6native12_GLOBAL__N_16kernel18lstm_cell_backwardIN3c104HalfEfiLi1EEEvNS_4cuda6detail10TensorInfoIT_T1_EESB_SB_SB_SB_SB_SB_SA_SA_.uses_flat_scratch, 0
	.set _ZN2at6native12_GLOBAL__N_16kernel18lstm_cell_backwardIN3c104HalfEfiLi1EEEvNS_4cuda6detail10TensorInfoIT_T1_EESB_SB_SB_SB_SB_SB_SA_SA_.has_dyn_sized_stack, 0
	.set _ZN2at6native12_GLOBAL__N_16kernel18lstm_cell_backwardIN3c104HalfEfiLi1EEEvNS_4cuda6detail10TensorInfoIT_T1_EESB_SB_SB_SB_SB_SB_SA_SA_.has_recursion, 0
	.set _ZN2at6native12_GLOBAL__N_16kernel18lstm_cell_backwardIN3c104HalfEfiLi1EEEvNS_4cuda6detail10TensorInfoIT_T1_EESB_SB_SB_SB_SB_SB_SA_SA_.has_indirect_call, 0
	.section	.AMDGPU.csdata,"",@progbits
; Kernel info:
; codeLenInByte = 1696
; TotalNumSgprs: 38
; NumVgprs: 30
; ScratchSize: 0
; MemoryBound: 0
; FloatMode: 240
; IeeeMode: 1
; LDSByteSize: 0 bytes/workgroup (compile time only)
; SGPRBlocks: 0
; VGPRBlocks: 3
; NumSGPRsForWavesPerEU: 38
; NumVGPRsForWavesPerEU: 30
; Occupancy: 16
; WaveLimiterHint : 1
; COMPUTE_PGM_RSRC2:SCRATCH_EN: 0
; COMPUTE_PGM_RSRC2:USER_SGPR: 2
; COMPUTE_PGM_RSRC2:TRAP_HANDLER: 0
; COMPUTE_PGM_RSRC2:TGID_X_EN: 1
; COMPUTE_PGM_RSRC2:TGID_Y_EN: 0
; COMPUTE_PGM_RSRC2:TGID_Z_EN: 0
; COMPUTE_PGM_RSRC2:TIDIG_COMP_CNT: 0
	.section	.text._ZN2at6native12_GLOBAL__N_16kernel18lstm_cell_backwardIN3c104HalfEfiLi2EEEvNS_4cuda6detail10TensorInfoIT_T1_EESB_SB_SB_SB_SB_SB_SA_SA_,"axG",@progbits,_ZN2at6native12_GLOBAL__N_16kernel18lstm_cell_backwardIN3c104HalfEfiLi2EEEvNS_4cuda6detail10TensorInfoIT_T1_EESB_SB_SB_SB_SB_SB_SA_SA_,comdat
	.globl	_ZN2at6native12_GLOBAL__N_16kernel18lstm_cell_backwardIN3c104HalfEfiLi2EEEvNS_4cuda6detail10TensorInfoIT_T1_EESB_SB_SB_SB_SB_SB_SA_SA_ ; -- Begin function _ZN2at6native12_GLOBAL__N_16kernel18lstm_cell_backwardIN3c104HalfEfiLi2EEEvNS_4cuda6detail10TensorInfoIT_T1_EESB_SB_SB_SB_SB_SB_SA_SA_
	.p2align	8
	.type	_ZN2at6native12_GLOBAL__N_16kernel18lstm_cell_backwardIN3c104HalfEfiLi2EEEvNS_4cuda6detail10TensorInfoIT_T1_EESB_SB_SB_SB_SB_SB_SA_SA_,@function
_ZN2at6native12_GLOBAL__N_16kernel18lstm_cell_backwardIN3c104HalfEfiLi2EEEvNS_4cuda6detail10TensorInfoIT_T1_EESB_SB_SB_SB_SB_SB_SA_SA_: ; @_ZN2at6native12_GLOBAL__N_16kernel18lstm_cell_backwardIN3c104HalfEfiLi2EEEvNS_4cuda6detail10TensorInfoIT_T1_EESB_SB_SB_SB_SB_SB_SA_SA_
; %bb.0:
	s_clause 0x1
	s_load_b32 s4, s[0:1], 0x5fc
	s_load_b64 s[2:3], s[0:1], 0x5e8
	s_wait_kmcnt 0x0
	s_and_b32 s41, s4, 0xffff
	s_mov_b32 s4, exec_lo
	v_mad_co_u64_u32 v[0:1], null, ttmp9, s41, v[0:1]
	s_delay_alu instid0(VALU_DEP_1)
	v_cmpx_gt_i32_e64 s3, v0
	s_cbranch_execz .LBB25_12
; %bb.1:
	s_clause 0xb
	s_load_b64 s[4:5], s[0:1], 0x360
	s_load_b64 s[6:7], s[0:1], 0x438
	s_load_b32 s33, s[0:1], 0xc
	s_load_b32 s67, s[0:1], 0x36c
	s_load_b64 s[8:9], s[0:1], 0x3cc
	s_load_b32 s34, s[0:1], 0xe4
	s_load_b64 s[10:11], s[0:1], 0x0
	s_load_b64 s[12:13], s[0:1], 0x6c
	s_load_b64 s[14:15], s[0:1], 0xd8
	s_load_b64 s[16:17], s[0:1], 0x144
	s_load_b64 s[18:19], s[0:1], 0x1b0
	s_load_b32 s64, s[0:1], 0x1bc
	s_add_nc_u64 s[20:21], s[0:1], 0x5f0
	s_load_b64 s[30:31], s[0:1], 0x57c
	s_load_b32 s42, s[20:21], 0x0
	s_clause 0x3
	s_load_b64 s[20:21], s[0:1], 0x21c
	s_load_b64 s[22:23], s[0:1], 0x288
	s_load_b32 s65, s[0:1], 0x294
	s_load_b64 s[24:25], s[0:1], 0x2f4
	s_mov_b32 s40, 0
	s_mul_i32 s63, s2, 3
	s_mov_b32 s69, 0xbbbac73d
	s_mov_b32 s70, 1.0
	s_wait_kmcnt 0x0
	s_cmp_lg_u64 s[4:5], 0
	s_cselect_b32 s35, -1, 0
	s_cmp_lg_u64 s[6:7], 0
	s_cselect_b32 s36, -1, 0
	s_abs_i32 s37, s2
	s_abs_i32 s38, s33
	s_cvt_f32_u32 s26, s37
	s_cvt_f32_u32 s27, s38
	s_abs_i32 s39, s34
	s_abs_i32 s44, s64
	v_rcp_iflag_f32_e32 v1, s26
	v_rcp_iflag_f32_e32 v2, s27
	s_cvt_f32_u32 s43, s39
	s_clause 0x3
	s_load_b32 s68, s[0:1], 0x444
	s_load_b64 s[26:27], s[0:1], 0x4a4
	s_load_b64 s[28:29], s[0:1], 0x510
	s_load_b32 s66, s[0:1], 0x51c
	s_cvt_f32_u32 s46, s44
	s_sub_co_i32 s45, 0, s37
	v_rcp_iflag_f32_e32 v3, s43
	s_sub_co_i32 s48, 0, s38
	s_sub_co_i32 s50, 0, s39
	s_abs_i32 s53, s67
	v_readfirstlane_b32 s0, v1
	v_readfirstlane_b32 s1, v2
	v_rcp_iflag_f32_e32 v1, s46
	s_sub_co_i32 s60, 0, s53
	s_mul_i32 s41, s42, s41
	s_mul_f32 s0, s0, 0x4f7ffffe
	v_readfirstlane_b32 s47, v3
	s_mul_f32 s1, s1, 0x4f7ffffe
	s_ashr_i32 s42, s2, 31
	s_wait_alu 0xfffe
	s_cvt_u32_f32 s0, s0
	s_ashr_i32 s43, s33, 31
	s_cvt_u32_f32 s1, s1
	s_mul_f32 s47, s47, 0x4f7ffffe
	s_wait_alu 0xfffe
	s_mul_i32 s45, s45, s0
	s_delay_alu instid0(SALU_CYCLE_1)
	s_mul_hi_u32 s45, s0, s45
	s_mul_i32 s48, s48, s1
	s_add_co_i32 s45, s0, s45
	s_cvt_u32_f32 s0, s47
	s_abs_i32 s47, s65
	s_mul_hi_u32 s46, s1, s48
	s_wait_alu 0xfffe
	s_cvt_f32_u32 s49, s47
	s_add_co_i32 s46, s1, s46
	v_readfirstlane_b32 s1, v1
	s_mul_i32 s50, s50, s0
	v_rcp_iflag_f32_e32 v1, s49
	s_wait_kmcnt 0x0
	s_abs_i32 s49, s66
	s_mul_hi_u32 s50, s0, s50
	s_mul_f32 s1, s1, 0x4f7ffffe
	s_wait_alu 0xfffe
	s_cvt_f32_u32 s51, s49
	s_add_co_i32 s50, s0, s50
	s_sub_co_i32 s0, 0, s44
	s_cvt_u32_f32 s1, s1
	v_rcp_iflag_f32_e32 v2, s51
	s_sub_co_i32 s57, 0, s49
	v_readfirstlane_b32 s54, v1
	s_wait_alu 0xfffe
	s_mul_i32 s0, s0, s1
	s_ashr_i32 s48, s34, 31
	s_wait_alu 0xfffe
	s_mul_hi_u32 s0, s1, s0
	s_ashr_i32 s51, s64, 31
	s_wait_alu 0xfffe
	s_add_co_i32 s52, s1, s0
	s_mul_f32 s0, s54, 0x4f7ffffe
	s_cvt_f32_u32 s1, s53
	s_abs_i32 s54, s68
	v_readfirstlane_b32 s55, v2
	s_cvt_f32_u32 s56, s54
	s_wait_alu 0xfffe
	v_rcp_iflag_f32_e32 v1, s1
	s_cvt_u32_f32 s0, s0
	s_sub_co_i32 s1, 0, s47
	v_rcp_iflag_f32_e32 v2, s56
	s_mul_f32 s56, s55, 0x4f7ffffe
	s_wait_alu 0xfffe
	s_mul_i32 s1, s1, s0
	s_sub_co_i32 s61, 0, s54
	s_wait_alu 0xfffe
	s_mul_hi_u32 s1, s0, s1
	s_cvt_u32_f32 s58, s56
	s_wait_alu 0xfffe
	s_add_co_i32 s56, s0, s1
	v_readfirstlane_b32 s59, v1
	s_ashr_i32 s55, s65, 31
	s_mul_i32 s57, s57, s58
	v_readfirstlane_b32 s0, v2
	s_wait_alu 0xfffe
	s_mul_hi_u32 s1, s58, s57
	s_mul_f32 s59, s59, 0x4f7ffffe
	s_wait_alu 0xfffe
	s_add_co_i32 s58, s58, s1
	s_ashr_i32 s57, s66, 31
	s_mul_f32 s0, s0, 0x4f7ffffe
	s_cvt_u32_f32 s1, s59
	s_ashr_i32 s59, s67, 31
	s_sub_co_i32 s64, 0, s64
	s_wait_alu 0xfffe
	s_cvt_u32_f32 s0, s0
	s_mul_i32 s60, s60, s1
	s_sub_co_i32 s65, 0, s65
	s_mul_hi_u32 s60, s1, s60
	s_wait_alu 0xfffe
	s_mul_i32 s61, s61, s0
	s_add_co_i32 s60, s1, s60
	s_mul_hi_u32 s1, s0, s61
	s_ashr_i32 s61, s68, 31
	s_wait_alu 0xfffe
	s_add_co_i32 s62, s0, s1
	s_sub_co_i32 s66, 0, s66
	s_sub_co_i32 s67, 0, s67
	s_sub_co_i32 s68, 0, s68
	s_branch .LBB25_3
.LBB25_2:                               ;   in Loop: Header=BB25_3 Depth=1
	s_wait_alu 0xfffe
	s_or_b32 exec_lo, exec_lo, s0
	v_mul_hi_u32 v24, v11, s50
	v_mul_hi_u32 v25, v12, s50
	;; [unrolled: 1-line block ×5, first 2 shown]
	v_xor_b32_e32 v21, s48, v21
	v_xor_b32_e32 v20, s48, v20
	;; [unrolled: 1-line block ×3, first 2 shown]
	v_mul_lo_u32 v26, v24, s39
	v_mul_lo_u32 v31, v25, s39
	v_add_nc_u32_e32 v30, 1, v24
	v_mul_lo_u32 v33, v28, s39
	v_xor_b32_e32 v17, s48, v17
	v_cvt_f32_f16_e32 v13, v13
	v_sub_nc_u32_e32 v11, v11, v26
	v_mul_lo_u32 v26, v27, s39
	v_sub_nc_u32_e32 v12, v12, v31
	v_sub_nc_u32_e32 v15, v15, v33
	s_delay_alu instid0(VALU_DEP_4)
	v_subrev_nc_u32_e32 v36, s39, v11
	v_cmp_le_u32_e32 vcc_lo, s39, v11
	v_add_nc_u32_e32 v32, 1, v25
	v_add_nc_u32_e32 v35, 1, v28
	v_sub_nc_u32_e32 v14, v14, v26
	s_wait_alu 0xfffd
	v_dual_cndmask_b32 v24, v24, v30 :: v_dual_cndmask_b32 v11, v11, v36
	v_cmp_le_u32_e32 vcc_lo, s39, v12
	v_subrev_nc_u32_e32 v30, s39, v12
	v_add_nc_u32_e32 v34, 1, v27
	s_delay_alu instid0(VALU_DEP_4)
	v_add_nc_u32_e32 v26, 1, v24
	v_cmp_le_u32_e64 s0, s39, v11
	s_wait_alu 0xfffd
	v_dual_cndmask_b32 v25, v25, v32 :: v_dual_cndmask_b32 v12, v12, v30
	v_cmp_le_u32_e32 vcc_lo, s39, v15
	s_wait_alu 0xf1ff
	v_cndmask_b32_e64 v11, v24, v26, s0
	v_cmp_le_u32_e64 s0, s39, v14
	v_subrev_nc_u32_e32 v26, s39, v14
	s_delay_alu instid0(VALU_DEP_3) | instskip(SKIP_1) | instid1(VALU_DEP_3)
	v_xor_b32_e32 v11, v11, v21
	s_wait_alu 0xf1ff
	v_cndmask_b32_e64 v24, v27, v34, s0
	v_add_nc_u32_e32 v27, 1, v25
	v_cmp_le_u32_e64 s1, s39, v12
	v_cndmask_b32_e64 v14, v14, v26, s0
	v_sub_nc_u32_e32 v11, v11, v21
	s_wait_alu 0xfffd
	v_dual_cndmask_b32 v28, v28, v35 :: v_dual_add_nc_u32 v21, 1, v24
	s_wait_alu 0xf1ff
	v_cndmask_b32_e64 v12, v25, v27, s1
	v_cmp_le_u32_e64 s0, s39, v14
	v_mul_lo_u32 v26, v11, s34
	v_subrev_nc_u32_e32 v25, s39, v15
	s_delay_alu instid0(VALU_DEP_4) | instskip(SKIP_3) | instid1(VALU_DEP_3)
	v_xor_b32_e32 v12, v12, v20
	s_wait_alu 0xf1ff
	v_cndmask_b32_e64 v14, v24, v21, s0
	v_mul_lo_u32 v21, v29, s49
	v_sub_nc_u32_e32 v20, v12, v20
	v_dual_cndmask_b32 v12, v15, v25 :: v_dual_add_nc_u32 v15, 1, v28
	s_delay_alu instid0(VALU_DEP_4) | instskip(SKIP_1) | instid1(VALU_DEP_4)
	v_xor_b32_e32 v14, v14, v19
	v_sub_nc_u32_e32 v6, v6, v26
	v_mul_lo_u32 v24, v20, s34
	s_delay_alu instid0(VALU_DEP_4)
	v_cmp_le_u32_e32 vcc_lo, s39, v12
	v_sub_nc_u32_e32 v3, v3, v21
	v_sub_nc_u32_e32 v14, v14, v19
	v_add_nc_u32_e32 v6, v0, v6
	s_wait_alu 0xfffd
	v_dual_cndmask_b32 v12, v28, v15 :: v_dual_add_nc_u32 v15, 1, v29
	v_cmp_le_u32_e32 vcc_lo, s49, v3
	v_subrev_nc_u32_e32 v21, s49, v3
	v_sub_nc_u32_e32 v19, v1, v24
	v_mul_lo_u32 v1, v6, s17
	v_mul_lo_u32 v6, v14, s34
	s_wait_alu 0xfffd
	v_cndmask_b32_e32 v15, v29, v15, vcc_lo
	v_cndmask_b32_e32 v3, v3, v21, vcc_lo
	v_xor_b32_e32 v12, v12, v17
	v_xor_b32_e32 v21, s57, v4
	s_delay_alu instid0(VALU_DEP_3)
	v_cmp_le_u32_e32 vcc_lo, s49, v3
	v_sub_nc_u32_e32 v5, v5, v6
	v_add_nc_u32_e32 v6, 1, v15
	v_add_nc_u32_e32 v19, v0, v19
	v_sub_nc_u32_e32 v17, v12, v17
	v_mad_co_u64_u32 v[11:12], null, v11, s16, v[1:2]
	s_wait_alu 0xfffd
	v_cndmask_b32_e32 v6, v15, v6, vcc_lo
	v_mul_lo_u32 v1, v19, s17
	v_mul_lo_u32 v19, v17, s34
	s_delay_alu instid0(VALU_DEP_3) | instskip(SKIP_1) | instid1(VALU_DEP_4)
	v_xor_b32_e32 v15, v6, v21
	v_ashrrev_i32_e32 v12, 31, v11
	v_mad_co_u64_u32 v[3:4], null, v20, s16, v[1:2]
	v_bfi_b32 v20, 0x7fffffff, v23, v22
	v_cvt_f32_f16_e32 v22, v7
	v_add_nc_u32_e32 v5, v0, v5
	v_sub_nc_u32_e32 v2, v2, v19
	v_sub_nc_u32_e32 v19, v15, v21
	v_fma_f32 v21, -v20, v20, 1.0
	v_sub_f32_e32 v22, 1.0, v22
	v_mul_lo_u32 v1, v5, s17
	v_lshlrev_b64_e32 v[5:6], 1, v[11:12]
	v_add_nc_u32_e32 v11, v0, v2
	v_ashrrev_i32_e32 v4, 31, v3
	s_delay_alu instid0(VALU_DEP_3) | instskip(SKIP_1) | instid1(VALU_DEP_4)
	v_add_co_u32 v5, vcc_lo, s14, v5
	v_mad_co_u64_u32 v[1:2], null, v14, s16, v[1:2]
	v_mul_lo_u32 v2, v11, s17
	s_delay_alu instid0(VALU_DEP_4) | instskip(SKIP_2) | instid1(VALU_DEP_4)
	v_lshlrev_b64_e32 v[3:4], 1, v[3:4]
	s_wait_alu 0xfffd
	v_add_co_ci_u32_e64 v6, null, s15, v6, vcc_lo
	v_mad_co_u64_u32 v[11:12], null, s66, v19, v[0:1]
	s_delay_alu instid0(VALU_DEP_3)
	v_mad_co_u64_u32 v[14:15], null, v17, s16, v[2:3]
	v_cvt_f32_f16_e32 v17, v8
	v_ashrrev_i32_e32 v2, 31, v1
	v_add_co_u32 v3, vcc_lo, s14, v3
	v_mul_lo_u32 v11, v11, s31
	s_wait_alu 0xfffd
	v_add_co_ci_u32_e64 v4, null, s15, v4, vcc_lo
	v_ashrrev_i32_e32 v15, 31, v14
	v_lshlrev_b64_e32 v[1:2], 1, v[1:2]
	v_add_nc_u32_e32 v0, s41, v0
	v_mad_co_u64_u32 v[11:12], null, v19, s30, v[11:12]
	v_mul_f32_e32 v19, v16, v17
	v_lshlrev_b64_e32 v[14:15], 1, v[14:15]
	v_dual_mul_f32 v16, v16, v20 :: v_dual_sub_f32 v17, 1.0, v17
	v_add_co_u32 v1, vcc_lo, s14, v1
	s_delay_alu instid0(VALU_DEP_4)
	v_fmac_f32_e32 v18, v19, v21
	v_cvt_f32_f16_e32 v19, v10
	v_cvt_f32_f16_e32 v21, v9
	v_ashrrev_i32_e32 v12, 31, v11
	s_wait_alu 0xfffd
	v_add_co_ci_u32_e64 v2, null, s15, v2, vcc_lo
	v_mul_f32_e32 v19, v18, v19
	v_sub_f32_e32 v23, 1.0, v21
	v_lshlrev_b64_e32 v[11:12], 1, v[11:12]
	v_mul_f32_e32 v13, v18, v13
	v_add_co_u32 v14, vcc_lo, s14, v14
	s_delay_alu instid0(VALU_DEP_4) | instskip(NEXT) | instid1(VALU_DEP_3)
	v_dual_mul_f32 v19, v23, v19 :: v_dual_mul_f32 v20, v18, v21
	v_dual_mul_f32 v13, v22, v13 :: v_dual_mul_f32 v16, v17, v16
	s_wait_alu 0xfffd
	v_add_co_ci_u32_e64 v15, null, s15, v15, vcc_lo
	s_delay_alu instid0(VALU_DEP_3)
	v_fma_mixlo_f16 v9, v19, v9, 0 op_sel_hi:[0,1,0]
	v_add_co_u32 v11, vcc_lo, s28, v11
	v_fma_mix_f32 v10, -v10, v10, s70 op_sel_hi:[1,1,0]
	s_wait_alu 0xfffd
	v_add_co_ci_u32_e64 v12, null, s29, v12, vcc_lo
	v_cmp_le_i32_e32 vcc_lo, s3, v0
	global_store_b16 v[5:6], v9, off
	v_fma_mixlo_f16 v5, v13, v7, 0 op_sel_hi:[0,1,0]
	v_fma_mixlo_f16 v8, v16, v8, 0 op_sel_hi:[0,1,0]
	v_fma_mixlo_f16 v6, v10, v20, 0
	v_fma_mixlo_f16 v7, v18, v7, 0 op_sel_hi:[0,1,0]
	s_or_b32 s40, vcc_lo, s40
	s_clause 0x2
	global_store_b16 v[3:4], v5, off
	global_store_b16 v[1:2], v6, off
	;; [unrolled: 1-line block ×4, first 2 shown]
	s_wait_alu 0xfffe
	s_and_not1_b32 exec_lo, exec_lo, s40
	s_cbranch_execz .LBB25_12
.LBB25_3:                               ; =>This Inner Loop Header: Depth=1
	v_sub_nc_u32_e32 v1, 0, v0
	s_delay_alu instid0(VALU_DEP_1) | instskip(NEXT) | instid1(VALU_DEP_1)
	v_max_i32_e32 v3, v0, v1
	v_mul_hi_u32 v1, v3, s45
	v_mul_hi_u32 v7, v3, s56
	;; [unrolled: 1-line block ×3, first 2 shown]
	s_delay_alu instid0(VALU_DEP_3) | instskip(SKIP_1) | instid1(VALU_DEP_3)
	v_mul_lo_u32 v2, v1, s37
	v_add_nc_u32_e32 v4, 1, v1
	v_mul_lo_u32 v9, v5, s44
	s_delay_alu instid0(VALU_DEP_3) | instskip(NEXT) | instid1(VALU_DEP_2)
	v_sub_nc_u32_e32 v2, v3, v2
	v_sub_nc_u32_e32 v9, v3, v9
	v_add_nc_u32_e32 v12, 1, v7
	s_delay_alu instid0(VALU_DEP_3) | instskip(SKIP_2) | instid1(VALU_DEP_2)
	v_subrev_nc_u32_e32 v6, s37, v2
	v_cmp_le_u32_e32 vcc_lo, s37, v2
	s_wait_alu 0xfffd
	v_dual_cndmask_b32 v1, v1, v4 :: v_dual_cndmask_b32 v2, v2, v6
	v_ashrrev_i32_e32 v4, 31, v0
	s_delay_alu instid0(VALU_DEP_2) | instskip(SKIP_1) | instid1(VALU_DEP_3)
	v_cmp_le_u32_e32 vcc_lo, s37, v2
	v_mul_lo_u32 v2, v7, s47
	v_xor_b32_e32 v8, s42, v4
	v_xor_b32_e32 v10, s51, v4
	v_xor_b32_e32 v13, s55, v4
	s_delay_alu instid0(VALU_DEP_3) | instskip(SKIP_1) | instid1(VALU_DEP_1)
	v_mul_i32_i24_e32 v11, 3, v8
	v_sub_nc_u32_e32 v14, v3, v2
	v_cmp_le_u32_e64 s0, s47, v14
	s_wait_alu 0xf1ff
	s_delay_alu instid0(VALU_DEP_1) | instskip(SKIP_1) | instid1(VALU_DEP_1)
	v_cndmask_b32_e64 v7, v7, v12, s0
	v_subrev_nc_u32_e32 v12, s47, v14
	v_cndmask_b32_e64 v12, v14, v12, s0
	s_delay_alu instid0(VALU_DEP_3) | instskip(SKIP_2) | instid1(VALU_DEP_1)
	v_add_nc_u32_e32 v14, 1, v7
	v_add_nc_u32_e32 v6, 1, v1
	s_wait_alu 0xfffd
	v_dual_cndmask_b32 v1, v1, v6 :: v_dual_add_nc_u32 v6, 1, v5
	v_cmp_le_u32_e32 vcc_lo, s44, v9
	s_delay_alu instid0(VALU_DEP_2) | instskip(NEXT) | instid1(VALU_DEP_1)
	v_xor_b32_e32 v1, v1, v8
	v_sub_nc_u32_e32 v2, v1, v8
	v_lshl_add_u32 v1, v1, 1, v1
	s_delay_alu instid0(VALU_DEP_1)
	v_sub_nc_u32_e32 v11, v1, v11
	s_wait_alu 0xfffd
	v_cndmask_b32_e32 v8, v5, v6, vcc_lo
	v_mul_lo_u32 v6, s63, v2
	v_subrev_nc_u32_e32 v5, s44, v9
	v_mad_co_u64_u32 v[1:2], null, s2, v11, s[2:3]
	v_add_nc_u32_e32 v2, 2, v11
	v_add_nc_u32_e32 v11, 3, v11
	s_delay_alu instid0(VALU_DEP_4)
	v_cndmask_b32_e32 v9, v9, v5, vcc_lo
	v_add_nc_u32_e32 v15, v0, v6
	v_add_nc_u32_e32 v16, 1, v8
	v_mul_lo_u32 v5, s2, v2
	v_mul_lo_u32 v2, s2, v11
	v_cmp_le_u32_e32 vcc_lo, s44, v9
	v_ashrrev_i32_e32 v21, 31, v15
	v_add_nc_u32_e32 v15, v0, v1
	s_delay_alu instid0(VALU_DEP_2) | instskip(NEXT) | instid1(VALU_DEP_2)
	v_add3_u32 v11, v21, v6, v0
	v_ashrrev_i32_e32 v20, 31, v15
	v_add_nc_u32_e32 v9, v0, v2
	s_delay_alu instid0(VALU_DEP_3) | instskip(NEXT) | instid1(VALU_DEP_3)
	v_xor_b32_e32 v11, v11, v21
	v_xor_b32_e32 v23, s43, v20
	s_delay_alu instid0(VALU_DEP_3) | instskip(NEXT) | instid1(VALU_DEP_3)
	v_ashrrev_i32_e32 v17, 31, v9
	v_mul_hi_u32 v9, v11, s46
	s_wait_alu 0xfffd
	v_cndmask_b32_e32 v8, v8, v16, vcc_lo
	v_add3_u32 v16, v20, v1, v0
	v_cmp_le_u32_e32 vcc_lo, s47, v12
	v_xor_b32_e32 v26, s43, v17
	s_delay_alu instid0(VALU_DEP_3)
	v_xor_b32_e32 v12, v16, v20
	v_mul_lo_u32 v22, v9, s38
	s_wait_alu 0xfffd
	v_cndmask_b32_e32 v7, v7, v14, vcc_lo
	v_add_nc_u32_e32 v27, 1, v9
	v_xor_b32_e32 v16, s43, v21
	v_mul_hi_u32 v18, v12, s46
	v_xor_b32_e32 v8, v8, v10
	v_xor_b32_e32 v7, v7, v13
	v_sub_nc_u32_e32 v22, v11, v22
	s_delay_alu instid0(VALU_DEP_2) | instskip(SKIP_1) | instid1(VALU_DEP_3)
	v_sub_nc_u32_e32 v13, v7, v13
	v_mul_lo_u32 v28, v18, s38
	v_cmp_le_u32_e32 vcc_lo, s38, v22
	v_subrev_nc_u32_e32 v33, s38, v22
	s_wait_alu 0xfffd
	v_dual_cndmask_b32 v9, v9, v27 :: v_dual_add_nc_u32 v30, 1, v18
	s_delay_alu instid0(VALU_DEP_2) | instskip(SKIP_1) | instid1(VALU_DEP_2)
	v_cndmask_b32_e32 v22, v22, v33, vcc_lo
	v_sub_nc_u32_e32 v27, v12, v28
	v_cmp_le_u32_e64 s0, s38, v22
	s_delay_alu instid0(VALU_DEP_2) | instskip(SKIP_3) | instid1(VALU_DEP_1)
	v_cmp_le_u32_e32 vcc_lo, s38, v27
	s_wait_alu 0xfffd
	v_cndmask_b32_e32 v18, v18, v30, vcc_lo
	v_subrev_nc_u32_e32 v30, s38, v27
	v_dual_cndmask_b32 v22, v27, v30 :: v_dual_add_nc_u32 v15, v0, v5
	s_delay_alu instid0(VALU_DEP_1) | instskip(SKIP_2) | instid1(VALU_DEP_4)
	v_ashrrev_i32_e32 v19, 31, v15
	v_add3_u32 v15, v17, v2, v0
	v_add_nc_u32_e32 v27, 1, v18
	v_cmp_le_u32_e64 s1, s38, v22
	s_delay_alu instid0(VALU_DEP_4) | instskip(NEXT) | instid1(VALU_DEP_4)
	v_add3_u32 v14, v19, v5, v0
	v_xor_b32_e32 v15, v15, v17
	v_xor_b32_e32 v24, s43, v19
	s_wait_alu 0xf1ff
	v_cndmask_b32_e64 v18, v18, v27, s1
	v_xor_b32_e32 v14, v14, v19
	v_mul_hi_u32 v29, v15, s46
	s_delay_alu instid0(VALU_DEP_2) | instskip(NEXT) | instid1(VALU_DEP_2)
	v_mul_hi_u32 v25, v14, s46
	v_mul_lo_u32 v28, v29, s38
	v_add_nc_u32_e32 v34, 1, v29
	s_delay_alu instid0(VALU_DEP_3) | instskip(SKIP_1) | instid1(VALU_DEP_4)
	v_mul_lo_u32 v31, v25, s38
	v_add_nc_u32_e32 v32, 1, v25
	v_sub_nc_u32_e32 v28, v15, v28
	s_delay_alu instid0(VALU_DEP_3) | instskip(NEXT) | instid1(VALU_DEP_1)
	v_sub_nc_u32_e32 v31, v14, v31
	v_cmp_le_u32_e32 vcc_lo, s38, v31
	v_subrev_nc_u32_e32 v30, s38, v31
	v_add_nc_u32_e32 v33, 1, v9
	s_wait_alu 0xfffd
	s_delay_alu instid0(VALU_DEP_2) | instskip(NEXT) | instid1(VALU_DEP_2)
	v_dual_cndmask_b32 v25, v25, v32 :: v_dual_cndmask_b32 v22, v31, v30
	v_cndmask_b32_e64 v9, v9, v33, s0
	v_cmp_le_u32_e64 s0, s38, v28
	v_subrev_nc_u32_e32 v32, s38, v28
	s_delay_alu instid0(VALU_DEP_4) | instskip(NEXT) | instid1(VALU_DEP_4)
	v_cmp_le_u32_e32 vcc_lo, s38, v22
	v_xor_b32_e32 v9, v9, v16
	s_wait_alu 0xf1ff
	v_cndmask_b32_e64 v29, v29, v34, s0
	v_cndmask_b32_e64 v28, v28, v32, s0
	s_delay_alu instid0(VALU_DEP_3) | instskip(NEXT) | instid1(VALU_DEP_3)
	v_sub_nc_u32_e32 v16, v9, v16
	v_add_nc_u32_e32 v30, 1, v29
	v_add_nc_u32_e32 v27, 1, v25
	v_xor_b32_e32 v9, v18, v23
	s_wait_alu 0xfffd
	s_delay_alu instid0(VALU_DEP_2) | instskip(SKIP_1) | instid1(VALU_DEP_3)
	v_cndmask_b32_e32 v18, v25, v27, vcc_lo
	v_cmp_le_u32_e32 vcc_lo, s38, v28
	v_sub_nc_u32_e32 v27, v9, v23
	v_mul_lo_u32 v25, v16, s33
	s_delay_alu instid0(VALU_DEP_4) | instskip(SKIP_2) | instid1(VALU_DEP_2)
	v_xor_b32_e32 v9, v18, v24
	s_wait_alu 0xfffd
	v_cndmask_b32_e32 v22, v29, v30, vcc_lo
	v_sub_nc_u32_e32 v30, v9, v24
	s_delay_alu instid0(VALU_DEP_2)
	v_xor_b32_e32 v18, v22, v26
	v_sub_nc_u32_e32 v22, v8, v10
	v_mul_lo_u32 v10, v27, s33
	v_sub_nc_u32_e32 v23, v6, v25
	v_mul_lo_u32 v24, v30, s33
	v_sub_nc_u32_e32 v18, v18, v26
	v_mad_co_u64_u32 v[7:8], null, s64, v22, v[0:1]
	v_mad_co_u64_u32 v[8:9], null, s65, v13, v[0:1]
	s_delay_alu instid0(VALU_DEP_3) | instskip(SKIP_4) | instid1(VALU_DEP_4)
	v_mul_lo_u32 v25, v18, s33
	v_sub_nc_u32_e32 v10, v1, v10
	v_add_nc_u32_e32 v9, v0, v23
	v_sub_nc_u32_e32 v23, v5, v24
	v_mul_lo_u32 v7, v7, s21
	v_add_nc_u32_e32 v10, v0, v10
	s_delay_alu instid0(VALU_DEP_4) | instskip(SKIP_4) | instid1(VALU_DEP_4)
	v_mul_lo_u32 v9, v9, s13
	v_sub_nc_u32_e32 v24, v2, v25
	v_mul_lo_u32 v8, v8, s25
	v_add_nc_u32_e32 v26, v0, v23
	v_mul_lo_u32 v10, v10, s13
	v_add_nc_u32_e32 v28, v0, v24
	s_delay_alu instid0(VALU_DEP_4) | instskip(NEXT) | instid1(VALU_DEP_3)
	v_mad_co_u64_u32 v[22:23], null, v22, s20, v[7:8]
	v_mad_co_u64_u32 v[24:25], null, v16, s12, v[9:10]
	v_mul_lo_u32 v7, v26, s13
	s_delay_alu instid0(VALU_DEP_4)
	v_mul_lo_u32 v9, v28, s13
	v_mad_co_u64_u32 v[26:27], null, v27, s12, v[10:11]
	v_ashrrev_i32_e32 v23, 31, v22
	v_mov_b32_e32 v16, 0
	v_ashrrev_i32_e32 v25, 31, v24
	v_mad_co_u64_u32 v[28:29], null, v13, s24, v[8:9]
	v_mad_co_u64_u32 v[7:8], null, v30, s12, v[7:8]
	;; [unrolled: 1-line block ×3, first 2 shown]
	v_ashrrev_i32_e32 v27, 31, v26
	v_lshlrev_b64_e32 v[24:25], 1, v[24:25]
	v_ashrrev_i32_e32 v29, 31, v28
	v_lshlrev_b64_e32 v[22:23], 1, v[22:23]
	;; [unrolled: 2-line block ×3, first 2 shown]
	v_ashrrev_i32_e32 v10, 31, v9
	v_add_co_u32 v24, vcc_lo, s10, v24
	s_delay_alu instid0(VALU_DEP_4)
	v_lshlrev_b64_e32 v[7:8], 1, v[7:8]
	s_wait_alu 0xfffd
	v_add_co_ci_u32_e64 v25, null, s11, v25, vcc_lo
	v_lshlrev_b64_e32 v[9:10], 1, v[9:10]
	v_add_co_u32 v26, vcc_lo, s10, v26
	s_wait_alu 0xfffd
	v_add_co_ci_u32_e64 v27, null, s11, v27, vcc_lo
	v_add_co_u32 v30, vcc_lo, s10, v7
	s_wait_alu 0xfffd
	v_add_co_ci_u32_e64 v31, null, s11, v8, vcc_lo
	v_lshlrev_b64_e32 v[7:8], 1, v[28:29]
	v_add_co_u32 v32, vcc_lo, s10, v9
	s_wait_alu 0xfffd
	v_add_co_ci_u32_e64 v33, null, s11, v10, vcc_lo
	v_add_co_u32 v22, vcc_lo, s18, v22
	s_wait_alu 0xfffd
	v_add_co_ci_u32_e64 v23, null, s19, v23, vcc_lo
	;; [unrolled: 3-line block ×3, first 2 shown]
	s_clause 0x3
	global_load_u16 v9, v[24:25], off
	global_load_u16 v7, v[26:27], off
	;; [unrolled: 1-line block ×6, first 2 shown]
	s_and_not1_b32 vcc_lo, exec_lo, s35
	s_wait_alu 0xfffe
	s_cbranch_vccnz .LBB25_5
; %bb.4:                                ;   in Loop: Header=BB25_3 Depth=1
	v_mul_hi_u32 v16, v3, s60
	s_delay_alu instid0(VALU_DEP_1) | instskip(SKIP_1) | instid1(VALU_DEP_2)
	v_mul_lo_u32 v18, v16, s53
	v_add_nc_u32_e32 v23, 1, v16
	v_sub_nc_u32_e32 v18, v3, v18
	s_delay_alu instid0(VALU_DEP_1) | instskip(SKIP_3) | instid1(VALU_DEP_3)
	v_subrev_nc_u32_e32 v24, s53, v18
	v_cmp_le_u32_e32 vcc_lo, s53, v18
	s_wait_alu 0xfffd
	v_cndmask_b32_e32 v16, v16, v23, vcc_lo
	v_cndmask_b32_e32 v18, v18, v24, vcc_lo
	v_xor_b32_e32 v24, s59, v4
	s_delay_alu instid0(VALU_DEP_3) | instskip(NEXT) | instid1(VALU_DEP_3)
	v_add_nc_u32_e32 v23, 1, v16
	v_cmp_le_u32_e32 vcc_lo, s53, v18
	s_wait_alu 0xfffd
	s_delay_alu instid0(VALU_DEP_2) | instskip(NEXT) | instid1(VALU_DEP_1)
	v_cndmask_b32_e32 v16, v16, v23, vcc_lo
	v_xor_b32_e32 v16, v16, v24
	s_delay_alu instid0(VALU_DEP_1) | instskip(NEXT) | instid1(VALU_DEP_1)
	v_sub_nc_u32_e32 v18, v16, v24
	v_mad_co_u64_u32 v[23:24], null, s67, v18, v[0:1]
	s_delay_alu instid0(VALU_DEP_1) | instskip(NEXT) | instid1(VALU_DEP_1)
	v_mul_lo_u32 v16, v23, s9
	v_mad_co_u64_u32 v[23:24], null, v18, s8, v[16:17]
	s_delay_alu instid0(VALU_DEP_1) | instskip(NEXT) | instid1(VALU_DEP_1)
	v_ashrrev_i32_e32 v24, 31, v23
	v_lshlrev_b64_e32 v[23:24], 1, v[23:24]
	s_delay_alu instid0(VALU_DEP_1) | instskip(SKIP_1) | instid1(VALU_DEP_2)
	v_add_co_u32 v23, vcc_lo, s4, v23
	s_wait_alu 0xfffd
	v_add_co_ci_u32_e64 v24, null, s5, v24, vcc_lo
	global_load_u16 v16, v[23:24], off
	s_wait_loadcnt 0x0
	v_cvt_f32_f16_e32 v16, v16
.LBB25_5:                               ;   in Loop: Header=BB25_3 Depth=1
	s_and_not1_b32 vcc_lo, exec_lo, s36
	s_wait_alu 0xfffe
	s_cbranch_vccnz .LBB25_7
; %bb.6:                                ;   in Loop: Header=BB25_3 Depth=1
	v_mul_hi_u32 v18, v3, s62
	s_delay_alu instid0(VALU_DEP_1) | instskip(NEXT) | instid1(VALU_DEP_1)
	v_mul_lo_u32 v23, v18, s54
	v_sub_nc_u32_e32 v23, v3, v23
	s_delay_alu instid0(VALU_DEP_1) | instskip(SKIP_2) | instid1(VALU_DEP_2)
	v_subrev_nc_u32_e32 v25, s54, v23
	v_cmp_le_u32_e32 vcc_lo, s54, v23
	s_wait_alu 0xfffd
	v_dual_cndmask_b32 v23, v23, v25 :: v_dual_add_nc_u32 v24, 1, v18
	s_delay_alu instid0(VALU_DEP_1) | instskip(SKIP_1) | instid1(VALU_DEP_3)
	v_cndmask_b32_e32 v18, v18, v24, vcc_lo
	v_xor_b32_e32 v25, s61, v4
	v_cmp_le_u32_e32 vcc_lo, s54, v23
	s_delay_alu instid0(VALU_DEP_3) | instskip(SKIP_1) | instid1(VALU_DEP_1)
	v_add_nc_u32_e32 v24, 1, v18
	s_wait_alu 0xfffd
	v_cndmask_b32_e32 v18, v18, v24, vcc_lo
	s_delay_alu instid0(VALU_DEP_1) | instskip(NEXT) | instid1(VALU_DEP_1)
	v_xor_b32_e32 v18, v18, v25
	v_sub_nc_u32_e32 v25, v18, v25
	s_delay_alu instid0(VALU_DEP_1) | instskip(NEXT) | instid1(VALU_DEP_1)
	v_mad_co_u64_u32 v[23:24], null, s68, v25, v[0:1]
	v_mul_lo_u32 v18, v23, s27
	s_delay_alu instid0(VALU_DEP_1) | instskip(NEXT) | instid1(VALU_DEP_1)
	v_mad_co_u64_u32 v[23:24], null, v25, s26, v[18:19]
	v_ashrrev_i32_e32 v24, 31, v23
	s_delay_alu instid0(VALU_DEP_1) | instskip(NEXT) | instid1(VALU_DEP_1)
	v_lshlrev_b64_e32 v[23:24], 1, v[23:24]
	v_add_co_u32 v23, vcc_lo, s6, v23
	s_wait_alu 0xfffd
	s_delay_alu instid0(VALU_DEP_2)
	v_add_co_ci_u32_e64 v24, null, s7, v24, vcc_lo
	global_load_u16 v18, v[23:24], off
	s_wait_loadcnt 0x0
	v_cvt_f32_f16_e32 v18, v18
	s_branch .LBB25_8
.LBB25_7:                               ;   in Loop: Header=BB25_3 Depth=1
	v_mov_b32_e32 v18, 0
.LBB25_8:                               ;   in Loop: Header=BB25_3 Depth=1
	s_wait_loadcnt 0x0
	v_cvt_f32_f16_e32 v22, v22
                                        ; implicit-def: $vgpr23
	s_delay_alu instid0(VALU_DEP_1)
	v_cmp_ngt_f32_e64 s0, 0x3f200000, |v22|
	s_and_saveexec_b32 s1, s0
	s_wait_alu 0xfffe
	s_xor_b32 s0, exec_lo, s1
	s_cbranch_execz .LBB25_10
; %bb.9:                                ;   in Loop: Header=BB25_3 Depth=1
	v_add_f32_e64 v23, |v22|, |v22|
	s_delay_alu instid0(VALU_DEP_1) | instskip(SKIP_1) | instid1(VALU_DEP_2)
	v_mul_f32_e32 v24, 0x3fb8aa3b, v23
	v_cmp_ngt_f32_e32 vcc_lo, 0xc2ce8ed0, v23
	v_rndne_f32_e32 v25, v24
	v_fma_f32 v26, 0x3fb8aa3b, v23, -v24
	s_delay_alu instid0(VALU_DEP_2) | instskip(NEXT) | instid1(VALU_DEP_2)
	v_sub_f32_e32 v24, v24, v25
	v_fmac_f32_e32 v26, 0x32a5705f, v23
	v_cvt_i32_f32_e32 v25, v25
	s_delay_alu instid0(VALU_DEP_2) | instskip(NEXT) | instid1(VALU_DEP_1)
	v_add_f32_e32 v24, v24, v26
	v_exp_f32_e32 v24, v24
	s_delay_alu instid0(TRANS32_DEP_1) | instskip(SKIP_1) | instid1(VALU_DEP_1)
	v_ldexp_f32 v24, v24, v25
	s_wait_alu 0xfffd
	v_cndmask_b32_e32 v24, 0, v24, vcc_lo
	v_cmp_nlt_f32_e32 vcc_lo, 0x42b17218, v23
	s_wait_alu 0xfffd
	s_delay_alu instid0(VALU_DEP_2) | instskip(NEXT) | instid1(VALU_DEP_1)
	v_cndmask_b32_e32 v23, 0x7f800000, v24, vcc_lo
	v_add_f32_e32 v23, 1.0, v23
	s_delay_alu instid0(VALU_DEP_1) | instskip(NEXT) | instid1(TRANS32_DEP_1)
	v_rcp_f32_e32 v23, v23
	v_fma_f32 v23, v23, -2.0, 1.0
.LBB25_10:                              ;   in Loop: Header=BB25_3 Depth=1
	s_wait_alu 0xfffe
	s_and_not1_saveexec_b32 s0, s0
	s_cbranch_execz .LBB25_2
; %bb.11:                               ;   in Loop: Header=BB25_3 Depth=1
	v_mul_f32_e32 v23, v22, v22
	s_delay_alu instid0(VALU_DEP_1) | instskip(NEXT) | instid1(VALU_DEP_1)
	v_fmaak_f32 v24, s69, v23, 0x3ca908c9
	v_fmaak_f32 v24, v23, v24, 0xbd5c1c4e
	s_delay_alu instid0(VALU_DEP_1) | instskip(NEXT) | instid1(VALU_DEP_1)
	v_fmaak_f32 v24, v23, v24, 0x3e088382
	v_fmaak_f32 v24, v23, v24, 0xbeaaaa99
	s_delay_alu instid0(VALU_DEP_1) | instskip(NEXT) | instid1(VALU_DEP_1)
	v_mul_f32_e64 v24, |v22|, v24
	v_fma_f32 v23, v23, v24, |v22|
	s_branch .LBB25_2
.LBB25_12:
	s_endpgm
	.section	.rodata,"a",@progbits
	.p2align	6, 0x0
	.amdhsa_kernel _ZN2at6native12_GLOBAL__N_16kernel18lstm_cell_backwardIN3c104HalfEfiLi2EEEvNS_4cuda6detail10TensorInfoIT_T1_EESB_SB_SB_SB_SB_SB_SA_SA_
		.amdhsa_group_segment_fixed_size 0
		.amdhsa_private_segment_fixed_size 0
		.amdhsa_kernarg_size 1776
		.amdhsa_user_sgpr_count 2
		.amdhsa_user_sgpr_dispatch_ptr 0
		.amdhsa_user_sgpr_queue_ptr 0
		.amdhsa_user_sgpr_kernarg_segment_ptr 1
		.amdhsa_user_sgpr_dispatch_id 0
		.amdhsa_user_sgpr_private_segment_size 0
		.amdhsa_wavefront_size32 1
		.amdhsa_uses_dynamic_stack 0
		.amdhsa_enable_private_segment 0
		.amdhsa_system_sgpr_workgroup_id_x 1
		.amdhsa_system_sgpr_workgroup_id_y 0
		.amdhsa_system_sgpr_workgroup_id_z 0
		.amdhsa_system_sgpr_workgroup_info 0
		.amdhsa_system_vgpr_workitem_id 0
		.amdhsa_next_free_vgpr 37
		.amdhsa_next_free_sgpr 71
		.amdhsa_reserve_vcc 1
		.amdhsa_float_round_mode_32 0
		.amdhsa_float_round_mode_16_64 0
		.amdhsa_float_denorm_mode_32 3
		.amdhsa_float_denorm_mode_16_64 3
		.amdhsa_fp16_overflow 0
		.amdhsa_workgroup_processor_mode 1
		.amdhsa_memory_ordered 1
		.amdhsa_forward_progress 1
		.amdhsa_inst_pref_size 29
		.amdhsa_round_robin_scheduling 0
		.amdhsa_exception_fp_ieee_invalid_op 0
		.amdhsa_exception_fp_denorm_src 0
		.amdhsa_exception_fp_ieee_div_zero 0
		.amdhsa_exception_fp_ieee_overflow 0
		.amdhsa_exception_fp_ieee_underflow 0
		.amdhsa_exception_fp_ieee_inexact 0
		.amdhsa_exception_int_div_zero 0
	.end_amdhsa_kernel
	.section	.text._ZN2at6native12_GLOBAL__N_16kernel18lstm_cell_backwardIN3c104HalfEfiLi2EEEvNS_4cuda6detail10TensorInfoIT_T1_EESB_SB_SB_SB_SB_SB_SA_SA_,"axG",@progbits,_ZN2at6native12_GLOBAL__N_16kernel18lstm_cell_backwardIN3c104HalfEfiLi2EEEvNS_4cuda6detail10TensorInfoIT_T1_EESB_SB_SB_SB_SB_SB_SA_SA_,comdat
.Lfunc_end25:
	.size	_ZN2at6native12_GLOBAL__N_16kernel18lstm_cell_backwardIN3c104HalfEfiLi2EEEvNS_4cuda6detail10TensorInfoIT_T1_EESB_SB_SB_SB_SB_SB_SA_SA_, .Lfunc_end25-_ZN2at6native12_GLOBAL__N_16kernel18lstm_cell_backwardIN3c104HalfEfiLi2EEEvNS_4cuda6detail10TensorInfoIT_T1_EESB_SB_SB_SB_SB_SB_SA_SA_
                                        ; -- End function
	.set _ZN2at6native12_GLOBAL__N_16kernel18lstm_cell_backwardIN3c104HalfEfiLi2EEEvNS_4cuda6detail10TensorInfoIT_T1_EESB_SB_SB_SB_SB_SB_SA_SA_.num_vgpr, 37
	.set _ZN2at6native12_GLOBAL__N_16kernel18lstm_cell_backwardIN3c104HalfEfiLi2EEEvNS_4cuda6detail10TensorInfoIT_T1_EESB_SB_SB_SB_SB_SB_SA_SA_.num_agpr, 0
	.set _ZN2at6native12_GLOBAL__N_16kernel18lstm_cell_backwardIN3c104HalfEfiLi2EEEvNS_4cuda6detail10TensorInfoIT_T1_EESB_SB_SB_SB_SB_SB_SA_SA_.numbered_sgpr, 71
	.set _ZN2at6native12_GLOBAL__N_16kernel18lstm_cell_backwardIN3c104HalfEfiLi2EEEvNS_4cuda6detail10TensorInfoIT_T1_EESB_SB_SB_SB_SB_SB_SA_SA_.num_named_barrier, 0
	.set _ZN2at6native12_GLOBAL__N_16kernel18lstm_cell_backwardIN3c104HalfEfiLi2EEEvNS_4cuda6detail10TensorInfoIT_T1_EESB_SB_SB_SB_SB_SB_SA_SA_.private_seg_size, 0
	.set _ZN2at6native12_GLOBAL__N_16kernel18lstm_cell_backwardIN3c104HalfEfiLi2EEEvNS_4cuda6detail10TensorInfoIT_T1_EESB_SB_SB_SB_SB_SB_SA_SA_.uses_vcc, 1
	.set _ZN2at6native12_GLOBAL__N_16kernel18lstm_cell_backwardIN3c104HalfEfiLi2EEEvNS_4cuda6detail10TensorInfoIT_T1_EESB_SB_SB_SB_SB_SB_SA_SA_.uses_flat_scratch, 0
	.set _ZN2at6native12_GLOBAL__N_16kernel18lstm_cell_backwardIN3c104HalfEfiLi2EEEvNS_4cuda6detail10TensorInfoIT_T1_EESB_SB_SB_SB_SB_SB_SA_SA_.has_dyn_sized_stack, 0
	.set _ZN2at6native12_GLOBAL__N_16kernel18lstm_cell_backwardIN3c104HalfEfiLi2EEEvNS_4cuda6detail10TensorInfoIT_T1_EESB_SB_SB_SB_SB_SB_SA_SA_.has_recursion, 0
	.set _ZN2at6native12_GLOBAL__N_16kernel18lstm_cell_backwardIN3c104HalfEfiLi2EEEvNS_4cuda6detail10TensorInfoIT_T1_EESB_SB_SB_SB_SB_SB_SA_SA_.has_indirect_call, 0
	.section	.AMDGPU.csdata,"",@progbits
; Kernel info:
; codeLenInByte = 3656
; TotalNumSgprs: 73
; NumVgprs: 37
; ScratchSize: 0
; MemoryBound: 0
; FloatMode: 240
; IeeeMode: 1
; LDSByteSize: 0 bytes/workgroup (compile time only)
; SGPRBlocks: 0
; VGPRBlocks: 4
; NumSGPRsForWavesPerEU: 73
; NumVGPRsForWavesPerEU: 37
; Occupancy: 16
; WaveLimiterHint : 1
; COMPUTE_PGM_RSRC2:SCRATCH_EN: 0
; COMPUTE_PGM_RSRC2:USER_SGPR: 2
; COMPUTE_PGM_RSRC2:TRAP_HANDLER: 0
; COMPUTE_PGM_RSRC2:TGID_X_EN: 1
; COMPUTE_PGM_RSRC2:TGID_Y_EN: 0
; COMPUTE_PGM_RSRC2:TGID_Z_EN: 0
; COMPUTE_PGM_RSRC2:TIDIG_COMP_CNT: 0
	.section	.text._ZN2at6native12_GLOBAL__N_16kernel18lstm_cell_backwardIN3c104HalfEflLi1EEEvNS_4cuda6detail10TensorInfoIT_T1_EESB_SB_SB_SB_SB_SB_SA_SA_,"axG",@progbits,_ZN2at6native12_GLOBAL__N_16kernel18lstm_cell_backwardIN3c104HalfEflLi1EEEvNS_4cuda6detail10TensorInfoIT_T1_EESB_SB_SB_SB_SB_SB_SA_SA_,comdat
	.globl	_ZN2at6native12_GLOBAL__N_16kernel18lstm_cell_backwardIN3c104HalfEflLi1EEEvNS_4cuda6detail10TensorInfoIT_T1_EESB_SB_SB_SB_SB_SB_SA_SA_ ; -- Begin function _ZN2at6native12_GLOBAL__N_16kernel18lstm_cell_backwardIN3c104HalfEflLi1EEEvNS_4cuda6detail10TensorInfoIT_T1_EESB_SB_SB_SB_SB_SB_SA_SA_
	.p2align	8
	.type	_ZN2at6native12_GLOBAL__N_16kernel18lstm_cell_backwardIN3c104HalfEflLi1EEEvNS_4cuda6detail10TensorInfoIT_T1_EESB_SB_SB_SB_SB_SB_SA_SA_,@function
_ZN2at6native12_GLOBAL__N_16kernel18lstm_cell_backwardIN3c104HalfEflLi1EEEvNS_4cuda6detail10TensorInfoIT_T1_EESB_SB_SB_SB_SB_SB_SA_SA_: ; @_ZN2at6native12_GLOBAL__N_16kernel18lstm_cell_backwardIN3c104HalfEflLi1EEEvNS_4cuda6detail10TensorInfoIT_T1_EESB_SB_SB_SB_SB_SB_SA_SA_
; %bb.0:
	s_clause 0x1
	s_load_b32 s2, s[0:1], 0xb7c
	s_load_b128 s[4:7], s[0:1], 0xb60
	v_mov_b32_e32 v1, 0
	s_wait_kmcnt 0x0
	s_and_b32 s16, s2, 0xffff
	s_mov_b32 s2, exec_lo
	s_delay_alu instid0(VALU_DEP_1) | instskip(SKIP_1) | instid1(VALU_DEP_1)
	v_mad_co_u64_u32 v[3:4], null, ttmp9, s16, v[0:1]
	v_mov_b32_e32 v4, v1
	v_cmpx_gt_i64_e64 s[6:7], v[3:4]
	s_cbranch_execz .LBB26_15
; %bb.1:
	s_clause 0x4
	s_load_b64 s[18:19], s[0:1], 0x410
	s_load_b64 s[24:25], s[0:1], 0x680
	;; [unrolled: 1-line block ×5, first 2 shown]
	s_add_nc_u64 s[14:15], s[0:1], 0xb70
	s_clause 0x4
	s_load_b64 s[2:3], s[0:1], 0x0
	s_load_b64 s[8:9], s[0:1], 0xd0
	s_load_b64 s[10:11], s[0:1], 0x1a0
	s_load_b64 s[12:13], s[0:1], 0x270
	s_load_b64 s[26:27], s[0:1], 0x820
	s_load_b32 s34, s[14:15], 0x0
	s_clause 0x3
	s_load_b64 s[30:31], s[0:1], 0x750
	s_load_b64 s[28:29], s[0:1], 0x8f0
	;; [unrolled: 1-line block ×4, first 2 shown]
	s_mov_b32 s1, 0
	s_mul_u64 s[14:15], s[4:5], 3
	s_wait_alu 0xfffe
	s_mov_b32 s17, s1
	s_mov_b32 s35, 1.0
	s_wait_kmcnt 0x0
	v_mul_lo_u32 v0, 0, s18
	v_mul_lo_u32 v2, v3, s19
	v_mad_co_u64_u32 v[5:6], null, v3, s18, 0
	v_mul_lo_u32 v9, 0, s36
	v_mul_lo_u32 v10, v3, s37
	v_mad_co_u64_u32 v[7:8], null, v3, s36, 0
	v_mad_co_u64_u32 v[11:12], null, v3, s30, 0
	v_add3_u32 v6, v6, v2, v0
	v_mul_lo_u32 v0, 0, s40
	v_mul_lo_u32 v2, v3, s41
	;; [unrolled: 1-line block ×3, first 2 shown]
	v_add3_u32 v8, v8, v10, v9
	v_mad_co_u64_u32 v[9:10], null, v3, s40, 0
	v_mul_lo_u32 v16, v3, s29
	v_mad_co_u64_u32 v[13:14], null, v3, s28, 0
	v_lshlrev_b64_e32 v[5:6], 1, v[5:6]
	v_lshlrev_b64_e32 v[7:8], 1, v[7:8]
	s_cmp_lg_u64 s[24:25], 0
	v_add3_u32 v10, v10, v2, v0
	v_mul_lo_u32 v0, 0, s30
	v_mul_lo_u32 v2, v3, s31
	v_add3_u32 v14, v14, v16, v15
	v_add_co_u32 v5, vcc_lo, s20, v5
	v_lshlrev_b64_e32 v[9:10], 1, v[9:10]
	v_add_co_ci_u32_e64 v6, null, s21, v6, vcc_lo
	v_add_co_u32 v7, vcc_lo, s22, v7
	v_add3_u32 v12, v12, v2, v0
	v_cvt_f32_u32_e32 v0, s4
	v_lshlrev_b64_e32 v[13:14], 1, v[13:14]
	s_wait_alu 0xfffd
	v_add_co_ci_u32_e64 v8, null, s23, v8, vcc_lo
	v_lshlrev_b64_e32 v[11:12], 1, v[11:12]
	v_rcp_iflag_f32_e32 v0, v0
	v_add_co_u32 v9, vcc_lo, s38, v9
	s_wait_alu 0xfffd
	v_add_co_ci_u32_e64 v10, null, s39, v10, vcc_lo
	s_delay_alu instid0(VALU_DEP_3) | instskip(SKIP_3) | instid1(TRANS32_DEP_1)
	v_add_co_u32 v11, vcc_lo, s24, v11
	s_wait_alu 0xfffd
	v_add_co_ci_u32_e64 v12, null, s25, v12, vcc_lo
	v_add_co_u32 v13, vcc_lo, s26, v13
	v_mul_f32_e32 v0, 0x4f7ffffe, v0
	s_mul_i32 s16, s34, s16
	s_wait_alu 0xfffd
	v_add_co_ci_u32_e64 v14, null, s27, v14, vcc_lo
	s_cselect_b32 s33, -1, 0
	v_cvt_u32_f32_e32 v0, v0
	s_cmp_lg_u64 s[26:27], 0
	s_wait_alu 0xfffe
	s_mul_u64 s[18:19], s[16:17], s[18:19]
	s_mul_u64 s[20:21], s[16:17], s[36:37]
	;; [unrolled: 1-line block ×5, first 2 shown]
	s_cselect_b32 s34, -1, 0
	s_wait_alu 0xfffe
	s_lshl_b64 s[18:19], s[18:19], 1
	s_lshl_b64 s[20:21], s[20:21], 1
	;; [unrolled: 1-line block ×5, first 2 shown]
	s_ashr_i32 s28, s5, 31
	s_mov_b32 s17, 0xbbbac73d
	s_mov_b32 s36, 0
	s_branch .LBB26_3
.LBB26_2:                               ;   in Loop: Header=BB26_3 Depth=1
	s_wait_alu 0xfffe
	s_or_b32 exec_lo, exec_lo, s0
	v_mul_lo_u32 v22, v22, s12
	v_mul_lo_u32 v33, v15, s13
	v_mad_co_u64_u32 v[31:32], null, v15, s12, 0
	v_mul_lo_u32 v34, v28, s12
	v_mul_lo_u32 v35, v16, s13
	v_mad_co_u64_u32 v[15:16], null, v16, s12, 0
	v_add_co_u32 v13, s0, v13, s26
	v_add3_u32 v32, v32, v33, v22
	v_mul_lo_u32 v22, v27, s12
	v_mul_lo_u32 v33, v19, s13
	v_mad_co_u64_u32 v[27:28], null, v19, s12, 0
	v_add3_u32 v16, v16, v35, v34
	v_mul_lo_u32 v19, v24, s12
	v_cvt_f32_f16_e32 v24, v18
	v_cvt_f32_f16_e32 v35, v2
	v_lshlrev_b64_e32 v[31:32], 1, v[31:32]
	v_lshlrev_b64_e32 v[15:16], 1, v[15:16]
	v_add3_u32 v28, v28, v33, v22
	v_mul_lo_u32 v22, v17, s13
	v_mad_co_u64_u32 v[33:34], null, v17, s12, 0
	v_bfi_b32 v17, 0x7fffffff, v30, v29
	v_mul_f32_e32 v29, v25, v24
	v_sub_f32_e32 v24, 1.0, v24
	v_lshlrev_b64_e32 v[27:28], 1, v[27:28]
	v_add_co_u32 v31, vcc_lo, s10, v31
	v_fma_f32 v30, -v17, v17, 1.0
	v_add3_u32 v34, v34, v22, v19
	v_cvt_f32_f16_e32 v19, v23
	v_cvt_f32_f16_e32 v22, v26
	;; [unrolled: 1-line block ×3, first 2 shown]
	v_fmac_f32_e32 v21, v29, v30
	v_mul_f32_e32 v17, v25, v17
	v_lshlrev_b64_e32 v[29:30], 1, v[33:34]
	s_delay_alu instid0(VALU_DEP_4) | instskip(NEXT) | instid1(VALU_DEP_3)
	v_dual_sub_f32 v34, 1.0, v35 :: v_dual_sub_f32 v33, 1.0, v26
	v_dual_mul_f32 v22, v21, v22 :: v_dual_mul_f32 v17, v24, v17
	v_mul_f32_e32 v19, v21, v19
	s_wait_alu 0xfffd
	v_add_co_ci_u32_e64 v32, null, s11, v32, vcc_lo
	v_add_co_u32 v15, vcc_lo, s10, v15
	s_wait_alu 0xfffd
	v_add_co_ci_u32_e64 v16, null, s11, v16, vcc_lo
	v_add_co_u32 v27, vcc_lo, s10, v27
	v_mul_f32_e32 v25, v21, v26
	v_dual_mul_f32 v26, v34, v22 :: v_dual_mul_f32 v19, v33, v19
	s_wait_alu 0xfffd
	v_add_co_ci_u32_e64 v28, null, s11, v28, vcc_lo
	v_fma_mix_f32 v33, -v23, v23, s35 op_sel_hi:[1,1,0]
	v_add_co_u32 v22, vcc_lo, s10, v29
	s_wait_alu 0xfffd
	v_add_co_ci_u32_e64 v23, null, s11, v30, vcc_lo
	v_add_co_u32 v3, vcc_lo, v3, s16
	v_fma_mixlo_f16 v19, v19, v20, 0 op_sel_hi:[0,1,0]
	v_fma_mixlo_f16 v20, v26, v2, 0 op_sel_hi:[0,1,0]
	s_wait_alu 0xfffd
	v_add_co_ci_u32_e64 v4, null, 0, v4, vcc_lo
	v_add_co_u32 v5, vcc_lo, v5, s18
	v_fma_mixlo_f16 v24, v33, v25, 0
	v_fma_mixlo_f16 v17, v17, v18, 0 op_sel_hi:[0,1,0]
	s_wait_alu 0xfffd
	v_add_co_ci_u32_e64 v6, null, s19, v6, vcc_lo
	v_add_co_u32 v7, vcc_lo, v7, s20
	v_fma_mixlo_f16 v2, v21, v2, 0 op_sel_hi:[0,1,0]
	s_clause 0x3
	global_store_b16 v[31:32], v19, off
	global_store_b16 v[15:16], v20, off
	;; [unrolled: 1-line block ×5, first 2 shown]
	s_wait_alu 0xfffd
	v_add_co_ci_u32_e64 v8, null, s21, v8, vcc_lo
	v_add_co_u32 v9, vcc_lo, v9, s22
	s_wait_alu 0xfffd
	v_add_co_ci_u32_e64 v10, null, s23, v10, vcc_lo
	v_add_co_u32 v11, vcc_lo, v11, s24
	s_wait_alu 0xfffd
	v_add_co_ci_u32_e64 v12, null, s25, v12, vcc_lo
	v_cmp_le_i64_e32 vcc_lo, s[6:7], v[3:4]
	s_wait_alu 0xf1ff
	v_add_co_ci_u32_e64 v14, null, s27, v14, s0
	s_or_b32 s36, vcc_lo, s36
	s_wait_alu 0xfffe
	s_and_not1_b32 exec_lo, exec_lo, s36
	s_cbranch_execz .LBB26_15
.LBB26_3:                               ; =>This Inner Loop Header: Depth=1
	v_or_b32_e32 v2, s5, v4
                                        ; implicit-def: $vgpr17_vgpr18
	s_mov_b32 s0, exec_lo
	s_delay_alu instid0(VALU_DEP_1)
	v_cmpx_ne_u64_e32 0, v[1:2]
	s_wait_alu 0xfffe
	s_xor_b32 s37, exec_lo, s0
	s_cbranch_execz .LBB26_5
; %bb.4:                                ;   in Loop: Header=BB26_3 Depth=1
	s_mov_b32 s29, s28
	v_ashrrev_i32_e32 v2, 31, v4
	s_wait_alu 0xfffe
	s_add_nc_u64 s[30:31], s[4:5], s[28:29]
	s_wait_alu 0xfffe
	s_xor_b64 s[30:31], s[30:31], s[28:29]
	v_add_co_u32 v15, vcc_lo, v3, v2
	s_wait_alu 0xfffe
	s_cvt_f32_u32 s0, s30
	s_cvt_f32_u32 s29, s31
	s_sub_nc_u64 s[40:41], 0, s[30:31]
	s_wait_alu 0xfffd
	v_add_co_ci_u32_e64 v16, null, v4, v2, vcc_lo
	s_wait_alu 0xfffe
	s_fmamk_f32 s0, s29, 0x4f800000, s0
	v_xor_b32_e32 v21, v15, v2
	s_delay_alu instid0(VALU_DEP_2) | instskip(SKIP_3) | instid1(TRANS32_DEP_1)
	v_xor_b32_e32 v22, v16, v2
	s_wait_alu 0xfffe
	v_s_rcp_f32 s0, s0
	v_xor_b32_e32 v2, s28, v2
	s_mul_f32 s0, s0, 0x5f7ffffc
	s_wait_alu 0xfffe
	s_delay_alu instid0(SALU_CYCLE_2) | instskip(SKIP_1) | instid1(SALU_CYCLE_2)
	s_mul_f32 s29, s0, 0x2f800000
	s_wait_alu 0xfffe
	s_trunc_f32 s29, s29
	s_wait_alu 0xfffe
	s_delay_alu instid0(SALU_CYCLE_2) | instskip(SKIP_2) | instid1(SALU_CYCLE_1)
	s_fmamk_f32 s0, s29, 0xcf800000, s0
	s_cvt_u32_f32 s39, s29
	s_wait_alu 0xfffe
	s_cvt_u32_f32 s38, s0
	s_wait_alu 0xfffe
	s_delay_alu instid0(SALU_CYCLE_2) | instskip(NEXT) | instid1(SALU_CYCLE_1)
	s_mul_u64 s[42:43], s[40:41], s[38:39]
	s_mul_hi_u32 s45, s38, s43
	s_mul_i32 s44, s38, s43
	s_mul_hi_u32 s0, s38, s42
	s_mul_i32 s46, s39, s42
	s_wait_alu 0xfffe
	s_add_nc_u64 s[44:45], s[0:1], s[44:45]
	s_mul_hi_u32 s29, s39, s42
	s_mul_hi_u32 s47, s39, s43
	s_add_co_u32 s0, s44, s46
	s_wait_alu 0xfffe
	s_add_co_ci_u32 s0, s45, s29
	s_mul_i32 s42, s39, s43
	s_add_co_ci_u32 s43, s47, 0
	s_wait_alu 0xfffe
	s_add_nc_u64 s[42:43], s[0:1], s[42:43]
	s_delay_alu instid0(SALU_CYCLE_1)
	s_add_co_u32 s38, s38, s42
	s_cselect_b32 s0, -1, 0
	s_wait_alu 0xfffe
	s_cmp_lg_u32 s0, 0
	s_add_co_ci_u32 s39, s39, s43
	s_wait_alu 0xfffe
	s_mul_u64 s[40:41], s[40:41], s[38:39]
	s_wait_alu 0xfffe
	s_mul_hi_u32 s43, s38, s41
	s_mul_i32 s42, s38, s41
	s_mul_hi_u32 s0, s38, s40
	s_mul_i32 s44, s39, s40
	s_wait_alu 0xfffe
	s_add_nc_u64 s[42:43], s[0:1], s[42:43]
	s_mul_hi_u32 s29, s39, s40
	s_mul_hi_u32 s45, s39, s41
	s_add_co_u32 s0, s42, s44
	s_wait_alu 0xfffe
	s_add_co_ci_u32 s0, s43, s29
	s_mul_i32 s40, s39, s41
	s_add_co_ci_u32 s41, s45, 0
	s_wait_alu 0xfffe
	s_add_nc_u64 s[40:41], s[0:1], s[40:41]
	s_wait_alu 0xfffe
	s_add_co_u32 s0, s38, s40
	s_cselect_b32 s29, -1, 0
	s_wait_alu 0xfffe
	v_mul_hi_u32 v23, v21, s0
	s_cmp_lg_u32 s29, 0
	v_mad_co_u64_u32 v[17:18], null, v22, s0, 0
	s_add_co_ci_u32 s29, s39, s41
	s_wait_alu 0xfffe
	v_mad_co_u64_u32 v[15:16], null, v21, s29, 0
	v_mad_co_u64_u32 v[19:20], null, v22, s29, 0
	s_delay_alu instid0(VALU_DEP_2) | instskip(SKIP_1) | instid1(VALU_DEP_3)
	v_add_co_u32 v15, vcc_lo, v23, v15
	s_wait_alu 0xfffd
	v_add_co_ci_u32_e64 v16, null, 0, v16, vcc_lo
	s_delay_alu instid0(VALU_DEP_2) | instskip(SKIP_1) | instid1(VALU_DEP_2)
	v_add_co_u32 v15, vcc_lo, v15, v17
	s_wait_alu 0xfffd
	v_add_co_ci_u32_e32 v15, vcc_lo, v16, v18, vcc_lo
	s_wait_alu 0xfffd
	v_add_co_ci_u32_e32 v16, vcc_lo, 0, v20, vcc_lo
	s_delay_alu instid0(VALU_DEP_2) | instskip(SKIP_1) | instid1(VALU_DEP_2)
	v_add_co_u32 v17, vcc_lo, v15, v19
	s_wait_alu 0xfffd
	v_add_co_ci_u32_e64 v18, null, 0, v16, vcc_lo
	s_delay_alu instid0(VALU_DEP_2) | instskip(SKIP_1) | instid1(VALU_DEP_3)
	v_mul_lo_u32 v19, s31, v17
	v_mad_co_u64_u32 v[15:16], null, s30, v17, 0
	v_mul_lo_u32 v20, s30, v18
	s_delay_alu instid0(VALU_DEP_2) | instskip(NEXT) | instid1(VALU_DEP_2)
	v_sub_co_u32 v15, vcc_lo, v21, v15
	v_add3_u32 v16, v16, v20, v19
	v_add_co_u32 v20, s0, v17, 2
	s_wait_alu 0xf1ff
	v_add_co_ci_u32_e64 v21, null, 0, v18, s0
	s_delay_alu instid0(VALU_DEP_3) | instskip(SKIP_3) | instid1(VALU_DEP_3)
	v_sub_nc_u32_e32 v19, v22, v16
	v_sub_co_u32 v23, s0, v15, s30
	s_wait_alu 0xfffd
	v_sub_co_ci_u32_e64 v16, null, v22, v16, vcc_lo
	v_subrev_co_ci_u32_e64 v19, null, s31, v19, vcc_lo
	s_delay_alu instid0(VALU_DEP_3) | instskip(SKIP_1) | instid1(VALU_DEP_2)
	v_cmp_le_u32_e32 vcc_lo, s30, v23
	s_wait_alu 0xf1ff
	v_subrev_co_ci_u32_e64 v19, null, 0, v19, s0
	s_wait_alu 0xfffd
	v_cndmask_b32_e64 v22, 0, -1, vcc_lo
	s_delay_alu instid0(VALU_DEP_2)
	v_cmp_le_u32_e32 vcc_lo, s31, v19
	s_wait_alu 0xfffd
	v_cndmask_b32_e64 v23, 0, -1, vcc_lo
	v_cmp_le_u32_e32 vcc_lo, s30, v15
	s_wait_alu 0xfffd
	v_cndmask_b32_e64 v15, 0, -1, vcc_lo
	;; [unrolled: 3-line block ×3, first 2 shown]
	v_cmp_eq_u32_e32 vcc_lo, s31, v19
	s_wait_alu 0xfffd
	v_cndmask_b32_e32 v19, v23, v22, vcc_lo
	v_add_co_u32 v22, vcc_lo, v17, 1
	s_wait_alu 0xfffd
	v_add_co_ci_u32_e64 v23, null, 0, v18, vcc_lo
	v_cmp_eq_u32_e32 vcc_lo, s31, v16
	s_wait_alu 0xfffd
	v_cndmask_b32_e32 v15, v24, v15, vcc_lo
	v_cmp_ne_u32_e32 vcc_lo, 0, v19
	s_wait_alu 0xfffd
	v_cndmask_b32_e32 v16, v23, v21, vcc_lo
	s_delay_alu instid0(VALU_DEP_3) | instskip(SKIP_2) | instid1(VALU_DEP_2)
	v_cmp_ne_u32_e64 s0, 0, v15
	v_cndmask_b32_e32 v15, v22, v20, vcc_lo
	s_wait_alu 0xf1ff
	v_cndmask_b32_e64 v16, v18, v16, s0
	s_delay_alu instid0(VALU_DEP_2) | instskip(NEXT) | instid1(VALU_DEP_2)
	v_cndmask_b32_e64 v15, v17, v15, s0
	v_xor_b32_e32 v16, v16, v2
	s_delay_alu instid0(VALU_DEP_2) | instskip(NEXT) | instid1(VALU_DEP_1)
	v_xor_b32_e32 v15, v15, v2
	v_sub_co_u32 v17, vcc_lo, v15, v2
	s_wait_alu 0xfffd
	s_delay_alu instid0(VALU_DEP_3)
	v_sub_co_ci_u32_e64 v18, null, v16, v2, vcc_lo
.LBB26_5:                               ;   in Loop: Header=BB26_3 Depth=1
	s_wait_alu 0xfffe
	s_and_not1_saveexec_b32 s0, s37
	s_cbranch_execz .LBB26_7
; %bb.6:                                ;   in Loop: Header=BB26_3 Depth=1
	s_sub_co_i32 s29, 0, s4
	v_mov_b32_e32 v18, v1
	s_wait_alu 0xfffe
	v_mul_lo_u32 v2, s29, v0
	s_delay_alu instid0(VALU_DEP_1) | instskip(NEXT) | instid1(VALU_DEP_1)
	v_mul_hi_u32 v2, v0, v2
	v_add_nc_u32_e32 v2, v0, v2
	s_delay_alu instid0(VALU_DEP_1) | instskip(NEXT) | instid1(VALU_DEP_1)
	v_mul_hi_u32 v2, v3, v2
	v_mul_lo_u32 v15, v2, s4
	v_add_nc_u32_e32 v16, 1, v2
	s_delay_alu instid0(VALU_DEP_2) | instskip(NEXT) | instid1(VALU_DEP_1)
	v_sub_nc_u32_e32 v15, v3, v15
	v_subrev_nc_u32_e32 v17, s4, v15
	v_cmp_le_u32_e32 vcc_lo, s4, v15
	s_wait_alu 0xfffd
	s_delay_alu instid0(VALU_DEP_2) | instskip(NEXT) | instid1(VALU_DEP_1)
	v_dual_cndmask_b32 v15, v15, v17 :: v_dual_cndmask_b32 v2, v2, v16
	v_cmp_le_u32_e32 vcc_lo, s4, v15
	s_delay_alu instid0(VALU_DEP_2) | instskip(SKIP_1) | instid1(VALU_DEP_1)
	v_add_nc_u32_e32 v16, 1, v2
	s_wait_alu 0xfffd
	v_cndmask_b32_e32 v17, v2, v16, vcc_lo
.LBB26_7:                               ;   in Loop: Header=BB26_3 Depth=1
	s_wait_alu 0xfffe
	s_or_b32 exec_lo, exec_lo, s0
	s_delay_alu instid0(VALU_DEP_1) | instskip(SKIP_3) | instid1(VALU_DEP_4)
	v_mad_co_u64_u32 v[19:20], null, v17, 3, 0
	v_mad_co_u64_u32 v[15:16], null, s14, v17, v[3:4]
	v_mul_lo_u32 v21, s14, v18
	v_mul_lo_u32 v17, s15, v17
	v_mov_b32_e32 v2, v20
	s_delay_alu instid0(VALU_DEP_4) | instskip(NEXT) | instid1(VALU_DEP_3)
	v_mad_co_u64_u32 v[25:26], null, v15, s8, 0
	v_add3_u32 v22, v17, v16, v21
	s_delay_alu instid0(VALU_DEP_3) | instskip(SKIP_2) | instid1(VALU_DEP_4)
	v_mad_co_u64_u32 v[23:24], null, v18, 3, v[2:3]
	v_add_co_u32 v16, vcc_lo, v19, 1
	v_mul_lo_u32 v2, v15, s9
	v_mul_lo_u32 v24, v22, s8
	s_delay_alu instid0(VALU_DEP_3)
	v_mul_lo_u32 v21, s5, v16
	s_wait_alu 0xfffd
	v_add_co_ci_u32_e64 v18, null, 0, v23, vcc_lo
	v_add_co_u32 v20, vcc_lo, v19, 2
	v_mad_co_u64_u32 v[16:17], null, s4, v16, v[3:4]
	s_wait_alu 0xfffd
	v_add_co_ci_u32_e64 v27, null, 0, v23, vcc_lo
	v_mul_lo_u32 v18, s4, v18
	v_add_co_u32 v29, vcc_lo, v19, 3
	s_wait_alu 0xfffd
	v_add_co_ci_u32_e64 v23, null, 0, v23, vcc_lo
	v_mul_lo_u32 v30, s5, v20
	v_mad_co_u64_u32 v[19:20], null, s4, v20, v[3:4]
	v_mul_lo_u32 v27, s4, v27
	v_add3_u32 v28, v21, v17, v18
	v_mul_lo_u32 v31, s5, v29
	v_mad_co_u64_u32 v[17:18], null, s4, v29, v[3:4]
	v_mul_lo_u32 v23, s4, v23
	s_delay_alu instid0(VALU_DEP_4)
	v_mul_lo_u32 v32, v28, s8
	v_mul_lo_u32 v33, v16, s9
	v_add3_u32 v27, v30, v20, v27
	v_mad_co_u64_u32 v[20:21], null, v16, s8, 0
	v_add3_u32 v26, v26, v2, v24
	v_mul_lo_u32 v34, v19, s9
	v_add3_u32 v24, v31, v18, v23
	v_mul_lo_u32 v2, v27, s8
	v_mad_co_u64_u32 v[29:30], null, v19, s8, 0
	v_add3_u32 v21, v21, v33, v32
	s_delay_alu instid0(VALU_DEP_4)
	v_mul_lo_u32 v18, v24, s8
	v_mul_lo_u32 v23, v17, s9
	v_mad_co_u64_u32 v[31:32], null, v17, s8, 0
	v_lshlrev_b64_e32 v[25:26], 1, v[25:26]
	v_lshlrev_b64_e32 v[20:21], 1, v[20:21]
	v_add3_u32 v30, v30, v34, v2
	s_delay_alu instid0(VALU_DEP_4) | instskip(NEXT) | instid1(VALU_DEP_4)
	v_add3_u32 v32, v32, v23, v18
	v_add_co_u32 v25, vcc_lo, s2, v25
	s_wait_alu 0xfffd
	v_add_co_ci_u32_e64 v26, null, s3, v26, vcc_lo
	v_lshlrev_b64_e32 v[29:30], 1, v[29:30]
	v_add_co_u32 v33, vcc_lo, s2, v20
	s_wait_alu 0xfffd
	v_add_co_ci_u32_e64 v34, null, s3, v21, vcc_lo
	v_lshlrev_b64_e32 v[20:21], 1, v[31:32]
	s_delay_alu instid0(VALU_DEP_4) | instskip(SKIP_2) | instid1(VALU_DEP_3)
	v_add_co_u32 v29, vcc_lo, s2, v29
	s_wait_alu 0xfffd
	v_add_co_ci_u32_e64 v30, null, s3, v30, vcc_lo
	v_add_co_u32 v31, vcc_lo, s2, v20
	s_wait_alu 0xfffd
	v_add_co_ci_u32_e64 v32, null, s3, v21, vcc_lo
	s_clause 0x3
	global_load_u16 v20, v[25:26], off
	global_load_u16 v2, v[33:34], off
	;; [unrolled: 1-line block ×6, first 2 shown]
	v_mov_b32_e32 v21, 0
	v_mov_b32_e32 v25, 0
	s_and_not1_b32 vcc_lo, exec_lo, s33
	s_wait_alu 0xfffe
	s_cbranch_vccnz .LBB26_9
; %bb.8:                                ;   in Loop: Header=BB26_3 Depth=1
	global_load_u16 v25, v[11:12], off
	s_wait_loadcnt 0x0
	v_cvt_f32_f16_e32 v25, v25
.LBB26_9:                               ;   in Loop: Header=BB26_3 Depth=1
	s_and_not1_b32 vcc_lo, exec_lo, s34
	s_wait_alu 0xfffe
	s_cbranch_vccnz .LBB26_11
; %bb.10:                               ;   in Loop: Header=BB26_3 Depth=1
	global_load_u16 v21, v[13:14], off
	s_wait_loadcnt 0x0
	v_cvt_f32_f16_e32 v21, v21
.LBB26_11:                              ;   in Loop: Header=BB26_3 Depth=1
	s_wait_loadcnt 0x0
	v_cvt_f32_f16_e32 v29, v29
                                        ; implicit-def: $vgpr30
	s_delay_alu instid0(VALU_DEP_1)
	v_cmp_ngt_f32_e64 s0, 0x3f200000, |v29|
	s_and_saveexec_b32 s29, s0
	s_wait_alu 0xfffe
	s_xor_b32 s0, exec_lo, s29
	s_cbranch_execz .LBB26_13
; %bb.12:                               ;   in Loop: Header=BB26_3 Depth=1
	v_add_f32_e64 v30, |v29|, |v29|
	s_delay_alu instid0(VALU_DEP_1) | instskip(SKIP_1) | instid1(VALU_DEP_2)
	v_mul_f32_e32 v31, 0x3fb8aa3b, v30
	v_cmp_ngt_f32_e32 vcc_lo, 0xc2ce8ed0, v30
	v_rndne_f32_e32 v32, v31
	v_fma_f32 v33, 0x3fb8aa3b, v30, -v31
	s_delay_alu instid0(VALU_DEP_2) | instskip(NEXT) | instid1(VALU_DEP_2)
	v_sub_f32_e32 v31, v31, v32
	v_fmac_f32_e32 v33, 0x32a5705f, v30
	v_cvt_i32_f32_e32 v32, v32
	s_delay_alu instid0(VALU_DEP_2) | instskip(NEXT) | instid1(VALU_DEP_1)
	v_add_f32_e32 v31, v31, v33
	v_exp_f32_e32 v31, v31
	s_delay_alu instid0(TRANS32_DEP_1) | instskip(SKIP_1) | instid1(VALU_DEP_1)
	v_ldexp_f32 v31, v31, v32
	s_wait_alu 0xfffd
	v_cndmask_b32_e32 v31, 0, v31, vcc_lo
	v_cmp_nlt_f32_e32 vcc_lo, 0x42b17218, v30
	s_wait_alu 0xfffd
	s_delay_alu instid0(VALU_DEP_2) | instskip(NEXT) | instid1(VALU_DEP_1)
	v_cndmask_b32_e32 v30, 0x7f800000, v31, vcc_lo
	v_add_f32_e32 v30, 1.0, v30
	s_delay_alu instid0(VALU_DEP_1) | instskip(NEXT) | instid1(TRANS32_DEP_1)
	v_rcp_f32_e32 v30, v30
	v_fma_f32 v30, v30, -2.0, 1.0
.LBB26_13:                              ;   in Loop: Header=BB26_3 Depth=1
	s_wait_alu 0xfffe
	s_and_not1_saveexec_b32 s0, s0
	s_cbranch_execz .LBB26_2
; %bb.14:                               ;   in Loop: Header=BB26_3 Depth=1
	v_mul_f32_e32 v30, v29, v29
	s_delay_alu instid0(VALU_DEP_1) | instskip(NEXT) | instid1(VALU_DEP_1)
	v_fmaak_f32 v31, s17, v30, 0x3ca908c9
	v_fmaak_f32 v31, v30, v31, 0xbd5c1c4e
	s_delay_alu instid0(VALU_DEP_1) | instskip(NEXT) | instid1(VALU_DEP_1)
	v_fmaak_f32 v31, v30, v31, 0x3e088382
	v_fmaak_f32 v31, v30, v31, 0xbeaaaa99
	s_delay_alu instid0(VALU_DEP_1) | instskip(NEXT) | instid1(VALU_DEP_1)
	v_mul_f32_e64 v31, |v29|, v31
	v_fma_f32 v30, v30, v31, |v29|
	s_branch .LBB26_2
.LBB26_15:
	s_endpgm
	.section	.rodata,"a",@progbits
	.p2align	6, 0x0
	.amdhsa_kernel _ZN2at6native12_GLOBAL__N_16kernel18lstm_cell_backwardIN3c104HalfEflLi1EEEvNS_4cuda6detail10TensorInfoIT_T1_EESB_SB_SB_SB_SB_SB_SA_SA_
		.amdhsa_group_segment_fixed_size 0
		.amdhsa_private_segment_fixed_size 0
		.amdhsa_kernarg_size 3184
		.amdhsa_user_sgpr_count 2
		.amdhsa_user_sgpr_dispatch_ptr 0
		.amdhsa_user_sgpr_queue_ptr 0
		.amdhsa_user_sgpr_kernarg_segment_ptr 1
		.amdhsa_user_sgpr_dispatch_id 0
		.amdhsa_user_sgpr_private_segment_size 0
		.amdhsa_wavefront_size32 1
		.amdhsa_uses_dynamic_stack 0
		.amdhsa_enable_private_segment 0
		.amdhsa_system_sgpr_workgroup_id_x 1
		.amdhsa_system_sgpr_workgroup_id_y 0
		.amdhsa_system_sgpr_workgroup_id_z 0
		.amdhsa_system_sgpr_workgroup_info 0
		.amdhsa_system_vgpr_workitem_id 0
		.amdhsa_next_free_vgpr 36
		.amdhsa_next_free_sgpr 48
		.amdhsa_reserve_vcc 1
		.amdhsa_float_round_mode_32 0
		.amdhsa_float_round_mode_16_64 0
		.amdhsa_float_denorm_mode_32 3
		.amdhsa_float_denorm_mode_16_64 3
		.amdhsa_fp16_overflow 0
		.amdhsa_workgroup_processor_mode 1
		.amdhsa_memory_ordered 1
		.amdhsa_forward_progress 1
		.amdhsa_inst_pref_size 24
		.amdhsa_round_robin_scheduling 0
		.amdhsa_exception_fp_ieee_invalid_op 0
		.amdhsa_exception_fp_denorm_src 0
		.amdhsa_exception_fp_ieee_div_zero 0
		.amdhsa_exception_fp_ieee_overflow 0
		.amdhsa_exception_fp_ieee_underflow 0
		.amdhsa_exception_fp_ieee_inexact 0
		.amdhsa_exception_int_div_zero 0
	.end_amdhsa_kernel
	.section	.text._ZN2at6native12_GLOBAL__N_16kernel18lstm_cell_backwardIN3c104HalfEflLi1EEEvNS_4cuda6detail10TensorInfoIT_T1_EESB_SB_SB_SB_SB_SB_SA_SA_,"axG",@progbits,_ZN2at6native12_GLOBAL__N_16kernel18lstm_cell_backwardIN3c104HalfEflLi1EEEvNS_4cuda6detail10TensorInfoIT_T1_EESB_SB_SB_SB_SB_SB_SA_SA_,comdat
.Lfunc_end26:
	.size	_ZN2at6native12_GLOBAL__N_16kernel18lstm_cell_backwardIN3c104HalfEflLi1EEEvNS_4cuda6detail10TensorInfoIT_T1_EESB_SB_SB_SB_SB_SB_SA_SA_, .Lfunc_end26-_ZN2at6native12_GLOBAL__N_16kernel18lstm_cell_backwardIN3c104HalfEflLi1EEEvNS_4cuda6detail10TensorInfoIT_T1_EESB_SB_SB_SB_SB_SB_SA_SA_
                                        ; -- End function
	.set _ZN2at6native12_GLOBAL__N_16kernel18lstm_cell_backwardIN3c104HalfEflLi1EEEvNS_4cuda6detail10TensorInfoIT_T1_EESB_SB_SB_SB_SB_SB_SA_SA_.num_vgpr, 36
	.set _ZN2at6native12_GLOBAL__N_16kernel18lstm_cell_backwardIN3c104HalfEflLi1EEEvNS_4cuda6detail10TensorInfoIT_T1_EESB_SB_SB_SB_SB_SB_SA_SA_.num_agpr, 0
	.set _ZN2at6native12_GLOBAL__N_16kernel18lstm_cell_backwardIN3c104HalfEflLi1EEEvNS_4cuda6detail10TensorInfoIT_T1_EESB_SB_SB_SB_SB_SB_SA_SA_.numbered_sgpr, 48
	.set _ZN2at6native12_GLOBAL__N_16kernel18lstm_cell_backwardIN3c104HalfEflLi1EEEvNS_4cuda6detail10TensorInfoIT_T1_EESB_SB_SB_SB_SB_SB_SA_SA_.num_named_barrier, 0
	.set _ZN2at6native12_GLOBAL__N_16kernel18lstm_cell_backwardIN3c104HalfEflLi1EEEvNS_4cuda6detail10TensorInfoIT_T1_EESB_SB_SB_SB_SB_SB_SA_SA_.private_seg_size, 0
	.set _ZN2at6native12_GLOBAL__N_16kernel18lstm_cell_backwardIN3c104HalfEflLi1EEEvNS_4cuda6detail10TensorInfoIT_T1_EESB_SB_SB_SB_SB_SB_SA_SA_.uses_vcc, 1
	.set _ZN2at6native12_GLOBAL__N_16kernel18lstm_cell_backwardIN3c104HalfEflLi1EEEvNS_4cuda6detail10TensorInfoIT_T1_EESB_SB_SB_SB_SB_SB_SA_SA_.uses_flat_scratch, 0
	.set _ZN2at6native12_GLOBAL__N_16kernel18lstm_cell_backwardIN3c104HalfEflLi1EEEvNS_4cuda6detail10TensorInfoIT_T1_EESB_SB_SB_SB_SB_SB_SA_SA_.has_dyn_sized_stack, 0
	.set _ZN2at6native12_GLOBAL__N_16kernel18lstm_cell_backwardIN3c104HalfEflLi1EEEvNS_4cuda6detail10TensorInfoIT_T1_EESB_SB_SB_SB_SB_SB_SA_SA_.has_recursion, 0
	.set _ZN2at6native12_GLOBAL__N_16kernel18lstm_cell_backwardIN3c104HalfEflLi1EEEvNS_4cuda6detail10TensorInfoIT_T1_EESB_SB_SB_SB_SB_SB_SA_SA_.has_indirect_call, 0
	.section	.AMDGPU.csdata,"",@progbits
; Kernel info:
; codeLenInByte = 3016
; TotalNumSgprs: 50
; NumVgprs: 36
; ScratchSize: 0
; MemoryBound: 0
; FloatMode: 240
; IeeeMode: 1
; LDSByteSize: 0 bytes/workgroup (compile time only)
; SGPRBlocks: 0
; VGPRBlocks: 4
; NumSGPRsForWavesPerEU: 50
; NumVGPRsForWavesPerEU: 36
; Occupancy: 16
; WaveLimiterHint : 1
; COMPUTE_PGM_RSRC2:SCRATCH_EN: 0
; COMPUTE_PGM_RSRC2:USER_SGPR: 2
; COMPUTE_PGM_RSRC2:TRAP_HANDLER: 0
; COMPUTE_PGM_RSRC2:TGID_X_EN: 1
; COMPUTE_PGM_RSRC2:TGID_Y_EN: 0
; COMPUTE_PGM_RSRC2:TGID_Z_EN: 0
; COMPUTE_PGM_RSRC2:TIDIG_COMP_CNT: 0
	.section	.text._ZN2at6native12_GLOBAL__N_16kernel18lstm_cell_backwardIN3c104HalfEflLi2EEEvNS_4cuda6detail10TensorInfoIT_T1_EESB_SB_SB_SB_SB_SB_SA_SA_,"axG",@progbits,_ZN2at6native12_GLOBAL__N_16kernel18lstm_cell_backwardIN3c104HalfEflLi2EEEvNS_4cuda6detail10TensorInfoIT_T1_EESB_SB_SB_SB_SB_SB_SA_SA_,comdat
	.globl	_ZN2at6native12_GLOBAL__N_16kernel18lstm_cell_backwardIN3c104HalfEflLi2EEEvNS_4cuda6detail10TensorInfoIT_T1_EESB_SB_SB_SB_SB_SB_SA_SA_ ; -- Begin function _ZN2at6native12_GLOBAL__N_16kernel18lstm_cell_backwardIN3c104HalfEflLi2EEEvNS_4cuda6detail10TensorInfoIT_T1_EESB_SB_SB_SB_SB_SB_SA_SA_
	.p2align	8
	.type	_ZN2at6native12_GLOBAL__N_16kernel18lstm_cell_backwardIN3c104HalfEflLi2EEEvNS_4cuda6detail10TensorInfoIT_T1_EESB_SB_SB_SB_SB_SB_SA_SA_,@function
_ZN2at6native12_GLOBAL__N_16kernel18lstm_cell_backwardIN3c104HalfEflLi2EEEvNS_4cuda6detail10TensorInfoIT_T1_EESB_SB_SB_SB_SB_SB_SA_SA_: ; @_ZN2at6native12_GLOBAL__N_16kernel18lstm_cell_backwardIN3c104HalfEflLi2EEEvNS_4cuda6detail10TensorInfoIT_T1_EESB_SB_SB_SB_SB_SB_SA_SA_
; %bb.0:
	s_clause 0x1
	s_load_b32 s2, s[0:1], 0xb7c
	s_load_b128 s[4:7], s[0:1], 0xb60
	v_mov_b32_e32 v1, 0
	s_wait_kmcnt 0x0
	s_and_b32 s64, s2, 0xffff
	s_mov_b32 s2, exec_lo
	s_delay_alu instid0(VALU_DEP_1) | instskip(SKIP_1) | instid1(VALU_DEP_1)
	v_mad_co_u64_u32 v[3:4], null, ttmp9, s64, v[0:1]
	v_mov_b32_e32 v4, v1
	v_cmpx_gt_i64_e64 s[6:7], v[3:4]
	s_cbranch_execz .LBB27_68
; %bb.1:
	s_add_nc_u64 s[20:21], s[0:1], 0xb70
	s_clause 0xa
	s_load_b64 s[2:3], s[0:1], 0x0
	s_load_b64 s[34:35], s[0:1], 0x10
	;; [unrolled: 1-line block ×3, first 2 shown]
	s_load_b128 s[8:11], s[0:1], 0xd0
	s_load_b64 s[42:43], s[0:1], 0x1a0
	s_load_b64 s[44:45], s[0:1], 0x1b0
	s_load_b128 s[12:15], s[0:1], 0x270
	s_load_b128 s[16:19], s[0:1], 0x750
	s_load_b64 s[46:47], s[0:1], 0x820
	s_load_b64 s[48:49], s[0:1], 0x340
	;; [unrolled: 1-line block ×3, first 2 shown]
	s_load_b32 s65, s[20:21], 0x0
	s_clause 0x8
	s_load_b128 s[20:23], s[0:1], 0x410
	s_load_b64 s[52:53], s[0:1], 0x4e0
	s_load_b64 s[54:55], s[0:1], 0x4f0
	s_load_b128 s[24:27], s[0:1], 0x5b0
	s_load_b64 s[56:57], s[0:1], 0x690
	s_load_b64 s[58:59], s[0:1], 0x9c0
	;; [unrolled: 1-line block ×4, first 2 shown]
	s_load_b128 s[28:31], s[0:1], 0x8f0
	v_cvt_f32_u32_e32 v0, s4
	s_wait_kmcnt 0x0
	v_cvt_f32_u32_e32 v2, s34
	s_load_b128 s[36:39], s[0:1], 0xa90
	s_cmp_lg_u64 s[40:41], 0
	s_mov_b32 s1, 0
	v_rcp_iflag_f32_e32 v0, v0
	v_rcp_iflag_f32_e32 v2, v2
	s_cselect_b32 s33, -1, 0
	s_cmp_lg_u64 s[46:47], 0
	s_sub_nc_u64 s[66:67], 0, s[50:51]
	s_cselect_b32 s80, -1, 0
	s_mul_i32 s81, s65, s64
	s_mul_u64 s[64:65], s[4:5], 3
	s_sub_nc_u64 s[68:69], 0, s[54:55]
	s_mov_b32 s82, 0xbbbac73d
	v_mul_f32_e32 v0, 0x4f7ffffe, v0
	v_mul_f32_e32 v2, 0x4f7ffffe, v2
	s_sub_nc_u64 s[70:71], 0, s[60:61]
	s_sub_nc_u64 s[72:73], 0, s[56:57]
	s_sub_nc_u64 s[74:75], 0, s[62:63]
	v_cvt_u32_f32_e32 v0, v0
	v_cvt_u32_f32_e32 v25, v2
	s_mov_b32 s83, 1.0
	s_mov_b32 s84, 0
	s_branch .LBB27_3
.LBB27_2:                               ;   in Loop: Header=BB27_3 Depth=1
	s_wait_alu 0xfffe
	s_or_b32 exec_lo, exec_lo, s0
	v_mad_co_u64_u32 v[33:34], null, s70, v21, v[3:4]
	v_mul_lo_u32 v31, s70, v22
	v_mul_lo_u32 v35, s71, v21
	s_wait_kmcnt 0x0
	v_mul_lo_u32 v38, v22, s36
	v_mul_lo_u32 v39, v21, s37
	v_mad_co_u64_u32 v[21:22], null, v21, s36, 0
	v_mul_lo_u32 v40, v20, s44
	v_mul_lo_u32 v41, v19, s45
	;; [unrolled: 1-line block ×3, first 2 shown]
	v_add3_u32 v31, v35, v34, v31
	v_mad_co_u64_u32 v[34:35], null, v19, s44, 0
	v_add3_u32 v22, v22, v39, v38
	v_mad_co_u64_u32 v[36:37], null, v33, s38, 0
	s_delay_alu instid0(VALU_DEP_4) | instskip(SKIP_1) | instid1(VALU_DEP_4)
	v_mul_lo_u32 v31, v31, s38
	v_mul_lo_u32 v38, v18, s44
	v_lshlrev_b64_e32 v[21:22], 1, v[21:22]
	v_add3_u32 v33, v35, v41, v40
	v_sub_co_u32 v11, vcc_lo, v11, v34
	v_mul_lo_u32 v39, v17, s45
	v_mul_lo_u32 v40, v20, s12
	s_wait_alu 0xfffd
	v_sub_co_ci_u32_e64 v12, null, v12, v33, vcc_lo
	v_add3_u32 v37, v37, v42, v31
	v_add_co_u32 v31, vcc_lo, s58, v21
	s_wait_alu 0xfffd
	v_add_co_ci_u32_e64 v35, null, s59, v22, vcc_lo
	v_add_co_u32 v33, vcc_lo, v3, v11
	s_wait_alu 0xfffd
	v_add_co_ci_u32_e64 v34, null, v4, v12, vcc_lo
	v_mad_co_u64_u32 v[11:12], null, v17, s44, 0
	v_mul_lo_u32 v41, v19, s13
	v_mad_co_u64_u32 v[19:20], null, v19, s12, 0
	v_lshlrev_b64_e32 v[21:22], 1, v[36:37]
	v_mul_lo_u32 v36, v34, s14
	v_mul_lo_u32 v37, v33, s15
	v_add3_u32 v12, v12, v39, v38
	v_sub_co_u32 v9, vcc_lo, v9, v11
	v_mad_co_u64_u32 v[33:34], null, v33, s14, 0
	s_wait_alu 0xfffd
	s_delay_alu instid0(VALU_DEP_3) | instskip(SKIP_3) | instid1(VALU_DEP_3)
	v_sub_co_ci_u32_e64 v10, null, v10, v12, vcc_lo
	v_add3_u32 v20, v20, v41, v40
	v_add_co_u32 v38, vcc_lo, v3, v9
	s_wait_alu 0xfffd
	v_add_co_ci_u32_e64 v39, null, v4, v10, vcc_lo
	v_add_co_u32 v9, vcc_lo, v31, v21
	v_lshlrev_b64_e32 v[11:12], 1, v[19:20]
	s_wait_alu 0xfffd
	v_add_co_ci_u32_e64 v10, null, v35, v22, vcc_lo
	v_add3_u32 v34, v34, v37, v36
	v_mul_lo_u32 v36, v16, s44
	v_mul_lo_u32 v37, v15, s45
	v_mad_co_u64_u32 v[21:22], null, v15, s44, 0
	v_mul_lo_u32 v35, v38, s15
	v_mad_co_u64_u32 v[19:20], null, v38, s14, 0
	v_add_co_u32 v38, vcc_lo, s42, v11
	v_mul_lo_u32 v31, v39, s14
	s_wait_alu 0xfffd
	v_add_co_ci_u32_e64 v39, null, s43, v12, vcc_lo
	v_mul_lo_u32 v40, v18, s12
	v_mul_lo_u32 v41, v17, s13
	v_mad_co_u64_u32 v[11:12], null, v17, s12, 0
	v_add3_u32 v22, v22, v37, v36
	v_sub_co_u32 v7, vcc_lo, v7, v21
	v_lshlrev_b64_e32 v[17:18], 1, v[33:34]
	v_add3_u32 v20, v20, v35, v31
	s_wait_alu 0xfffd
	v_sub_co_ci_u32_e64 v8, null, v8, v22, vcc_lo
	v_add3_u32 v12, v12, v41, v40
	v_add_co_u32 v21, vcc_lo, v3, v7
	s_wait_alu 0xfffd
	s_delay_alu instid0(VALU_DEP_3) | instskip(NEXT) | instid1(VALU_DEP_3)
	v_add_co_ci_u32_e64 v22, null, v4, v8, vcc_lo
	v_lshlrev_b64_e32 v[11:12], 1, v[11:12]
	v_add_co_u32 v7, vcc_lo, v38, v17
	s_wait_alu 0xfffd
	v_add_co_ci_u32_e64 v8, null, v39, v18, vcc_lo
	v_lshlrev_b64_e32 v[17:18], 1, v[19:20]
	v_mul_lo_u32 v31, v22, s14
	v_mul_lo_u32 v33, v21, s15
	v_mad_co_u64_u32 v[19:20], null, v21, s14, 0
	v_mul_lo_u32 v36, v14, s44
	v_mul_lo_u32 v37, v13, s45
	v_mad_co_u64_u32 v[21:22], null, v13, s44, 0
	;; [unrolled: 3-line block ×3, first 2 shown]
	v_add_co_u32 v11, vcc_lo, s42, v11
	s_wait_alu 0xfffd
	v_add_co_ci_u32_e64 v12, null, s43, v12, vcc_lo
	v_add3_u32 v20, v20, v33, v31
	s_delay_alu instid0(VALU_DEP_3)
	v_add_co_u32 v11, vcc_lo, v11, v17
	v_add3_u32 v17, v22, v37, v36
	v_add3_u32 v16, v16, v35, v34
	s_wait_alu 0xfffd
	v_add_co_ci_u32_e64 v12, null, v12, v18, vcc_lo
	v_sub_co_u32 v18, vcc_lo, v5, v21
	s_wait_alu 0xfffd
	v_sub_co_ci_u32_e64 v17, null, v6, v17, vcc_lo
	v_lshlrev_b64_e32 v[15:16], 1, v[15:16]
	s_delay_alu instid0(VALU_DEP_3)
	v_add_co_u32 v18, vcc_lo, v3, v18
	v_mul_lo_u32 v21, v14, s12
	v_mul_lo_u32 v22, v13, s13
	v_mad_co_u64_u32 v[5:6], null, v13, s12, 0
	s_wait_alu 0xfffd
	v_add_co_ci_u32_e64 v17, null, v4, v17, vcc_lo
	v_add_co_u32 v31, vcc_lo, s42, v15
	s_wait_alu 0xfffd
	v_add_co_ci_u32_e64 v33, null, s43, v16, vcc_lo
	v_lshlrev_b64_e32 v[13:14], 1, v[19:20]
	v_mul_lo_u32 v17, v17, s14
	v_mul_lo_u32 v19, v18, s15
	v_mad_co_u64_u32 v[15:16], null, v18, s14, 0
	v_add3_u32 v6, v6, v22, v21
	v_bfi_b32 v18, 0x7fffffff, v24, v23
	v_cvt_f32_f16_e32 v20, v29
	v_add_co_u32 v13, vcc_lo, v31, v13
	s_delay_alu instid0(VALU_DEP_4) | instskip(SKIP_1) | instid1(VALU_DEP_4)
	v_lshlrev_b64_e32 v[5:6], 1, v[5:6]
	v_add3_u32 v16, v16, v19, v17
	v_mul_f32_e32 v17, v32, v20
	v_fma_f32 v19, -v18, v18, 1.0
	s_wait_alu 0xfffd
	v_add_co_ci_u32_e64 v14, null, v33, v14, vcc_lo
	v_add_co_u32 v21, vcc_lo, s42, v5
	v_cvt_f32_f16_e32 v23, v26
	v_cvt_f32_f16_e32 v24, v27
	v_fmac_f32_e32 v2, v17, v19
	v_cvt_f32_f16_e32 v17, v28
	v_cvt_f32_f16_e32 v19, v30
	s_wait_alu 0xfffd
	v_add_co_ci_u32_e64 v22, null, s43, v6, vcc_lo
	v_lshlrev_b64_e32 v[5:6], 1, v[15:16]
	v_mul_f32_e32 v18, v32, v18
	v_dual_mul_f32 v16, v2, v19 :: v_dual_sub_f32 v19, 1.0, v24
	v_mul_f32_e32 v15, v2, v17
	v_sub_f32_e32 v17, 1.0, v23
	v_add_co_u32 v5, vcc_lo, v21, v5
	s_wait_alu 0xfffd
	v_add_co_ci_u32_e64 v6, null, v22, v6, vcc_lo
	s_delay_alu instid0(VALU_DEP_3) | instskip(SKIP_4) | instid1(VALU_DEP_3)
	v_dual_mul_f32 v16, v19, v16 :: v_dual_mul_f32 v15, v17, v15
	v_sub_f32_e32 v19, 1.0, v20
	v_add_co_u32 v3, vcc_lo, v3, s81
	s_wait_alu 0xfffd
	v_add_co_ci_u32_e64 v4, null, 0, v4, vcc_lo
	v_dual_mul_f32 v21, v2, v23 :: v_dual_mul_f32 v18, v19, v18
	v_fma_mixlo_f16 v15, v15, v26, 0 op_sel_hi:[0,1,0]
	v_fma_mix_f32 v17, -v28, v28, s83 op_sel_hi:[1,1,0]
	s_delay_alu instid0(VALU_DEP_4)
	v_cmp_le_i64_e32 vcc_lo, s[6:7], v[3:4]
	v_fma_mixlo_f16 v16, v16, v27, 0 op_sel_hi:[0,1,0]
	v_fma_mixlo_f16 v2, v2, v27, 0 op_sel_hi:[0,1,0]
	global_store_b16 v[5:6], v15, off
	v_fma_mixlo_f16 v5, v18, v29, 0 op_sel_hi:[0,1,0]
	v_fma_mixlo_f16 v17, v17, v21, 0
	s_or_b32 s84, vcc_lo, s84
	s_clause 0x2
	global_store_b16 v[13:14], v16, off
	global_store_b16 v[11:12], v17, off
	;; [unrolled: 1-line block ×4, first 2 shown]
	s_and_not1_b32 exec_lo, exec_lo, s84
	s_cbranch_execz .LBB27_68
.LBB27_3:                               ; =>This Inner Loop Header: Depth=1
	v_or_b32_e32 v2, s5, v4
                                        ; implicit-def: $vgpr7_vgpr8
	s_mov_b32 s0, exec_lo
	s_delay_alu instid0(VALU_DEP_1)
	v_cmpx_ne_u64_e32 0, v[1:2]
	s_wait_alu 0xfffe
	s_xor_b32 s85, exec_lo, s0
	s_cbranch_execz .LBB27_5
; %bb.4:                                ;   in Loop: Header=BB27_3 Depth=1
	s_ashr_i32 s76, s5, 31
	v_ashrrev_i32_e32 v2, 31, v4
	s_wait_alu 0xfffe
	s_mov_b32 s77, s76
	s_wait_alu 0xfffe
	s_add_nc_u64 s[78:79], s[4:5], s[76:77]
	v_add_co_u32 v5, vcc_lo, v3, v2
	s_wait_alu 0xfffe
	s_xor_b64 s[78:79], s[78:79], s[76:77]
	s_wait_alu 0xfffd
	v_add_co_ci_u32_e64 v6, null, v4, v2, vcc_lo
	s_wait_alu 0xfffe
	s_cvt_f32_u32 s0, s78
	s_cvt_f32_u32 s77, s79
	s_sub_nc_u64 s[88:89], 0, s[78:79]
	v_xor_b32_e32 v11, v5, v2
	v_xor_b32_e32 v12, v6, v2
	s_wait_alu 0xfffe
	s_fmamk_f32 s0, s77, 0x4f800000, s0
	v_xor_b32_e32 v2, s76, v2
	s_wait_alu 0xfffe
	s_delay_alu instid0(SALU_CYCLE_1) | instskip(NEXT) | instid1(TRANS32_DEP_1)
	v_s_rcp_f32 s0, s0
	s_mul_f32 s0, s0, 0x5f7ffffc
	s_wait_alu 0xfffe
	s_delay_alu instid0(SALU_CYCLE_2) | instskip(SKIP_1) | instid1(SALU_CYCLE_2)
	s_mul_f32 s77, s0, 0x2f800000
	s_wait_alu 0xfffe
	s_trunc_f32 s77, s77
	s_wait_alu 0xfffe
	s_delay_alu instid0(SALU_CYCLE_2) | instskip(SKIP_2) | instid1(SALU_CYCLE_1)
	s_fmamk_f32 s0, s77, 0xcf800000, s0
	s_cvt_u32_f32 s87, s77
	s_wait_alu 0xfffe
	s_cvt_u32_f32 s86, s0
	s_delay_alu instid0(SALU_CYCLE_3) | instskip(NEXT) | instid1(SALU_CYCLE_1)
	s_mul_u64 s[90:91], s[88:89], s[86:87]
	s_mul_hi_u32 s93, s86, s91
	s_mul_i32 s92, s86, s91
	s_mul_hi_u32 s0, s86, s90
	s_mul_i32 s94, s87, s90
	s_wait_alu 0xfffe
	s_add_nc_u64 s[92:93], s[0:1], s[92:93]
	s_mul_hi_u32 s77, s87, s90
	s_mul_hi_u32 s95, s87, s91
	s_add_co_u32 s0, s92, s94
	s_wait_alu 0xfffe
	s_add_co_ci_u32 s0, s93, s77
	s_mul_i32 s90, s87, s91
	s_add_co_ci_u32 s91, s95, 0
	s_wait_alu 0xfffe
	s_add_nc_u64 s[90:91], s[0:1], s[90:91]
	s_delay_alu instid0(SALU_CYCLE_1) | instskip(SKIP_4) | instid1(SALU_CYCLE_1)
	s_add_co_u32 s86, s86, s90
	s_cselect_b32 s0, -1, 0
	s_wait_alu 0xfffe
	s_cmp_lg_u32 s0, 0
	s_add_co_ci_u32 s87, s87, s91
	s_mul_u64 s[88:89], s[88:89], s[86:87]
	s_delay_alu instid0(SALU_CYCLE_1)
	s_mul_hi_u32 s91, s86, s89
	s_mul_i32 s90, s86, s89
	s_mul_hi_u32 s0, s86, s88
	s_mul_i32 s92, s87, s88
	s_wait_alu 0xfffe
	s_add_nc_u64 s[90:91], s[0:1], s[90:91]
	s_mul_hi_u32 s77, s87, s88
	s_mul_hi_u32 s93, s87, s89
	s_add_co_u32 s0, s90, s92
	s_wait_alu 0xfffe
	s_add_co_ci_u32 s0, s91, s77
	s_mul_i32 s88, s87, s89
	s_add_co_ci_u32 s89, s93, 0
	s_wait_alu 0xfffe
	s_add_nc_u64 s[88:89], s[0:1], s[88:89]
	s_delay_alu instid0(SALU_CYCLE_1)
	s_add_co_u32 s0, s86, s88
	s_cselect_b32 s77, -1, 0
	s_wait_alu 0xfffe
	v_mul_hi_u32 v13, v11, s0
	s_cmp_lg_u32 s77, 0
	v_mad_co_u64_u32 v[7:8], null, v12, s0, 0
	s_add_co_ci_u32 s77, s87, s89
	s_wait_alu 0xfffe
	v_mad_co_u64_u32 v[5:6], null, v11, s77, 0
	v_mad_co_u64_u32 v[9:10], null, v12, s77, 0
	s_delay_alu instid0(VALU_DEP_2) | instskip(SKIP_1) | instid1(VALU_DEP_3)
	v_add_co_u32 v5, vcc_lo, v13, v5
	s_wait_alu 0xfffd
	v_add_co_ci_u32_e64 v6, null, 0, v6, vcc_lo
	s_delay_alu instid0(VALU_DEP_2) | instskip(SKIP_1) | instid1(VALU_DEP_2)
	v_add_co_u32 v5, vcc_lo, v5, v7
	s_wait_alu 0xfffd
	v_add_co_ci_u32_e32 v5, vcc_lo, v6, v8, vcc_lo
	s_wait_alu 0xfffd
	v_add_co_ci_u32_e32 v6, vcc_lo, 0, v10, vcc_lo
	s_delay_alu instid0(VALU_DEP_2) | instskip(SKIP_1) | instid1(VALU_DEP_2)
	v_add_co_u32 v7, vcc_lo, v5, v9
	s_wait_alu 0xfffd
	v_add_co_ci_u32_e64 v8, null, 0, v6, vcc_lo
	s_delay_alu instid0(VALU_DEP_2) | instskip(SKIP_1) | instid1(VALU_DEP_3)
	v_mul_lo_u32 v9, s79, v7
	v_mad_co_u64_u32 v[5:6], null, s78, v7, 0
	v_mul_lo_u32 v10, s78, v8
	s_delay_alu instid0(VALU_DEP_2) | instskip(NEXT) | instid1(VALU_DEP_2)
	v_sub_co_u32 v5, vcc_lo, v11, v5
	v_add3_u32 v6, v6, v10, v9
	v_add_co_u32 v10, s0, v7, 2
	s_wait_alu 0xf1ff
	v_add_co_ci_u32_e64 v11, null, 0, v8, s0
	s_delay_alu instid0(VALU_DEP_3) | instskip(SKIP_3) | instid1(VALU_DEP_3)
	v_sub_nc_u32_e32 v9, v12, v6
	v_sub_co_u32 v13, s0, v5, s78
	s_wait_alu 0xfffd
	v_sub_co_ci_u32_e64 v6, null, v12, v6, vcc_lo
	v_subrev_co_ci_u32_e64 v9, null, s79, v9, vcc_lo
	s_delay_alu instid0(VALU_DEP_3) | instskip(SKIP_1) | instid1(VALU_DEP_2)
	v_cmp_le_u32_e32 vcc_lo, s78, v13
	s_wait_alu 0xf1ff
	v_subrev_co_ci_u32_e64 v9, null, 0, v9, s0
	s_wait_alu 0xfffd
	v_cndmask_b32_e64 v12, 0, -1, vcc_lo
	s_delay_alu instid0(VALU_DEP_2)
	v_cmp_le_u32_e32 vcc_lo, s79, v9
	s_wait_alu 0xfffd
	v_cndmask_b32_e64 v13, 0, -1, vcc_lo
	v_cmp_le_u32_e32 vcc_lo, s78, v5
	s_wait_alu 0xfffd
	v_cndmask_b32_e64 v5, 0, -1, vcc_lo
	;; [unrolled: 3-line block ×3, first 2 shown]
	v_cmp_eq_u32_e32 vcc_lo, s79, v9
	s_wait_alu 0xfffd
	v_cndmask_b32_e32 v9, v13, v12, vcc_lo
	v_add_co_u32 v12, vcc_lo, v7, 1
	s_wait_alu 0xfffd
	v_add_co_ci_u32_e64 v13, null, 0, v8, vcc_lo
	v_cmp_eq_u32_e32 vcc_lo, s79, v6
	s_wait_alu 0xfffd
	v_cndmask_b32_e32 v5, v14, v5, vcc_lo
	v_cmp_ne_u32_e32 vcc_lo, 0, v9
	s_wait_alu 0xfffd
	v_cndmask_b32_e32 v6, v13, v11, vcc_lo
	s_delay_alu instid0(VALU_DEP_3) | instskip(SKIP_2) | instid1(VALU_DEP_2)
	v_cmp_ne_u32_e64 s0, 0, v5
	v_cndmask_b32_e32 v5, v12, v10, vcc_lo
	s_wait_alu 0xf1ff
	v_cndmask_b32_e64 v6, v8, v6, s0
	s_delay_alu instid0(VALU_DEP_2) | instskip(NEXT) | instid1(VALU_DEP_2)
	v_cndmask_b32_e64 v5, v7, v5, s0
	v_xor_b32_e32 v6, v6, v2
	s_delay_alu instid0(VALU_DEP_2) | instskip(NEXT) | instid1(VALU_DEP_1)
	v_xor_b32_e32 v5, v5, v2
	v_sub_co_u32 v7, vcc_lo, v5, v2
	s_wait_alu 0xfffd
	s_delay_alu instid0(VALU_DEP_3)
	v_sub_co_ci_u32_e64 v8, null, v6, v2, vcc_lo
.LBB27_5:                               ;   in Loop: Header=BB27_3 Depth=1
	s_and_not1_saveexec_b32 s0, s85
	s_cbranch_execz .LBB27_7
; %bb.6:                                ;   in Loop: Header=BB27_3 Depth=1
	s_sub_co_i32 s76, 0, s4
	v_mov_b32_e32 v8, v1
	s_wait_alu 0xfffe
	v_mul_lo_u32 v2, s76, v0
	s_delay_alu instid0(VALU_DEP_1) | instskip(NEXT) | instid1(VALU_DEP_1)
	v_mul_hi_u32 v2, v0, v2
	v_add_nc_u32_e32 v2, v0, v2
	s_delay_alu instid0(VALU_DEP_1) | instskip(NEXT) | instid1(VALU_DEP_1)
	v_mul_hi_u32 v2, v3, v2
	v_mul_lo_u32 v5, v2, s4
	v_add_nc_u32_e32 v6, 1, v2
	s_delay_alu instid0(VALU_DEP_2) | instskip(NEXT) | instid1(VALU_DEP_1)
	v_sub_nc_u32_e32 v5, v3, v5
	v_subrev_nc_u32_e32 v7, s4, v5
	v_cmp_le_u32_e32 vcc_lo, s4, v5
	s_wait_alu 0xfffd
	s_delay_alu instid0(VALU_DEP_2) | instskip(NEXT) | instid1(VALU_DEP_1)
	v_dual_cndmask_b32 v5, v5, v7 :: v_dual_cndmask_b32 v2, v2, v6
	v_cmp_le_u32_e32 vcc_lo, s4, v5
	s_delay_alu instid0(VALU_DEP_2) | instskip(SKIP_1) | instid1(VALU_DEP_1)
	v_add_nc_u32_e32 v6, 1, v2
	s_wait_alu 0xfffd
	v_cndmask_b32_e32 v7, v2, v6, vcc_lo
.LBB27_7:                               ;   in Loop: Header=BB27_3 Depth=1
	s_wait_alu 0xfffe
	s_or_b32 exec_lo, exec_lo, s0
	s_delay_alu instid0(VALU_DEP_1)
	v_mul_lo_u32 v2, s65, v7
	v_mul_lo_u32 v9, s64, v8
	v_mad_co_u64_u32 v[5:6], null, s64, v7, 0
	s_mov_b32 s0, exec_lo
	v_add3_u32 v6, v6, v9, v2
	v_add_co_u32 v16, vcc_lo, v3, v5
                                        ; implicit-def: $vgpr9_vgpr10
	s_wait_alu 0xfffd
	s_delay_alu instid0(VALU_DEP_2) | instskip(NEXT) | instid1(VALU_DEP_1)
	v_add_co_ci_u32_e64 v18, null, v4, v6, vcc_lo
	v_or_b32_e32 v2, s35, v18
	v_ashrrev_i32_e32 v15, 31, v18
	s_delay_alu instid0(VALU_DEP_2)
	v_cmpx_ne_u64_e32 0, v[1:2]
	s_wait_alu 0xfffe
	s_xor_b32 s85, exec_lo, s0
	s_cbranch_execz .LBB27_9
; %bb.8:                                ;   in Loop: Header=BB27_3 Depth=1
	s_ashr_i32 s76, s35, 31
	v_add_co_u32 v2, vcc_lo, v16, v15
	s_wait_alu 0xfffe
	s_mov_b32 s77, s76
	s_wait_alu 0xfffd
	v_add_co_ci_u32_e64 v9, null, v18, v15, vcc_lo
	s_wait_alu 0xfffe
	s_add_nc_u64 s[78:79], s[34:35], s[76:77]
	v_xor_b32_e32 v2, v2, v15
	s_wait_alu 0xfffe
	s_xor_b64 s[78:79], s[78:79], s[76:77]
	v_xor_b32_e32 v17, v9, v15
	s_wait_alu 0xfffe
	s_cvt_f32_u32 s0, s78
	s_cvt_f32_u32 s77, s79
	s_sub_nc_u64 s[88:89], 0, s[78:79]
	s_wait_alu 0xfffe
	s_delay_alu instid0(SALU_CYCLE_1) | instskip(SKIP_1) | instid1(SALU_CYCLE_2)
	s_fmamk_f32 s0, s77, 0x4f800000, s0
	s_wait_alu 0xfffe
	v_s_rcp_f32 s0, s0
	s_delay_alu instid0(TRANS32_DEP_1) | instskip(SKIP_1) | instid1(SALU_CYCLE_2)
	s_mul_f32 s0, s0, 0x5f7ffffc
	s_wait_alu 0xfffe
	s_mul_f32 s77, s0, 0x2f800000
	s_wait_alu 0xfffe
	s_delay_alu instid0(SALU_CYCLE_2) | instskip(SKIP_1) | instid1(SALU_CYCLE_2)
	s_trunc_f32 s77, s77
	s_wait_alu 0xfffe
	s_fmamk_f32 s0, s77, 0xcf800000, s0
	s_cvt_u32_f32 s87, s77
	s_wait_alu 0xfffe
	s_delay_alu instid0(SALU_CYCLE_1) | instskip(NEXT) | instid1(SALU_CYCLE_3)
	s_cvt_u32_f32 s86, s0
	s_mul_u64 s[90:91], s[88:89], s[86:87]
	s_delay_alu instid0(SALU_CYCLE_1)
	s_mul_hi_u32 s93, s86, s91
	s_mul_i32 s92, s86, s91
	s_mul_hi_u32 s0, s86, s90
	s_mul_i32 s94, s87, s90
	s_wait_alu 0xfffe
	s_add_nc_u64 s[92:93], s[0:1], s[92:93]
	s_mul_hi_u32 s77, s87, s90
	s_mul_hi_u32 s95, s87, s91
	s_add_co_u32 s0, s92, s94
	s_wait_alu 0xfffe
	s_add_co_ci_u32 s0, s93, s77
	s_mul_i32 s90, s87, s91
	s_add_co_ci_u32 s91, s95, 0
	s_wait_alu 0xfffe
	s_add_nc_u64 s[90:91], s[0:1], s[90:91]
	s_delay_alu instid0(SALU_CYCLE_1) | instskip(SKIP_4) | instid1(SALU_CYCLE_1)
	s_add_co_u32 s86, s86, s90
	s_cselect_b32 s0, -1, 0
	s_wait_alu 0xfffe
	s_cmp_lg_u32 s0, 0
	s_add_co_ci_u32 s87, s87, s91
	s_mul_u64 s[88:89], s[88:89], s[86:87]
	s_delay_alu instid0(SALU_CYCLE_1)
	s_mul_hi_u32 s91, s86, s89
	s_mul_i32 s90, s86, s89
	s_mul_hi_u32 s0, s86, s88
	s_mul_i32 s92, s87, s88
	s_wait_alu 0xfffe
	s_add_nc_u64 s[90:91], s[0:1], s[90:91]
	s_mul_hi_u32 s77, s87, s88
	s_mul_hi_u32 s93, s87, s89
	s_add_co_u32 s0, s90, s92
	s_wait_alu 0xfffe
	s_add_co_ci_u32 s0, s91, s77
	s_mul_i32 s88, s87, s89
	s_add_co_ci_u32 s89, s93, 0
	s_wait_alu 0xfffe
	s_add_nc_u64 s[88:89], s[0:1], s[88:89]
	s_delay_alu instid0(SALU_CYCLE_1)
	s_add_co_u32 s0, s86, s88
	s_cselect_b32 s77, -1, 0
	s_wait_alu 0xfffe
	v_mul_hi_u32 v19, v2, s0
	s_cmp_lg_u32 s77, 0
	v_mad_co_u64_u32 v[11:12], null, v17, s0, 0
	s_add_co_ci_u32 s77, s87, s89
	s_wait_alu 0xfffe
	v_mad_co_u64_u32 v[9:10], null, v2, s77, 0
	v_mad_co_u64_u32 v[13:14], null, v17, s77, 0
	s_delay_alu instid0(VALU_DEP_2) | instskip(SKIP_1) | instid1(VALU_DEP_3)
	v_add_co_u32 v9, vcc_lo, v19, v9
	s_wait_alu 0xfffd
	v_add_co_ci_u32_e64 v10, null, 0, v10, vcc_lo
	s_delay_alu instid0(VALU_DEP_2) | instskip(SKIP_1) | instid1(VALU_DEP_2)
	v_add_co_u32 v9, vcc_lo, v9, v11
	s_wait_alu 0xfffd
	v_add_co_ci_u32_e32 v9, vcc_lo, v10, v12, vcc_lo
	s_wait_alu 0xfffd
	v_add_co_ci_u32_e32 v10, vcc_lo, 0, v14, vcc_lo
	s_delay_alu instid0(VALU_DEP_2) | instskip(SKIP_1) | instid1(VALU_DEP_2)
	v_add_co_u32 v11, vcc_lo, v9, v13
	s_wait_alu 0xfffd
	v_add_co_ci_u32_e64 v12, null, 0, v10, vcc_lo
	s_delay_alu instid0(VALU_DEP_2) | instskip(SKIP_1) | instid1(VALU_DEP_3)
	v_mul_lo_u32 v13, s79, v11
	v_mad_co_u64_u32 v[9:10], null, s78, v11, 0
	v_mul_lo_u32 v14, s78, v12
	s_delay_alu instid0(VALU_DEP_2) | instskip(NEXT) | instid1(VALU_DEP_2)
	v_sub_co_u32 v2, vcc_lo, v2, v9
	v_add3_u32 v10, v10, v14, v13
	s_delay_alu instid0(VALU_DEP_1) | instskip(SKIP_2) | instid1(VALU_DEP_2)
	v_sub_nc_u32_e32 v13, v17, v10
	s_wait_alu 0xfffd
	v_sub_co_ci_u32_e64 v10, null, v17, v10, vcc_lo
	v_subrev_co_ci_u32_e64 v9, null, s79, v13, vcc_lo
	v_add_co_u32 v13, s0, v11, 2
	s_wait_alu 0xf1ff
	v_add_co_ci_u32_e64 v14, null, 0, v12, s0
	v_sub_co_u32 v19, s0, v2, s78
	s_wait_alu 0xf1ff
	v_subrev_co_ci_u32_e64 v9, null, 0, v9, s0
	s_delay_alu instid0(VALU_DEP_2) | instskip(SKIP_2) | instid1(VALU_DEP_3)
	v_cmp_le_u32_e32 vcc_lo, s78, v19
	s_wait_alu 0xfffd
	v_cndmask_b32_e64 v17, 0, -1, vcc_lo
	v_cmp_le_u32_e32 vcc_lo, s79, v9
	s_wait_alu 0xfffd
	v_cndmask_b32_e64 v19, 0, -1, vcc_lo
	v_cmp_le_u32_e32 vcc_lo, s78, v2
	s_wait_alu 0xfffd
	v_cndmask_b32_e64 v2, 0, -1, vcc_lo
	v_cmp_le_u32_e32 vcc_lo, s79, v10
	s_wait_alu 0xfffd
	v_cndmask_b32_e64 v20, 0, -1, vcc_lo
	v_cmp_eq_u32_e32 vcc_lo, s79, v9
	s_wait_alu 0xfffd
	v_cndmask_b32_e32 v9, v19, v17, vcc_lo
	v_add_co_u32 v17, vcc_lo, v11, 1
	s_wait_alu 0xfffd
	v_add_co_ci_u32_e64 v19, null, 0, v12, vcc_lo
	v_cmp_eq_u32_e32 vcc_lo, s79, v10
	v_xor_b32_e32 v10, s76, v15
	s_wait_alu 0xfffd
	v_cndmask_b32_e32 v2, v20, v2, vcc_lo
	v_cmp_ne_u32_e32 vcc_lo, 0, v9
	s_delay_alu instid0(VALU_DEP_2) | instskip(SKIP_3) | instid1(VALU_DEP_1)
	v_cmp_ne_u32_e64 s0, 0, v2
	s_wait_alu 0xfffd
	v_dual_cndmask_b32 v9, v19, v14 :: v_dual_cndmask_b32 v2, v17, v13
	s_wait_alu 0xf1ff
	v_cndmask_b32_e64 v9, v12, v9, s0
	s_delay_alu instid0(VALU_DEP_2) | instskip(NEXT) | instid1(VALU_DEP_2)
	v_cndmask_b32_e64 v2, v11, v2, s0
	v_xor_b32_e32 v11, v9, v10
	s_delay_alu instid0(VALU_DEP_2) | instskip(NEXT) | instid1(VALU_DEP_1)
	v_xor_b32_e32 v2, v2, v10
	v_sub_co_u32 v9, vcc_lo, v2, v10
	s_wait_alu 0xfffd
	s_delay_alu instid0(VALU_DEP_3)
	v_sub_co_ci_u32_e64 v10, null, v11, v10, vcc_lo
.LBB27_9:                               ;   in Loop: Header=BB27_3 Depth=1
	s_and_not1_saveexec_b32 s0, s85
	s_cbranch_execz .LBB27_11
; %bb.10:                               ;   in Loop: Header=BB27_3 Depth=1
	s_sub_co_i32 s76, 0, s34
	s_wait_alu 0xfffe
	v_mul_lo_u32 v2, s76, v25
	s_delay_alu instid0(VALU_DEP_1) | instskip(NEXT) | instid1(VALU_DEP_1)
	v_mul_hi_u32 v2, v25, v2
	v_add_nc_u32_e32 v2, v25, v2
	s_delay_alu instid0(VALU_DEP_1) | instskip(NEXT) | instid1(VALU_DEP_1)
	v_mul_hi_u32 v2, v16, v2
	v_mul_lo_u32 v9, v2, s34
	s_delay_alu instid0(VALU_DEP_1) | instskip(NEXT) | instid1(VALU_DEP_1)
	v_sub_nc_u32_e32 v9, v16, v9
	v_subrev_nc_u32_e32 v11, s34, v9
	v_cmp_le_u32_e32 vcc_lo, s34, v9
	s_wait_alu 0xfffd
	s_delay_alu instid0(VALU_DEP_2) | instskip(NEXT) | instid1(VALU_DEP_1)
	v_dual_cndmask_b32 v9, v9, v11 :: v_dual_add_nc_u32 v10, 1, v2
	v_cndmask_b32_e32 v2, v2, v10, vcc_lo
	s_delay_alu instid0(VALU_DEP_2) | instskip(NEXT) | instid1(VALU_DEP_2)
	v_cmp_le_u32_e32 vcc_lo, s34, v9
	v_add_nc_u32_e32 v10, 1, v2
	s_wait_alu 0xfffd
	s_delay_alu instid0(VALU_DEP_1)
	v_dual_cndmask_b32 v9, v2, v10 :: v_dual_mov_b32 v10, v1
.LBB27_11:                              ;   in Loop: Header=BB27_3 Depth=1
	s_wait_alu 0xfffe
	s_or_b32 exec_lo, exec_lo, s0
	s_delay_alu instid0(VALU_DEP_1) | instskip(NEXT) | instid1(VALU_DEP_2)
	v_mul_lo_u32 v2, v10, s34
	v_mul_lo_u32 v13, v9, s35
	v_mad_co_u64_u32 v[11:12], null, v9, s34, 0
	v_mul_lo_u32 v14, v9, s9
	s_mov_b32 s0, exec_lo
	s_delay_alu instid0(VALU_DEP_2) | instskip(SKIP_1) | instid1(VALU_DEP_4)
	v_add3_u32 v2, v12, v13, v2
	v_mul_lo_u32 v13, v10, s8
	v_sub_co_u32 v10, vcc_lo, v5, v11
	s_wait_alu 0xfffd
	s_delay_alu instid0(VALU_DEP_3) | instskip(NEXT) | instid1(VALU_DEP_2)
	v_sub_co_ci_u32_e64 v2, null, v6, v2, vcc_lo
	v_add_co_u32 v11, vcc_lo, v3, v10
	v_mad_co_u64_u32 v[9:10], null, v9, s8, 0
	s_wait_alu 0xfffd
	s_delay_alu instid0(VALU_DEP_3) | instskip(NEXT) | instid1(VALU_DEP_3)
	v_add_co_ci_u32_e64 v2, null, v4, v2, vcc_lo
	v_mul_lo_u32 v17, v11, s11
	v_mad_co_u64_u32 v[11:12], null, v11, s10, 0
	s_delay_alu instid0(VALU_DEP_3) | instskip(SKIP_1) | instid1(VALU_DEP_1)
	v_mul_lo_u32 v2, v2, s10
	v_add3_u32 v10, v10, v14, v13
	v_lshlrev_b64_e32 v[9:10], 1, v[9:10]
	s_delay_alu instid0(VALU_DEP_3) | instskip(NEXT) | instid1(VALU_DEP_2)
	v_add3_u32 v12, v12, v17, v2
	v_add_co_u32 v2, vcc_lo, s2, v9
	s_delay_alu instid0(VALU_DEP_2) | instskip(SKIP_1) | instid1(VALU_DEP_4)
	v_lshlrev_b64_e32 v[11:12], 1, v[11:12]
	s_wait_alu 0xfffd
	v_add_co_ci_u32_e64 v10, null, s3, v10, vcc_lo
	s_delay_alu instid0(VALU_DEP_2) | instskip(SKIP_1) | instid1(VALU_DEP_2)
	v_add_co_u32 v9, vcc_lo, v2, v11
	s_wait_alu 0xfffd
	v_add_co_ci_u32_e64 v10, null, v10, v12, vcc_lo
	v_mad_co_u64_u32 v[11:12], null, v7, 3, 0
	global_load_u16 v26, v[9:10], off
	v_mov_b32_e32 v2, v12
	s_delay_alu instid0(VALU_DEP_1) | instskip(SKIP_2) | instid1(VALU_DEP_3)
	v_mad_co_u64_u32 v[12:13], null, v8, 3, v[2:3]
	v_mul_lo_u32 v2, s5, v11
	v_mad_co_u64_u32 v[7:8], null, s4, v11, s[4:5]
	v_mul_lo_u32 v9, s4, v12
	s_delay_alu instid0(VALU_DEP_2) | instskip(NEXT) | instid1(VALU_DEP_2)
	v_add_co_u32 v20, vcc_lo, v3, v7
	v_add3_u32 v8, v2, v8, v9
                                        ; implicit-def: $vgpr9_vgpr10
	s_wait_alu 0xfffd
	s_delay_alu instid0(VALU_DEP_1) | instskip(NEXT) | instid1(VALU_DEP_1)
	v_add_co_ci_u32_e64 v21, null, v4, v8, vcc_lo
	v_or_b32_e32 v2, s35, v21
	v_ashrrev_i32_e32 v17, 31, v21
	s_delay_alu instid0(VALU_DEP_2)
	v_cmpx_ne_u64_e32 0, v[1:2]
	s_wait_alu 0xfffe
	s_xor_b32 s85, exec_lo, s0
	s_cbranch_execz .LBB27_13
; %bb.12:                               ;   in Loop: Header=BB27_3 Depth=1
	s_ashr_i32 s76, s35, 31
	v_add_co_u32 v2, vcc_lo, v20, v17
	s_wait_alu 0xfffe
	s_mov_b32 s77, s76
	s_wait_alu 0xfffd
	v_add_co_ci_u32_e64 v9, null, v21, v17, vcc_lo
	s_wait_alu 0xfffe
	s_add_nc_u64 s[78:79], s[34:35], s[76:77]
	v_xor_b32_e32 v2, v2, v17
	s_wait_alu 0xfffe
	s_xor_b64 s[78:79], s[78:79], s[76:77]
	v_xor_b32_e32 v19, v9, v17
	s_wait_alu 0xfffe
	s_cvt_f32_u32 s0, s78
	s_cvt_f32_u32 s77, s79
	s_sub_nc_u64 s[88:89], 0, s[78:79]
	s_wait_alu 0xfffe
	s_delay_alu instid0(SALU_CYCLE_1) | instskip(SKIP_1) | instid1(SALU_CYCLE_2)
	s_fmamk_f32 s0, s77, 0x4f800000, s0
	s_wait_alu 0xfffe
	v_s_rcp_f32 s0, s0
	s_delay_alu instid0(TRANS32_DEP_1) | instskip(SKIP_1) | instid1(SALU_CYCLE_2)
	s_mul_f32 s0, s0, 0x5f7ffffc
	s_wait_alu 0xfffe
	s_mul_f32 s77, s0, 0x2f800000
	s_wait_alu 0xfffe
	s_delay_alu instid0(SALU_CYCLE_2) | instskip(SKIP_1) | instid1(SALU_CYCLE_2)
	s_trunc_f32 s77, s77
	s_wait_alu 0xfffe
	s_fmamk_f32 s0, s77, 0xcf800000, s0
	s_cvt_u32_f32 s87, s77
	s_wait_alu 0xfffe
	s_delay_alu instid0(SALU_CYCLE_1) | instskip(NEXT) | instid1(SALU_CYCLE_3)
	s_cvt_u32_f32 s86, s0
	s_mul_u64 s[90:91], s[88:89], s[86:87]
	s_delay_alu instid0(SALU_CYCLE_1)
	s_mul_hi_u32 s93, s86, s91
	s_mul_i32 s92, s86, s91
	s_mul_hi_u32 s0, s86, s90
	s_mul_i32 s94, s87, s90
	s_wait_alu 0xfffe
	s_add_nc_u64 s[92:93], s[0:1], s[92:93]
	s_mul_hi_u32 s77, s87, s90
	s_mul_hi_u32 s95, s87, s91
	s_add_co_u32 s0, s92, s94
	s_wait_alu 0xfffe
	s_add_co_ci_u32 s0, s93, s77
	s_mul_i32 s90, s87, s91
	s_add_co_ci_u32 s91, s95, 0
	s_wait_alu 0xfffe
	s_add_nc_u64 s[90:91], s[0:1], s[90:91]
	s_delay_alu instid0(SALU_CYCLE_1) | instskip(SKIP_4) | instid1(SALU_CYCLE_1)
	s_add_co_u32 s86, s86, s90
	s_cselect_b32 s0, -1, 0
	s_wait_alu 0xfffe
	s_cmp_lg_u32 s0, 0
	s_add_co_ci_u32 s87, s87, s91
	s_mul_u64 s[88:89], s[88:89], s[86:87]
	s_delay_alu instid0(SALU_CYCLE_1)
	s_mul_hi_u32 s91, s86, s89
	s_mul_i32 s90, s86, s89
	s_mul_hi_u32 s0, s86, s88
	s_mul_i32 s92, s87, s88
	s_wait_alu 0xfffe
	s_add_nc_u64 s[90:91], s[0:1], s[90:91]
	s_mul_hi_u32 s77, s87, s88
	s_mul_hi_u32 s93, s87, s89
	s_add_co_u32 s0, s90, s92
	s_wait_alu 0xfffe
	s_add_co_ci_u32 s0, s91, s77
	s_mul_i32 s88, s87, s89
	s_add_co_ci_u32 s89, s93, 0
	s_wait_alu 0xfffe
	s_add_nc_u64 s[88:89], s[0:1], s[88:89]
	s_delay_alu instid0(SALU_CYCLE_1)
	s_add_co_u32 s0, s86, s88
	s_cselect_b32 s77, -1, 0
	s_wait_alu 0xfffe
	v_mul_hi_u32 v24, v2, s0
	s_cmp_lg_u32 s77, 0
	v_mad_co_u64_u32 v[13:14], null, v19, s0, 0
	s_add_co_ci_u32 s77, s87, s89
	s_wait_alu 0xfffe
	v_mad_co_u64_u32 v[9:10], null, v2, s77, 0
	v_mad_co_u64_u32 v[22:23], null, v19, s77, 0
	s_delay_alu instid0(VALU_DEP_2) | instskip(SKIP_1) | instid1(VALU_DEP_3)
	v_add_co_u32 v9, vcc_lo, v24, v9
	s_wait_alu 0xfffd
	v_add_co_ci_u32_e64 v10, null, 0, v10, vcc_lo
	s_delay_alu instid0(VALU_DEP_2) | instskip(SKIP_1) | instid1(VALU_DEP_2)
	v_add_co_u32 v9, vcc_lo, v9, v13
	s_wait_alu 0xfffd
	v_add_co_ci_u32_e32 v9, vcc_lo, v10, v14, vcc_lo
	s_wait_alu 0xfffd
	v_add_co_ci_u32_e32 v10, vcc_lo, 0, v23, vcc_lo
	s_delay_alu instid0(VALU_DEP_2) | instskip(SKIP_1) | instid1(VALU_DEP_2)
	v_add_co_u32 v13, vcc_lo, v9, v22
	s_wait_alu 0xfffd
	v_add_co_ci_u32_e64 v14, null, 0, v10, vcc_lo
	s_delay_alu instid0(VALU_DEP_2) | instskip(SKIP_1) | instid1(VALU_DEP_3)
	v_mul_lo_u32 v22, s79, v13
	v_mad_co_u64_u32 v[9:10], null, s78, v13, 0
	v_mul_lo_u32 v23, s78, v14
	s_delay_alu instid0(VALU_DEP_2) | instskip(NEXT) | instid1(VALU_DEP_2)
	v_sub_co_u32 v2, vcc_lo, v2, v9
	v_add3_u32 v10, v10, v23, v22
	s_delay_alu instid0(VALU_DEP_1) | instskip(SKIP_2) | instid1(VALU_DEP_2)
	v_sub_nc_u32_e32 v22, v19, v10
	s_wait_alu 0xfffd
	v_sub_co_ci_u32_e64 v10, null, v19, v10, vcc_lo
	v_subrev_co_ci_u32_e64 v9, null, s79, v22, vcc_lo
	v_add_co_u32 v22, s0, v13, 2
	s_wait_alu 0xf1ff
	v_add_co_ci_u32_e64 v23, null, 0, v14, s0
	v_sub_co_u32 v24, s0, v2, s78
	s_wait_alu 0xf1ff
	v_subrev_co_ci_u32_e64 v9, null, 0, v9, s0
	s_delay_alu instid0(VALU_DEP_2) | instskip(SKIP_2) | instid1(VALU_DEP_3)
	v_cmp_le_u32_e32 vcc_lo, s78, v24
	s_wait_alu 0xfffd
	v_cndmask_b32_e64 v19, 0, -1, vcc_lo
	v_cmp_le_u32_e32 vcc_lo, s79, v9
	s_wait_alu 0xfffd
	v_cndmask_b32_e64 v24, 0, -1, vcc_lo
	;; [unrolled: 3-line block ×4, first 2 shown]
	v_cmp_eq_u32_e32 vcc_lo, s79, v9
	s_wait_alu 0xfffd
	v_cndmask_b32_e32 v9, v24, v19, vcc_lo
	v_add_co_u32 v19, vcc_lo, v13, 1
	s_wait_alu 0xfffd
	v_add_co_ci_u32_e64 v24, null, 0, v14, vcc_lo
	v_cmp_eq_u32_e32 vcc_lo, s79, v10
	v_xor_b32_e32 v10, s76, v17
	s_wait_alu 0xfffd
	v_cndmask_b32_e32 v2, v27, v2, vcc_lo
	v_cmp_ne_u32_e32 vcc_lo, 0, v9
	s_delay_alu instid0(VALU_DEP_2) | instskip(SKIP_3) | instid1(VALU_DEP_1)
	v_cmp_ne_u32_e64 s0, 0, v2
	s_wait_alu 0xfffd
	v_dual_cndmask_b32 v9, v24, v23 :: v_dual_cndmask_b32 v2, v19, v22
	s_wait_alu 0xf1ff
	v_cndmask_b32_e64 v9, v14, v9, s0
	s_delay_alu instid0(VALU_DEP_2) | instskip(NEXT) | instid1(VALU_DEP_2)
	v_cndmask_b32_e64 v2, v13, v2, s0
	v_xor_b32_e32 v13, v9, v10
	s_delay_alu instid0(VALU_DEP_2) | instskip(NEXT) | instid1(VALU_DEP_1)
	v_xor_b32_e32 v2, v2, v10
	v_sub_co_u32 v9, vcc_lo, v2, v10
	s_wait_alu 0xfffd
	s_delay_alu instid0(VALU_DEP_3)
	v_sub_co_ci_u32_e64 v10, null, v13, v10, vcc_lo
.LBB27_13:                              ;   in Loop: Header=BB27_3 Depth=1
	s_and_not1_saveexec_b32 s0, s85
	s_cbranch_execz .LBB27_15
; %bb.14:                               ;   in Loop: Header=BB27_3 Depth=1
	s_sub_co_i32 s76, 0, s34
	s_wait_alu 0xfffe
	v_mul_lo_u32 v2, s76, v25
	s_delay_alu instid0(VALU_DEP_1) | instskip(NEXT) | instid1(VALU_DEP_1)
	v_mul_hi_u32 v2, v25, v2
	v_add_nc_u32_e32 v2, v25, v2
	s_delay_alu instid0(VALU_DEP_1) | instskip(NEXT) | instid1(VALU_DEP_1)
	v_mul_hi_u32 v2, v20, v2
	v_mul_lo_u32 v9, v2, s34
	s_delay_alu instid0(VALU_DEP_1) | instskip(NEXT) | instid1(VALU_DEP_1)
	v_sub_nc_u32_e32 v9, v20, v9
	v_subrev_nc_u32_e32 v13, s34, v9
	v_cmp_le_u32_e32 vcc_lo, s34, v9
	s_wait_alu 0xfffd
	s_delay_alu instid0(VALU_DEP_2) | instskip(NEXT) | instid1(VALU_DEP_1)
	v_dual_cndmask_b32 v9, v9, v13 :: v_dual_add_nc_u32 v10, 1, v2
	v_cndmask_b32_e32 v2, v2, v10, vcc_lo
	s_delay_alu instid0(VALU_DEP_2) | instskip(NEXT) | instid1(VALU_DEP_2)
	v_cmp_le_u32_e32 vcc_lo, s34, v9
	v_add_nc_u32_e32 v10, 1, v2
	s_wait_alu 0xfffd
	s_delay_alu instid0(VALU_DEP_1)
	v_dual_cndmask_b32 v9, v2, v10 :: v_dual_mov_b32 v10, v1
.LBB27_15:                              ;   in Loop: Header=BB27_3 Depth=1
	s_wait_alu 0xfffe
	s_or_b32 exec_lo, exec_lo, s0
	s_delay_alu instid0(VALU_DEP_1) | instskip(NEXT) | instid1(VALU_DEP_2)
	v_mul_lo_u32 v2, v10, s34
	v_mul_lo_u32 v19, v9, s35
	v_mad_co_u64_u32 v[13:14], null, v9, s34, 0
	v_mul_lo_u32 v22, v9, s9
	s_mov_b32 s0, exec_lo
	s_delay_alu instid0(VALU_DEP_2) | instskip(SKIP_1) | instid1(VALU_DEP_4)
	v_add3_u32 v2, v14, v19, v2
	v_mul_lo_u32 v19, v10, s8
	v_sub_co_u32 v10, vcc_lo, v7, v13
	s_wait_alu 0xfffd
	s_delay_alu instid0(VALU_DEP_3) | instskip(NEXT) | instid1(VALU_DEP_2)
	v_sub_co_ci_u32_e64 v2, null, v8, v2, vcc_lo
	v_add_co_u32 v13, vcc_lo, v3, v10
	v_mad_co_u64_u32 v[9:10], null, v9, s8, 0
	s_wait_alu 0xfffd
	s_delay_alu instid0(VALU_DEP_3) | instskip(NEXT) | instid1(VALU_DEP_3)
	v_add_co_ci_u32_e64 v2, null, v4, v2, vcc_lo
	v_mul_lo_u32 v23, v13, s11
	v_mad_co_u64_u32 v[13:14], null, v13, s10, 0
	s_delay_alu instid0(VALU_DEP_3) | instskip(SKIP_1) | instid1(VALU_DEP_1)
	v_mul_lo_u32 v2, v2, s10
	v_add3_u32 v10, v10, v22, v19
	v_lshlrev_b64_e32 v[9:10], 1, v[9:10]
	s_delay_alu instid0(VALU_DEP_3) | instskip(NEXT) | instid1(VALU_DEP_2)
	v_add3_u32 v14, v14, v23, v2
	v_add_co_u32 v2, vcc_lo, s2, v9
	s_delay_alu instid0(VALU_DEP_2) | instskip(SKIP_1) | instid1(VALU_DEP_4)
	v_lshlrev_b64_e32 v[13:14], 1, v[13:14]
	s_wait_alu 0xfffd
	v_add_co_ci_u32_e64 v10, null, s3, v10, vcc_lo
	s_delay_alu instid0(VALU_DEP_2) | instskip(SKIP_1) | instid1(VALU_DEP_2)
	v_add_co_u32 v9, vcc_lo, v2, v13
	s_wait_alu 0xfffd
	v_add_co_ci_u32_e64 v10, null, v10, v14, vcc_lo
	v_add_co_u32 v2, vcc_lo, v11, 2
	global_load_u16 v27, v[9:10], off
	s_wait_alu 0xfffd
	v_add_co_ci_u32_e64 v9, null, 0, v12, vcc_lo
	v_mul_lo_u32 v13, s5, v2
	s_delay_alu instid0(VALU_DEP_2) | instskip(SKIP_1) | instid1(VALU_DEP_1)
	v_mul_lo_u32 v14, s4, v9
	v_mad_co_u64_u32 v[9:10], null, s4, v2, 0
	v_add3_u32 v10, v10, v14, v13
	s_delay_alu instid0(VALU_DEP_2) | instskip(SKIP_1) | instid1(VALU_DEP_2)
	v_add_co_u32 v23, vcc_lo, v3, v9
                                        ; implicit-def: $vgpr13_vgpr14
	s_wait_alu 0xfffd
	v_add_co_ci_u32_e64 v24, null, v4, v10, vcc_lo
	s_delay_alu instid0(VALU_DEP_1) | instskip(SKIP_1) | instid1(VALU_DEP_2)
	v_or_b32_e32 v2, s35, v24
	v_ashrrev_i32_e32 v19, 31, v24
	v_cmpx_ne_u64_e32 0, v[1:2]
	s_wait_alu 0xfffe
	s_xor_b32 s85, exec_lo, s0
	s_cbranch_execz .LBB27_17
; %bb.16:                               ;   in Loop: Header=BB27_3 Depth=1
	s_ashr_i32 s76, s35, 31
	v_add_co_u32 v2, vcc_lo, v23, v19
	s_wait_alu 0xfffe
	s_mov_b32 s77, s76
	s_wait_alu 0xfffd
	v_add_co_ci_u32_e64 v13, null, v24, v19, vcc_lo
	s_wait_alu 0xfffe
	s_add_nc_u64 s[78:79], s[34:35], s[76:77]
	v_xor_b32_e32 v2, v2, v19
	s_wait_alu 0xfffe
	s_xor_b64 s[78:79], s[78:79], s[76:77]
	v_xor_b32_e32 v22, v13, v19
	s_wait_alu 0xfffe
	s_cvt_f32_u32 s0, s78
	s_cvt_f32_u32 s77, s79
	s_sub_nc_u64 s[88:89], 0, s[78:79]
	s_wait_alu 0xfffe
	s_delay_alu instid0(SALU_CYCLE_1) | instskip(SKIP_1) | instid1(SALU_CYCLE_2)
	s_fmamk_f32 s0, s77, 0x4f800000, s0
	s_wait_alu 0xfffe
	v_s_rcp_f32 s0, s0
	s_delay_alu instid0(TRANS32_DEP_1) | instskip(SKIP_1) | instid1(SALU_CYCLE_2)
	s_mul_f32 s0, s0, 0x5f7ffffc
	s_wait_alu 0xfffe
	s_mul_f32 s77, s0, 0x2f800000
	s_wait_alu 0xfffe
	s_delay_alu instid0(SALU_CYCLE_2) | instskip(SKIP_1) | instid1(SALU_CYCLE_2)
	s_trunc_f32 s77, s77
	s_wait_alu 0xfffe
	s_fmamk_f32 s0, s77, 0xcf800000, s0
	s_cvt_u32_f32 s87, s77
	s_wait_alu 0xfffe
	s_delay_alu instid0(SALU_CYCLE_1) | instskip(NEXT) | instid1(SALU_CYCLE_3)
	s_cvt_u32_f32 s86, s0
	s_mul_u64 s[90:91], s[88:89], s[86:87]
	s_delay_alu instid0(SALU_CYCLE_1)
	s_mul_hi_u32 s93, s86, s91
	s_mul_i32 s92, s86, s91
	s_mul_hi_u32 s0, s86, s90
	s_mul_i32 s94, s87, s90
	s_wait_alu 0xfffe
	s_add_nc_u64 s[92:93], s[0:1], s[92:93]
	s_mul_hi_u32 s77, s87, s90
	s_mul_hi_u32 s95, s87, s91
	s_add_co_u32 s0, s92, s94
	s_wait_alu 0xfffe
	s_add_co_ci_u32 s0, s93, s77
	s_mul_i32 s90, s87, s91
	s_add_co_ci_u32 s91, s95, 0
	s_wait_alu 0xfffe
	s_add_nc_u64 s[90:91], s[0:1], s[90:91]
	s_delay_alu instid0(SALU_CYCLE_1) | instskip(SKIP_4) | instid1(SALU_CYCLE_1)
	s_add_co_u32 s86, s86, s90
	s_cselect_b32 s0, -1, 0
	s_wait_alu 0xfffe
	s_cmp_lg_u32 s0, 0
	s_add_co_ci_u32 s87, s87, s91
	s_mul_u64 s[88:89], s[88:89], s[86:87]
	s_delay_alu instid0(SALU_CYCLE_1)
	s_mul_hi_u32 s91, s86, s89
	s_mul_i32 s90, s86, s89
	s_mul_hi_u32 s0, s86, s88
	s_mul_i32 s92, s87, s88
	s_wait_alu 0xfffe
	s_add_nc_u64 s[90:91], s[0:1], s[90:91]
	s_mul_hi_u32 s77, s87, s88
	s_mul_hi_u32 s93, s87, s89
	s_add_co_u32 s0, s90, s92
	s_wait_alu 0xfffe
	s_add_co_ci_u32 s0, s91, s77
	s_mul_i32 s88, s87, s89
	s_add_co_ci_u32 s89, s93, 0
	s_wait_alu 0xfffe
	s_add_nc_u64 s[88:89], s[0:1], s[88:89]
	s_delay_alu instid0(SALU_CYCLE_1)
	s_add_co_u32 s0, s86, s88
	s_cselect_b32 s77, -1, 0
	s_wait_alu 0xfffe
	v_mul_hi_u32 v32, v2, s0
	s_cmp_lg_u32 s77, 0
	v_mad_co_u64_u32 v[28:29], null, v22, s0, 0
	s_add_co_ci_u32 s77, s87, s89
	s_wait_alu 0xfffe
	v_mad_co_u64_u32 v[13:14], null, v2, s77, 0
	v_mad_co_u64_u32 v[30:31], null, v22, s77, 0
	s_delay_alu instid0(VALU_DEP_2) | instskip(SKIP_1) | instid1(VALU_DEP_3)
	v_add_co_u32 v13, vcc_lo, v32, v13
	s_wait_alu 0xfffd
	v_add_co_ci_u32_e64 v14, null, 0, v14, vcc_lo
	s_delay_alu instid0(VALU_DEP_2) | instskip(SKIP_1) | instid1(VALU_DEP_2)
	v_add_co_u32 v13, vcc_lo, v13, v28
	s_wait_alu 0xfffd
	v_add_co_ci_u32_e32 v13, vcc_lo, v14, v29, vcc_lo
	s_wait_alu 0xfffd
	v_add_co_ci_u32_e32 v14, vcc_lo, 0, v31, vcc_lo
	s_delay_alu instid0(VALU_DEP_2) | instskip(SKIP_1) | instid1(VALU_DEP_2)
	v_add_co_u32 v28, vcc_lo, v13, v30
	s_wait_alu 0xfffd
	v_add_co_ci_u32_e64 v29, null, 0, v14, vcc_lo
	s_delay_alu instid0(VALU_DEP_2) | instskip(SKIP_1) | instid1(VALU_DEP_3)
	v_mul_lo_u32 v30, s79, v28
	v_mad_co_u64_u32 v[13:14], null, s78, v28, 0
	v_mul_lo_u32 v31, s78, v29
	s_delay_alu instid0(VALU_DEP_2) | instskip(NEXT) | instid1(VALU_DEP_2)
	v_sub_co_u32 v2, vcc_lo, v2, v13
	v_add3_u32 v14, v14, v31, v30
	s_delay_alu instid0(VALU_DEP_1) | instskip(SKIP_2) | instid1(VALU_DEP_2)
	v_sub_nc_u32_e32 v30, v22, v14
	s_wait_alu 0xfffd
	v_sub_co_ci_u32_e64 v14, null, v22, v14, vcc_lo
	v_subrev_co_ci_u32_e64 v13, null, s79, v30, vcc_lo
	v_add_co_u32 v30, s0, v28, 2
	s_wait_alu 0xf1ff
	v_add_co_ci_u32_e64 v31, null, 0, v29, s0
	v_sub_co_u32 v32, s0, v2, s78
	s_wait_alu 0xf1ff
	v_subrev_co_ci_u32_e64 v13, null, 0, v13, s0
	s_delay_alu instid0(VALU_DEP_2) | instskip(SKIP_2) | instid1(VALU_DEP_3)
	v_cmp_le_u32_e32 vcc_lo, s78, v32
	s_wait_alu 0xfffd
	v_cndmask_b32_e64 v22, 0, -1, vcc_lo
	v_cmp_le_u32_e32 vcc_lo, s79, v13
	s_wait_alu 0xfffd
	v_cndmask_b32_e64 v32, 0, -1, vcc_lo
	;; [unrolled: 3-line block ×4, first 2 shown]
	v_cmp_eq_u32_e32 vcc_lo, s79, v13
	s_wait_alu 0xfffd
	v_cndmask_b32_e32 v13, v32, v22, vcc_lo
	v_add_co_u32 v22, vcc_lo, v28, 1
	s_wait_alu 0xfffd
	v_add_co_ci_u32_e64 v32, null, 0, v29, vcc_lo
	v_cmp_eq_u32_e32 vcc_lo, s79, v14
	v_xor_b32_e32 v14, s76, v19
	s_wait_alu 0xfffd
	v_cndmask_b32_e32 v2, v33, v2, vcc_lo
	v_cmp_ne_u32_e32 vcc_lo, 0, v13
	s_wait_alu 0xfffd
	v_cndmask_b32_e32 v13, v32, v31, vcc_lo
	s_delay_alu instid0(VALU_DEP_3) | instskip(SKIP_2) | instid1(VALU_DEP_2)
	v_cmp_ne_u32_e64 s0, 0, v2
	v_cndmask_b32_e32 v2, v22, v30, vcc_lo
	s_wait_alu 0xf1ff
	v_cndmask_b32_e64 v13, v29, v13, s0
	s_delay_alu instid0(VALU_DEP_2) | instskip(NEXT) | instid1(VALU_DEP_2)
	v_cndmask_b32_e64 v2, v28, v2, s0
	v_xor_b32_e32 v22, v13, v14
	s_delay_alu instid0(VALU_DEP_2) | instskip(NEXT) | instid1(VALU_DEP_1)
	v_xor_b32_e32 v2, v2, v14
	v_sub_co_u32 v13, vcc_lo, v2, v14
	s_wait_alu 0xfffd
	s_delay_alu instid0(VALU_DEP_3)
	v_sub_co_ci_u32_e64 v14, null, v22, v14, vcc_lo
.LBB27_17:                              ;   in Loop: Header=BB27_3 Depth=1
	s_and_not1_saveexec_b32 s0, s85
	s_cbranch_execz .LBB27_19
; %bb.18:                               ;   in Loop: Header=BB27_3 Depth=1
	s_sub_co_i32 s76, 0, s34
	s_wait_alu 0xfffe
	v_mul_lo_u32 v2, s76, v25
	s_delay_alu instid0(VALU_DEP_1) | instskip(NEXT) | instid1(VALU_DEP_1)
	v_mul_hi_u32 v2, v25, v2
	v_add_nc_u32_e32 v2, v25, v2
	s_delay_alu instid0(VALU_DEP_1) | instskip(NEXT) | instid1(VALU_DEP_1)
	v_mul_hi_u32 v2, v23, v2
	v_mul_lo_u32 v13, v2, s34
	v_add_nc_u32_e32 v14, 1, v2
	s_delay_alu instid0(VALU_DEP_2) | instskip(NEXT) | instid1(VALU_DEP_1)
	v_sub_nc_u32_e32 v13, v23, v13
	v_subrev_nc_u32_e32 v22, s34, v13
	v_cmp_le_u32_e32 vcc_lo, s34, v13
	s_wait_alu 0xfffd
	s_delay_alu instid0(VALU_DEP_2) | instskip(SKIP_1) | instid1(VALU_DEP_2)
	v_cndmask_b32_e32 v13, v13, v22, vcc_lo
	v_cndmask_b32_e32 v2, v2, v14, vcc_lo
	v_cmp_le_u32_e32 vcc_lo, s34, v13
	s_delay_alu instid0(VALU_DEP_2) | instskip(SKIP_1) | instid1(VALU_DEP_1)
	v_add_nc_u32_e32 v14, 1, v2
	s_wait_alu 0xfffd
	v_dual_cndmask_b32 v13, v2, v14 :: v_dual_mov_b32 v14, v1
.LBB27_19:                              ;   in Loop: Header=BB27_3 Depth=1
	s_wait_alu 0xfffe
	s_or_b32 exec_lo, exec_lo, s0
	s_delay_alu instid0(VALU_DEP_1) | instskip(NEXT) | instid1(VALU_DEP_2)
	v_mul_lo_u32 v2, v14, s34
	v_mul_lo_u32 v22, v13, s35
	v_mad_co_u64_u32 v[28:29], null, v13, s34, 0
	v_mul_lo_u32 v30, v13, s9
	s_mov_b32 s0, exec_lo
	s_delay_alu instid0(VALU_DEP_2) | instskip(SKIP_1) | instid1(VALU_DEP_4)
	v_add3_u32 v2, v29, v22, v2
	v_mul_lo_u32 v22, v14, s8
	v_sub_co_u32 v14, vcc_lo, v9, v28
	s_wait_alu 0xfffd
	s_delay_alu instid0(VALU_DEP_3) | instskip(NEXT) | instid1(VALU_DEP_2)
	v_sub_co_ci_u32_e64 v2, null, v10, v2, vcc_lo
	v_add_co_u32 v28, vcc_lo, v3, v14
	v_mad_co_u64_u32 v[13:14], null, v13, s8, 0
	s_wait_alu 0xfffd
	s_delay_alu instid0(VALU_DEP_3) | instskip(NEXT) | instid1(VALU_DEP_3)
	v_add_co_ci_u32_e64 v2, null, v4, v2, vcc_lo
	v_mul_lo_u32 v31, v28, s11
	v_mad_co_u64_u32 v[28:29], null, v28, s10, 0
	s_delay_alu instid0(VALU_DEP_3) | instskip(SKIP_1) | instid1(VALU_DEP_1)
	v_mul_lo_u32 v2, v2, s10
	v_add3_u32 v14, v14, v30, v22
	v_lshlrev_b64_e32 v[13:14], 1, v[13:14]
	s_delay_alu instid0(VALU_DEP_3) | instskip(NEXT) | instid1(VALU_DEP_2)
	v_add3_u32 v29, v29, v31, v2
	v_add_co_u32 v2, vcc_lo, s2, v13
	s_delay_alu instid0(VALU_DEP_2) | instskip(SKIP_1) | instid1(VALU_DEP_4)
	v_lshlrev_b64_e32 v[28:29], 1, v[28:29]
	s_wait_alu 0xfffd
	v_add_co_ci_u32_e64 v14, null, s3, v14, vcc_lo
	s_delay_alu instid0(VALU_DEP_2) | instskip(SKIP_1) | instid1(VALU_DEP_2)
	v_add_co_u32 v13, vcc_lo, v2, v28
	s_wait_alu 0xfffd
	v_add_co_ci_u32_e64 v14, null, v14, v29, vcc_lo
	v_add_co_u32 v2, vcc_lo, v11, 3
	s_wait_alu 0xfffd
	v_add_co_ci_u32_e64 v11, null, 0, v12, vcc_lo
	global_load_u16 v28, v[13:14], off
	v_mul_lo_u32 v13, s5, v2
	v_mul_lo_u32 v14, s4, v11
	v_mad_co_u64_u32 v[11:12], null, s4, v2, 0
	s_delay_alu instid0(VALU_DEP_1) | instskip(NEXT) | instid1(VALU_DEP_2)
	v_add3_u32 v12, v12, v14, v13
	v_add_co_u32 v30, vcc_lo, v3, v11
                                        ; implicit-def: $vgpr13_vgpr14
	s_wait_alu 0xfffd
	s_delay_alu instid0(VALU_DEP_2) | instskip(NEXT) | instid1(VALU_DEP_1)
	v_add_co_ci_u32_e64 v31, null, v4, v12, vcc_lo
	v_or_b32_e32 v2, s35, v31
	v_ashrrev_i32_e32 v22, 31, v31
	s_delay_alu instid0(VALU_DEP_2)
	v_cmpx_ne_u64_e32 0, v[1:2]
	s_wait_alu 0xfffe
	s_xor_b32 s85, exec_lo, s0
	s_cbranch_execz .LBB27_21
; %bb.20:                               ;   in Loop: Header=BB27_3 Depth=1
	s_ashr_i32 s76, s35, 31
	v_add_co_u32 v2, vcc_lo, v30, v22
	s_wait_alu 0xfffe
	s_mov_b32 s77, s76
	s_wait_alu 0xfffd
	v_add_co_ci_u32_e64 v13, null, v31, v22, vcc_lo
	s_wait_alu 0xfffe
	s_add_nc_u64 s[78:79], s[34:35], s[76:77]
	v_xor_b32_e32 v2, v2, v22
	s_wait_alu 0xfffe
	s_xor_b64 s[78:79], s[78:79], s[76:77]
	v_xor_b32_e32 v29, v13, v22
	s_wait_alu 0xfffe
	s_cvt_f32_u32 s0, s78
	s_cvt_f32_u32 s77, s79
	s_sub_nc_u64 s[88:89], 0, s[78:79]
	s_wait_alu 0xfffe
	s_delay_alu instid0(SALU_CYCLE_1) | instskip(SKIP_1) | instid1(SALU_CYCLE_2)
	s_fmamk_f32 s0, s77, 0x4f800000, s0
	s_wait_alu 0xfffe
	v_s_rcp_f32 s0, s0
	s_delay_alu instid0(TRANS32_DEP_1) | instskip(SKIP_1) | instid1(SALU_CYCLE_2)
	s_mul_f32 s0, s0, 0x5f7ffffc
	s_wait_alu 0xfffe
	s_mul_f32 s77, s0, 0x2f800000
	s_wait_alu 0xfffe
	s_delay_alu instid0(SALU_CYCLE_2) | instskip(SKIP_1) | instid1(SALU_CYCLE_2)
	s_trunc_f32 s77, s77
	s_wait_alu 0xfffe
	s_fmamk_f32 s0, s77, 0xcf800000, s0
	s_cvt_u32_f32 s87, s77
	s_wait_alu 0xfffe
	s_delay_alu instid0(SALU_CYCLE_1) | instskip(NEXT) | instid1(SALU_CYCLE_3)
	s_cvt_u32_f32 s86, s0
	s_mul_u64 s[90:91], s[88:89], s[86:87]
	s_delay_alu instid0(SALU_CYCLE_1)
	s_mul_hi_u32 s93, s86, s91
	s_mul_i32 s92, s86, s91
	s_mul_hi_u32 s0, s86, s90
	s_mul_i32 s94, s87, s90
	s_wait_alu 0xfffe
	s_add_nc_u64 s[92:93], s[0:1], s[92:93]
	s_mul_hi_u32 s77, s87, s90
	s_mul_hi_u32 s95, s87, s91
	s_add_co_u32 s0, s92, s94
	s_wait_alu 0xfffe
	s_add_co_ci_u32 s0, s93, s77
	s_mul_i32 s90, s87, s91
	s_add_co_ci_u32 s91, s95, 0
	s_wait_alu 0xfffe
	s_add_nc_u64 s[90:91], s[0:1], s[90:91]
	s_delay_alu instid0(SALU_CYCLE_1) | instskip(SKIP_4) | instid1(SALU_CYCLE_1)
	s_add_co_u32 s86, s86, s90
	s_cselect_b32 s0, -1, 0
	s_wait_alu 0xfffe
	s_cmp_lg_u32 s0, 0
	s_add_co_ci_u32 s87, s87, s91
	s_mul_u64 s[88:89], s[88:89], s[86:87]
	s_delay_alu instid0(SALU_CYCLE_1)
	s_mul_hi_u32 s91, s86, s89
	s_mul_i32 s90, s86, s89
	s_mul_hi_u32 s0, s86, s88
	s_mul_i32 s92, s87, s88
	s_wait_alu 0xfffe
	s_add_nc_u64 s[90:91], s[0:1], s[90:91]
	s_mul_hi_u32 s77, s87, s88
	s_mul_hi_u32 s93, s87, s89
	s_add_co_u32 s0, s90, s92
	s_wait_alu 0xfffe
	s_add_co_ci_u32 s0, s91, s77
	s_mul_i32 s88, s87, s89
	s_add_co_ci_u32 s89, s93, 0
	s_wait_alu 0xfffe
	s_add_nc_u64 s[88:89], s[0:1], s[88:89]
	s_delay_alu instid0(SALU_CYCLE_1)
	s_add_co_u32 s0, s86, s88
	s_cselect_b32 s77, -1, 0
	s_wait_alu 0xfffe
	v_mul_hi_u32 v36, v2, s0
	s_cmp_lg_u32 s77, 0
	v_mad_co_u64_u32 v[32:33], null, v29, s0, 0
	s_add_co_ci_u32 s77, s87, s89
	s_wait_alu 0xfffe
	v_mad_co_u64_u32 v[13:14], null, v2, s77, 0
	v_mad_co_u64_u32 v[34:35], null, v29, s77, 0
	s_delay_alu instid0(VALU_DEP_2) | instskip(SKIP_1) | instid1(VALU_DEP_3)
	v_add_co_u32 v13, vcc_lo, v36, v13
	s_wait_alu 0xfffd
	v_add_co_ci_u32_e64 v14, null, 0, v14, vcc_lo
	s_delay_alu instid0(VALU_DEP_2) | instskip(SKIP_1) | instid1(VALU_DEP_2)
	v_add_co_u32 v13, vcc_lo, v13, v32
	s_wait_alu 0xfffd
	v_add_co_ci_u32_e32 v13, vcc_lo, v14, v33, vcc_lo
	s_wait_alu 0xfffd
	v_add_co_ci_u32_e32 v14, vcc_lo, 0, v35, vcc_lo
	s_delay_alu instid0(VALU_DEP_2) | instskip(SKIP_1) | instid1(VALU_DEP_2)
	v_add_co_u32 v32, vcc_lo, v13, v34
	s_wait_alu 0xfffd
	v_add_co_ci_u32_e64 v33, null, 0, v14, vcc_lo
	s_delay_alu instid0(VALU_DEP_2) | instskip(SKIP_1) | instid1(VALU_DEP_3)
	v_mul_lo_u32 v34, s79, v32
	v_mad_co_u64_u32 v[13:14], null, s78, v32, 0
	v_mul_lo_u32 v35, s78, v33
	s_delay_alu instid0(VALU_DEP_2) | instskip(NEXT) | instid1(VALU_DEP_2)
	v_sub_co_u32 v2, vcc_lo, v2, v13
	v_add3_u32 v14, v14, v35, v34
	s_delay_alu instid0(VALU_DEP_1) | instskip(SKIP_2) | instid1(VALU_DEP_2)
	v_sub_nc_u32_e32 v34, v29, v14
	s_wait_alu 0xfffd
	v_sub_co_ci_u32_e64 v14, null, v29, v14, vcc_lo
	v_subrev_co_ci_u32_e64 v13, null, s79, v34, vcc_lo
	v_add_co_u32 v34, s0, v32, 2
	s_wait_alu 0xf1ff
	v_add_co_ci_u32_e64 v35, null, 0, v33, s0
	v_sub_co_u32 v36, s0, v2, s78
	s_wait_alu 0xf1ff
	v_subrev_co_ci_u32_e64 v13, null, 0, v13, s0
	s_delay_alu instid0(VALU_DEP_2) | instskip(SKIP_2) | instid1(VALU_DEP_3)
	v_cmp_le_u32_e32 vcc_lo, s78, v36
	s_wait_alu 0xfffd
	v_cndmask_b32_e64 v29, 0, -1, vcc_lo
	v_cmp_le_u32_e32 vcc_lo, s79, v13
	s_wait_alu 0xfffd
	v_cndmask_b32_e64 v36, 0, -1, vcc_lo
	;; [unrolled: 3-line block ×4, first 2 shown]
	v_cmp_eq_u32_e32 vcc_lo, s79, v13
	s_wait_alu 0xfffd
	v_cndmask_b32_e32 v13, v36, v29, vcc_lo
	v_add_co_u32 v29, vcc_lo, v32, 1
	s_wait_alu 0xfffd
	v_add_co_ci_u32_e64 v36, null, 0, v33, vcc_lo
	v_cmp_eq_u32_e32 vcc_lo, s79, v14
	v_xor_b32_e32 v14, s76, v22
	s_wait_alu 0xfffd
	v_cndmask_b32_e32 v2, v37, v2, vcc_lo
	v_cmp_ne_u32_e32 vcc_lo, 0, v13
	s_delay_alu instid0(VALU_DEP_2) | instskip(SKIP_3) | instid1(VALU_DEP_1)
	v_cmp_ne_u32_e64 s0, 0, v2
	s_wait_alu 0xfffd
	v_dual_cndmask_b32 v13, v36, v35 :: v_dual_cndmask_b32 v2, v29, v34
	s_wait_alu 0xf1ff
	v_cndmask_b32_e64 v13, v33, v13, s0
	s_delay_alu instid0(VALU_DEP_2) | instskip(NEXT) | instid1(VALU_DEP_2)
	v_cndmask_b32_e64 v2, v32, v2, s0
	v_xor_b32_e32 v29, v13, v14
	s_delay_alu instid0(VALU_DEP_2) | instskip(NEXT) | instid1(VALU_DEP_1)
	v_xor_b32_e32 v2, v2, v14
	v_sub_co_u32 v13, vcc_lo, v2, v14
	s_wait_alu 0xfffd
	s_delay_alu instid0(VALU_DEP_3)
	v_sub_co_ci_u32_e64 v14, null, v29, v14, vcc_lo
.LBB27_21:                              ;   in Loop: Header=BB27_3 Depth=1
	s_and_not1_saveexec_b32 s0, s85
	s_cbranch_execz .LBB27_23
; %bb.22:                               ;   in Loop: Header=BB27_3 Depth=1
	s_sub_co_i32 s76, 0, s34
	s_wait_alu 0xfffe
	v_mul_lo_u32 v2, s76, v25
	s_delay_alu instid0(VALU_DEP_1) | instskip(NEXT) | instid1(VALU_DEP_1)
	v_mul_hi_u32 v2, v25, v2
	v_add_nc_u32_e32 v2, v25, v2
	s_delay_alu instid0(VALU_DEP_1) | instskip(NEXT) | instid1(VALU_DEP_1)
	v_mul_hi_u32 v2, v30, v2
	v_mul_lo_u32 v13, v2, s34
	s_delay_alu instid0(VALU_DEP_1) | instskip(NEXT) | instid1(VALU_DEP_1)
	v_sub_nc_u32_e32 v13, v30, v13
	v_subrev_nc_u32_e32 v29, s34, v13
	v_cmp_le_u32_e32 vcc_lo, s34, v13
	s_wait_alu 0xfffd
	s_delay_alu instid0(VALU_DEP_2) | instskip(NEXT) | instid1(VALU_DEP_1)
	v_dual_cndmask_b32 v13, v13, v29 :: v_dual_add_nc_u32 v14, 1, v2
	v_cndmask_b32_e32 v2, v2, v14, vcc_lo
	s_delay_alu instid0(VALU_DEP_2) | instskip(NEXT) | instid1(VALU_DEP_2)
	v_cmp_le_u32_e32 vcc_lo, s34, v13
	v_add_nc_u32_e32 v14, 1, v2
	s_wait_alu 0xfffd
	s_delay_alu instid0(VALU_DEP_1)
	v_dual_cndmask_b32 v13, v2, v14 :: v_dual_mov_b32 v14, v1
.LBB27_23:                              ;   in Loop: Header=BB27_3 Depth=1
	s_wait_alu 0xfffe
	s_or_b32 exec_lo, exec_lo, s0
	s_delay_alu instid0(VALU_DEP_1) | instskip(NEXT) | instid1(VALU_DEP_2)
	v_mul_lo_u32 v2, v14, s34
	v_mul_lo_u32 v29, v13, s35
	v_mad_co_u64_u32 v[32:33], null, v13, s34, 0
	v_mul_lo_u32 v34, v13, s9
	s_mov_b32 s0, exec_lo
	s_delay_alu instid0(VALU_DEP_2) | instskip(SKIP_1) | instid1(VALU_DEP_4)
	v_add3_u32 v2, v33, v29, v2
	v_mul_lo_u32 v29, v14, s8
	v_sub_co_u32 v14, vcc_lo, v11, v32
	s_wait_alu 0xfffd
	s_delay_alu instid0(VALU_DEP_3) | instskip(NEXT) | instid1(VALU_DEP_2)
	v_sub_co_ci_u32_e64 v2, null, v12, v2, vcc_lo
	v_add_co_u32 v32, vcc_lo, v3, v14
	v_mad_co_u64_u32 v[13:14], null, v13, s8, 0
	s_wait_alu 0xfffd
	s_delay_alu instid0(VALU_DEP_3) | instskip(NEXT) | instid1(VALU_DEP_3)
	v_add_co_ci_u32_e64 v2, null, v4, v2, vcc_lo
	v_mul_lo_u32 v35, v32, s11
	v_mad_co_u64_u32 v[32:33], null, v32, s10, 0
	s_delay_alu instid0(VALU_DEP_3) | instskip(SKIP_1) | instid1(VALU_DEP_1)
	v_mul_lo_u32 v2, v2, s10
	v_add3_u32 v14, v14, v34, v29
	v_lshlrev_b64_e32 v[13:14], 1, v[13:14]
	s_delay_alu instid0(VALU_DEP_3) | instskip(NEXT) | instid1(VALU_DEP_2)
	v_add3_u32 v33, v33, v35, v2
	v_add_co_u32 v2, vcc_lo, s2, v13
	s_delay_alu instid0(VALU_DEP_2) | instskip(SKIP_1) | instid1(VALU_DEP_4)
	v_lshlrev_b64_e32 v[32:33], 1, v[32:33]
	s_wait_alu 0xfffd
	v_add_co_ci_u32_e64 v14, null, s3, v14, vcc_lo
	s_delay_alu instid0(VALU_DEP_2) | instskip(SKIP_1) | instid1(VALU_DEP_2)
	v_add_co_u32 v13, vcc_lo, v2, v32
	s_wait_alu 0xfffd
	v_add_co_ci_u32_e64 v14, null, v14, v33, vcc_lo
	v_or_b32_e32 v2, s45, v18
	global_load_u16 v29, v[13:14], off
                                        ; implicit-def: $vgpr13_vgpr14
	v_cmpx_ne_u64_e32 0, v[1:2]
	s_wait_alu 0xfffe
	s_xor_b32 s85, exec_lo, s0
	s_cbranch_execz .LBB27_25
; %bb.24:                               ;   in Loop: Header=BB27_3 Depth=1
	s_ashr_i32 s76, s45, 31
	v_add_co_u32 v2, vcc_lo, v16, v15
	s_wait_alu 0xfffe
	s_mov_b32 s77, s76
	s_wait_alu 0xfffd
	v_add_co_ci_u32_e64 v13, null, v18, v15, vcc_lo
	s_wait_alu 0xfffe
	s_add_nc_u64 s[78:79], s[44:45], s[76:77]
	v_xor_b32_e32 v2, v2, v15
	s_wait_alu 0xfffe
	s_xor_b64 s[78:79], s[78:79], s[76:77]
	v_xor_b32_e32 v16, v13, v15
	s_wait_alu 0xfffe
	s_cvt_f32_u32 s0, s78
	s_cvt_f32_u32 s77, s79
	s_sub_nc_u64 s[88:89], 0, s[78:79]
	s_wait_alu 0xfffe
	s_delay_alu instid0(SALU_CYCLE_1) | instskip(SKIP_1) | instid1(SALU_CYCLE_2)
	s_fmamk_f32 s0, s77, 0x4f800000, s0
	s_wait_alu 0xfffe
	v_s_rcp_f32 s0, s0
	s_delay_alu instid0(TRANS32_DEP_1) | instskip(SKIP_1) | instid1(SALU_CYCLE_2)
	s_mul_f32 s0, s0, 0x5f7ffffc
	s_wait_alu 0xfffe
	s_mul_f32 s77, s0, 0x2f800000
	s_wait_alu 0xfffe
	s_delay_alu instid0(SALU_CYCLE_2) | instskip(SKIP_1) | instid1(SALU_CYCLE_2)
	s_trunc_f32 s77, s77
	s_wait_alu 0xfffe
	s_fmamk_f32 s0, s77, 0xcf800000, s0
	s_cvt_u32_f32 s87, s77
	s_wait_alu 0xfffe
	s_delay_alu instid0(SALU_CYCLE_1) | instskip(NEXT) | instid1(SALU_CYCLE_3)
	s_cvt_u32_f32 s86, s0
	s_mul_u64 s[90:91], s[88:89], s[86:87]
	s_delay_alu instid0(SALU_CYCLE_1)
	s_mul_hi_u32 s93, s86, s91
	s_mul_i32 s92, s86, s91
	s_mul_hi_u32 s0, s86, s90
	s_mul_i32 s94, s87, s90
	s_wait_alu 0xfffe
	s_add_nc_u64 s[92:93], s[0:1], s[92:93]
	s_mul_hi_u32 s77, s87, s90
	s_mul_hi_u32 s95, s87, s91
	s_add_co_u32 s0, s92, s94
	s_wait_alu 0xfffe
	s_add_co_ci_u32 s0, s93, s77
	s_mul_i32 s90, s87, s91
	s_add_co_ci_u32 s91, s95, 0
	s_wait_alu 0xfffe
	s_add_nc_u64 s[90:91], s[0:1], s[90:91]
	s_delay_alu instid0(SALU_CYCLE_1) | instskip(SKIP_4) | instid1(SALU_CYCLE_1)
	s_add_co_u32 s86, s86, s90
	s_cselect_b32 s0, -1, 0
	s_wait_alu 0xfffe
	s_cmp_lg_u32 s0, 0
	s_add_co_ci_u32 s87, s87, s91
	s_mul_u64 s[88:89], s[88:89], s[86:87]
	s_delay_alu instid0(SALU_CYCLE_1)
	s_mul_hi_u32 s91, s86, s89
	s_mul_i32 s90, s86, s89
	s_mul_hi_u32 s0, s86, s88
	s_mul_i32 s92, s87, s88
	s_wait_alu 0xfffe
	s_add_nc_u64 s[90:91], s[0:1], s[90:91]
	s_mul_hi_u32 s77, s87, s88
	s_mul_hi_u32 s93, s87, s89
	s_add_co_u32 s0, s90, s92
	s_wait_alu 0xfffe
	s_add_co_ci_u32 s0, s91, s77
	s_mul_i32 s88, s87, s89
	s_add_co_ci_u32 s89, s93, 0
	s_wait_alu 0xfffe
	s_add_nc_u64 s[88:89], s[0:1], s[88:89]
	s_delay_alu instid0(SALU_CYCLE_1)
	s_add_co_u32 s0, s86, s88
	s_cselect_b32 s77, -1, 0
	s_wait_alu 0xfffe
	v_mul_hi_u32 v18, v2, s0
	s_cmp_lg_u32 s77, 0
	v_mad_co_u64_u32 v[32:33], null, v16, s0, 0
	s_add_co_ci_u32 s77, s87, s89
	s_wait_alu 0xfffe
	v_mad_co_u64_u32 v[13:14], null, v2, s77, 0
	v_mad_co_u64_u32 v[34:35], null, v16, s77, 0
	s_delay_alu instid0(VALU_DEP_2) | instskip(SKIP_1) | instid1(VALU_DEP_3)
	v_add_co_u32 v13, vcc_lo, v18, v13
	s_wait_alu 0xfffd
	v_add_co_ci_u32_e64 v14, null, 0, v14, vcc_lo
	s_delay_alu instid0(VALU_DEP_2) | instskip(SKIP_1) | instid1(VALU_DEP_2)
	v_add_co_u32 v13, vcc_lo, v13, v32
	s_wait_alu 0xfffd
	v_add_co_ci_u32_e32 v13, vcc_lo, v14, v33, vcc_lo
	s_wait_alu 0xfffd
	v_add_co_ci_u32_e32 v14, vcc_lo, 0, v35, vcc_lo
	s_delay_alu instid0(VALU_DEP_2) | instskip(SKIP_1) | instid1(VALU_DEP_2)
	v_add_co_u32 v18, vcc_lo, v13, v34
	s_wait_alu 0xfffd
	v_add_co_ci_u32_e64 v32, null, 0, v14, vcc_lo
	s_delay_alu instid0(VALU_DEP_2) | instskip(SKIP_1) | instid1(VALU_DEP_3)
	v_mul_lo_u32 v33, s79, v18
	v_mad_co_u64_u32 v[13:14], null, s78, v18, 0
	v_mul_lo_u32 v34, s78, v32
	s_delay_alu instid0(VALU_DEP_2) | instskip(NEXT) | instid1(VALU_DEP_2)
	v_sub_co_u32 v2, vcc_lo, v2, v13
	v_add3_u32 v14, v14, v34, v33
	s_delay_alu instid0(VALU_DEP_1) | instskip(SKIP_2) | instid1(VALU_DEP_2)
	v_sub_nc_u32_e32 v33, v16, v14
	s_wait_alu 0xfffd
	v_sub_co_ci_u32_e64 v14, null, v16, v14, vcc_lo
	v_subrev_co_ci_u32_e64 v13, null, s79, v33, vcc_lo
	v_add_co_u32 v33, s0, v18, 2
	s_wait_alu 0xf1ff
	v_add_co_ci_u32_e64 v34, null, 0, v32, s0
	v_sub_co_u32 v35, s0, v2, s78
	s_wait_alu 0xf1ff
	v_subrev_co_ci_u32_e64 v13, null, 0, v13, s0
	s_delay_alu instid0(VALU_DEP_2) | instskip(SKIP_2) | instid1(VALU_DEP_3)
	v_cmp_le_u32_e32 vcc_lo, s78, v35
	s_wait_alu 0xfffd
	v_cndmask_b32_e64 v16, 0, -1, vcc_lo
	v_cmp_le_u32_e32 vcc_lo, s79, v13
	s_wait_alu 0xfffd
	v_cndmask_b32_e64 v35, 0, -1, vcc_lo
	;; [unrolled: 3-line block ×4, first 2 shown]
	v_cmp_eq_u32_e32 vcc_lo, s79, v13
	s_wait_alu 0xfffd
	v_cndmask_b32_e32 v13, v35, v16, vcc_lo
	v_add_co_u32 v16, vcc_lo, v18, 1
	s_wait_alu 0xfffd
	v_add_co_ci_u32_e64 v35, null, 0, v32, vcc_lo
	v_cmp_eq_u32_e32 vcc_lo, s79, v14
	v_xor_b32_e32 v14, s76, v15
	s_wait_alu 0xfffd
	v_cndmask_b32_e32 v2, v36, v2, vcc_lo
	v_cmp_ne_u32_e32 vcc_lo, 0, v13
	s_delay_alu instid0(VALU_DEP_2) | instskip(SKIP_3) | instid1(VALU_DEP_1)
	v_cmp_ne_u32_e64 s0, 0, v2
	s_wait_alu 0xfffd
	v_dual_cndmask_b32 v13, v35, v34 :: v_dual_cndmask_b32 v2, v16, v33
                                        ; implicit-def: $vgpr16
	s_wait_alu 0xf1ff
	v_cndmask_b32_e64 v13, v32, v13, s0
	s_delay_alu instid0(VALU_DEP_2) | instskip(NEXT) | instid1(VALU_DEP_2)
	v_cndmask_b32_e64 v2, v18, v2, s0
	v_xor_b32_e32 v15, v13, v14
	s_delay_alu instid0(VALU_DEP_2) | instskip(NEXT) | instid1(VALU_DEP_1)
	v_xor_b32_e32 v2, v2, v14
	v_sub_co_u32 v13, vcc_lo, v2, v14
	s_wait_alu 0xfffd
	s_delay_alu instid0(VALU_DEP_3)
	v_sub_co_ci_u32_e64 v14, null, v15, v14, vcc_lo
.LBB27_25:                              ;   in Loop: Header=BB27_3 Depth=1
	s_or_saveexec_b32 s0, s85
	v_cvt_f32_u32_e32 v32, s44
	s_wait_alu 0xfffe
	s_xor_b32 exec_lo, exec_lo, s0
	s_cbranch_execz .LBB27_27
; %bb.26:                               ;   in Loop: Header=BB27_3 Depth=1
	s_delay_alu instid0(VALU_DEP_1) | instskip(SKIP_1) | instid1(TRANS32_DEP_1)
	v_rcp_iflag_f32_e32 v2, v32
	s_sub_co_i32 s76, 0, s44
	v_mul_f32_e32 v2, 0x4f7ffffe, v2
	s_delay_alu instid0(VALU_DEP_1) | instskip(SKIP_1) | instid1(VALU_DEP_1)
	v_cvt_u32_f32_e32 v2, v2
	s_wait_alu 0xfffe
	v_mul_lo_u32 v13, s76, v2
	s_delay_alu instid0(VALU_DEP_1) | instskip(NEXT) | instid1(VALU_DEP_1)
	v_mul_hi_u32 v13, v2, v13
	v_add_nc_u32_e32 v2, v2, v13
	s_delay_alu instid0(VALU_DEP_1) | instskip(NEXT) | instid1(VALU_DEP_1)
	v_mul_hi_u32 v2, v16, v2
	v_mul_lo_u32 v13, v2, s44
	v_add_nc_u32_e32 v14, 1, v2
	s_delay_alu instid0(VALU_DEP_2) | instskip(NEXT) | instid1(VALU_DEP_1)
	v_sub_nc_u32_e32 v13, v16, v13
	v_subrev_nc_u32_e32 v15, s44, v13
	v_cmp_le_u32_e32 vcc_lo, s44, v13
	s_wait_alu 0xfffd
	s_delay_alu instid0(VALU_DEP_2) | instskip(NEXT) | instid1(VALU_DEP_1)
	v_dual_cndmask_b32 v13, v13, v15 :: v_dual_cndmask_b32 v2, v2, v14
	v_cmp_le_u32_e32 vcc_lo, s44, v13
	s_delay_alu instid0(VALU_DEP_2) | instskip(SKIP_1) | instid1(VALU_DEP_1)
	v_add_nc_u32_e32 v14, 1, v2
	s_wait_alu 0xfffd
	v_dual_cndmask_b32 v13, v2, v14 :: v_dual_mov_b32 v14, v1
.LBB27_27:                              ;   in Loop: Header=BB27_3 Depth=1
	s_or_b32 exec_lo, exec_lo, s0
	v_or_b32_e32 v2, s45, v21
                                        ; implicit-def: $vgpr15_vgpr16
	s_mov_b32 s0, exec_lo
	s_delay_alu instid0(VALU_DEP_1)
	v_cmpx_ne_u64_e32 0, v[1:2]
	s_wait_alu 0xfffe
	s_xor_b32 s85, exec_lo, s0
	s_cbranch_execz .LBB27_29
; %bb.28:                               ;   in Loop: Header=BB27_3 Depth=1
	s_ashr_i32 s76, s45, 31
	v_add_co_u32 v2, vcc_lo, v20, v17
	s_wait_alu 0xfffe
	s_mov_b32 s77, s76
	s_wait_alu 0xfffd
	v_add_co_ci_u32_e64 v15, null, v21, v17, vcc_lo
	s_wait_alu 0xfffe
	s_add_nc_u64 s[78:79], s[44:45], s[76:77]
	v_xor_b32_e32 v2, v2, v17
	s_wait_alu 0xfffe
	s_xor_b64 s[78:79], s[78:79], s[76:77]
	v_xor_b32_e32 v18, v15, v17
	s_wait_alu 0xfffe
	s_cvt_f32_u32 s0, s78
	s_cvt_f32_u32 s77, s79
	s_sub_nc_u64 s[88:89], 0, s[78:79]
	s_wait_alu 0xfffe
	s_delay_alu instid0(SALU_CYCLE_1) | instskip(SKIP_1) | instid1(SALU_CYCLE_2)
	s_fmamk_f32 s0, s77, 0x4f800000, s0
	s_wait_alu 0xfffe
	v_s_rcp_f32 s0, s0
	s_delay_alu instid0(TRANS32_DEP_1) | instskip(SKIP_1) | instid1(SALU_CYCLE_2)
	s_mul_f32 s0, s0, 0x5f7ffffc
	s_wait_alu 0xfffe
	s_mul_f32 s77, s0, 0x2f800000
	s_wait_alu 0xfffe
	s_delay_alu instid0(SALU_CYCLE_2) | instskip(SKIP_1) | instid1(SALU_CYCLE_2)
	s_trunc_f32 s77, s77
	s_wait_alu 0xfffe
	s_fmamk_f32 s0, s77, 0xcf800000, s0
	s_cvt_u32_f32 s87, s77
	s_wait_alu 0xfffe
	s_delay_alu instid0(SALU_CYCLE_1) | instskip(NEXT) | instid1(SALU_CYCLE_3)
	s_cvt_u32_f32 s86, s0
	s_mul_u64 s[90:91], s[88:89], s[86:87]
	s_delay_alu instid0(SALU_CYCLE_1)
	s_mul_hi_u32 s93, s86, s91
	s_mul_i32 s92, s86, s91
	s_mul_hi_u32 s0, s86, s90
	s_mul_i32 s94, s87, s90
	s_wait_alu 0xfffe
	s_add_nc_u64 s[92:93], s[0:1], s[92:93]
	s_mul_hi_u32 s77, s87, s90
	s_mul_hi_u32 s95, s87, s91
	s_add_co_u32 s0, s92, s94
	s_wait_alu 0xfffe
	s_add_co_ci_u32 s0, s93, s77
	s_mul_i32 s90, s87, s91
	s_add_co_ci_u32 s91, s95, 0
	s_wait_alu 0xfffe
	s_add_nc_u64 s[90:91], s[0:1], s[90:91]
	s_delay_alu instid0(SALU_CYCLE_1) | instskip(SKIP_4) | instid1(SALU_CYCLE_1)
	s_add_co_u32 s86, s86, s90
	s_cselect_b32 s0, -1, 0
	s_wait_alu 0xfffe
	s_cmp_lg_u32 s0, 0
	s_add_co_ci_u32 s87, s87, s91
	s_mul_u64 s[88:89], s[88:89], s[86:87]
	s_delay_alu instid0(SALU_CYCLE_1)
	s_mul_hi_u32 s91, s86, s89
	s_mul_i32 s90, s86, s89
	s_mul_hi_u32 s0, s86, s88
	s_mul_i32 s92, s87, s88
	s_wait_alu 0xfffe
	s_add_nc_u64 s[90:91], s[0:1], s[90:91]
	s_mul_hi_u32 s77, s87, s88
	s_mul_hi_u32 s93, s87, s89
	s_add_co_u32 s0, s90, s92
	s_wait_alu 0xfffe
	s_add_co_ci_u32 s0, s91, s77
	s_mul_i32 s88, s87, s89
	s_add_co_ci_u32 s89, s93, 0
	s_wait_alu 0xfffe
	s_add_nc_u64 s[88:89], s[0:1], s[88:89]
	s_delay_alu instid0(SALU_CYCLE_1)
	s_add_co_u32 s0, s86, s88
	s_cselect_b32 s77, -1, 0
	s_wait_alu 0xfffe
	v_mul_hi_u32 v35, v2, s0
	s_cmp_lg_u32 s77, 0
	v_mad_co_u64_u32 v[20:21], null, v18, s0, 0
	s_add_co_ci_u32 s77, s87, s89
	s_wait_alu 0xfffe
	v_mad_co_u64_u32 v[15:16], null, v2, s77, 0
	v_mad_co_u64_u32 v[33:34], null, v18, s77, 0
	s_delay_alu instid0(VALU_DEP_2) | instskip(SKIP_1) | instid1(VALU_DEP_3)
	v_add_co_u32 v15, vcc_lo, v35, v15
	s_wait_alu 0xfffd
	v_add_co_ci_u32_e64 v16, null, 0, v16, vcc_lo
	s_delay_alu instid0(VALU_DEP_2) | instskip(SKIP_1) | instid1(VALU_DEP_2)
	v_add_co_u32 v15, vcc_lo, v15, v20
	s_wait_alu 0xfffd
	v_add_co_ci_u32_e32 v15, vcc_lo, v16, v21, vcc_lo
	s_wait_alu 0xfffd
	v_add_co_ci_u32_e32 v16, vcc_lo, 0, v34, vcc_lo
	s_delay_alu instid0(VALU_DEP_2) | instskip(SKIP_1) | instid1(VALU_DEP_2)
	v_add_co_u32 v20, vcc_lo, v15, v33
	s_wait_alu 0xfffd
	v_add_co_ci_u32_e64 v21, null, 0, v16, vcc_lo
	s_delay_alu instid0(VALU_DEP_2) | instskip(SKIP_1) | instid1(VALU_DEP_3)
	v_mul_lo_u32 v33, s79, v20
	v_mad_co_u64_u32 v[15:16], null, s78, v20, 0
	v_mul_lo_u32 v34, s78, v21
	s_delay_alu instid0(VALU_DEP_2) | instskip(NEXT) | instid1(VALU_DEP_2)
	v_sub_co_u32 v2, vcc_lo, v2, v15
	v_add3_u32 v16, v16, v34, v33
	s_delay_alu instid0(VALU_DEP_1) | instskip(SKIP_2) | instid1(VALU_DEP_2)
	v_sub_nc_u32_e32 v33, v18, v16
	s_wait_alu 0xfffd
	v_sub_co_ci_u32_e64 v16, null, v18, v16, vcc_lo
	v_subrev_co_ci_u32_e64 v15, null, s79, v33, vcc_lo
	v_add_co_u32 v33, s0, v20, 2
	s_wait_alu 0xf1ff
	v_add_co_ci_u32_e64 v34, null, 0, v21, s0
	v_sub_co_u32 v35, s0, v2, s78
	s_wait_alu 0xf1ff
	v_subrev_co_ci_u32_e64 v15, null, 0, v15, s0
	s_delay_alu instid0(VALU_DEP_2) | instskip(SKIP_2) | instid1(VALU_DEP_3)
	v_cmp_le_u32_e32 vcc_lo, s78, v35
	s_wait_alu 0xfffd
	v_cndmask_b32_e64 v18, 0, -1, vcc_lo
	v_cmp_le_u32_e32 vcc_lo, s79, v15
	s_wait_alu 0xfffd
	v_cndmask_b32_e64 v35, 0, -1, vcc_lo
	v_cmp_le_u32_e32 vcc_lo, s78, v2
	s_wait_alu 0xfffd
	v_cndmask_b32_e64 v2, 0, -1, vcc_lo
	v_cmp_le_u32_e32 vcc_lo, s79, v16
	s_wait_alu 0xfffd
	v_cndmask_b32_e64 v36, 0, -1, vcc_lo
	v_cmp_eq_u32_e32 vcc_lo, s79, v15
	s_wait_alu 0xfffd
	v_cndmask_b32_e32 v15, v35, v18, vcc_lo
	v_add_co_u32 v18, vcc_lo, v20, 1
	s_wait_alu 0xfffd
	v_add_co_ci_u32_e64 v35, null, 0, v21, vcc_lo
	v_cmp_eq_u32_e32 vcc_lo, s79, v16
	v_xor_b32_e32 v16, s76, v17
	s_wait_alu 0xfffd
	v_cndmask_b32_e32 v2, v36, v2, vcc_lo
	v_cmp_ne_u32_e32 vcc_lo, 0, v15
	s_delay_alu instid0(VALU_DEP_2) | instskip(SKIP_3) | instid1(VALU_DEP_1)
	v_cmp_ne_u32_e64 s0, 0, v2
	s_wait_alu 0xfffd
	v_dual_cndmask_b32 v2, v18, v33 :: v_dual_cndmask_b32 v15, v35, v34
	s_wait_alu 0xf1ff
	v_cndmask_b32_e64 v2, v20, v2, s0
	s_delay_alu instid0(VALU_DEP_2) | instskip(NEXT) | instid1(VALU_DEP_2)
	v_cndmask_b32_e64 v15, v21, v15, s0
                                        ; implicit-def: $vgpr20
	v_xor_b32_e32 v2, v2, v16
	s_delay_alu instid0(VALU_DEP_2) | instskip(NEXT) | instid1(VALU_DEP_2)
	v_xor_b32_e32 v17, v15, v16
	v_sub_co_u32 v15, vcc_lo, v2, v16
	s_wait_alu 0xfffd
	s_delay_alu instid0(VALU_DEP_2)
	v_sub_co_ci_u32_e64 v16, null, v17, v16, vcc_lo
.LBB27_29:                              ;   in Loop: Header=BB27_3 Depth=1
	s_and_not1_saveexec_b32 s0, s85
	s_cbranch_execz .LBB27_31
; %bb.30:                               ;   in Loop: Header=BB27_3 Depth=1
	v_rcp_iflag_f32_e32 v2, v32
	s_sub_co_i32 s76, 0, s44
	s_delay_alu instid0(TRANS32_DEP_1) | instskip(NEXT) | instid1(VALU_DEP_1)
	v_mul_f32_e32 v2, 0x4f7ffffe, v2
	v_cvt_u32_f32_e32 v2, v2
	s_wait_alu 0xfffe
	s_delay_alu instid0(VALU_DEP_1) | instskip(NEXT) | instid1(VALU_DEP_1)
	v_mul_lo_u32 v15, s76, v2
	v_mul_hi_u32 v15, v2, v15
	s_delay_alu instid0(VALU_DEP_1) | instskip(NEXT) | instid1(VALU_DEP_1)
	v_add_nc_u32_e32 v2, v2, v15
	v_mul_hi_u32 v2, v20, v2
	s_delay_alu instid0(VALU_DEP_1) | instskip(SKIP_1) | instid1(VALU_DEP_2)
	v_mul_lo_u32 v15, v2, s44
	v_add_nc_u32_e32 v16, 1, v2
	v_sub_nc_u32_e32 v15, v20, v15
	s_delay_alu instid0(VALU_DEP_1) | instskip(SKIP_2) | instid1(VALU_DEP_2)
	v_subrev_nc_u32_e32 v17, s44, v15
	v_cmp_le_u32_e32 vcc_lo, s44, v15
	s_wait_alu 0xfffd
	v_dual_cndmask_b32 v15, v15, v17 :: v_dual_cndmask_b32 v2, v2, v16
	s_delay_alu instid0(VALU_DEP_1) | instskip(NEXT) | instid1(VALU_DEP_2)
	v_cmp_le_u32_e32 vcc_lo, s44, v15
	v_add_nc_u32_e32 v16, 1, v2
	s_wait_alu 0xfffd
	s_delay_alu instid0(VALU_DEP_1)
	v_dual_cndmask_b32 v15, v2, v16 :: v_dual_mov_b32 v16, v1
.LBB27_31:                              ;   in Loop: Header=BB27_3 Depth=1
	s_wait_alu 0xfffe
	s_or_b32 exec_lo, exec_lo, s0
	v_or_b32_e32 v2, s45, v24
                                        ; implicit-def: $vgpr17_vgpr18
	s_mov_b32 s0, exec_lo
	s_delay_alu instid0(VALU_DEP_1)
	v_cmpx_ne_u64_e32 0, v[1:2]
	s_wait_alu 0xfffe
	s_xor_b32 s85, exec_lo, s0
	s_cbranch_execz .LBB27_33
; %bb.32:                               ;   in Loop: Header=BB27_3 Depth=1
	s_ashr_i32 s76, s45, 31
	v_add_co_u32 v2, vcc_lo, v23, v19
	s_wait_alu 0xfffe
	s_mov_b32 s77, s76
	s_wait_alu 0xfffd
	v_add_co_ci_u32_e64 v17, null, v24, v19, vcc_lo
	s_wait_alu 0xfffe
	s_add_nc_u64 s[78:79], s[44:45], s[76:77]
	v_xor_b32_e32 v2, v2, v19
	s_wait_alu 0xfffe
	s_xor_b64 s[78:79], s[78:79], s[76:77]
	v_xor_b32_e32 v33, v17, v19
	s_wait_alu 0xfffe
	s_cvt_f32_u32 s0, s78
	s_cvt_f32_u32 s77, s79
	s_sub_nc_u64 s[88:89], 0, s[78:79]
	s_wait_alu 0xfffe
	s_delay_alu instid0(SALU_CYCLE_1) | instskip(SKIP_1) | instid1(SALU_CYCLE_2)
	s_fmamk_f32 s0, s77, 0x4f800000, s0
	s_wait_alu 0xfffe
	v_s_rcp_f32 s0, s0
	s_delay_alu instid0(TRANS32_DEP_1) | instskip(SKIP_1) | instid1(SALU_CYCLE_2)
	s_mul_f32 s0, s0, 0x5f7ffffc
	s_wait_alu 0xfffe
	s_mul_f32 s77, s0, 0x2f800000
	s_wait_alu 0xfffe
	s_delay_alu instid0(SALU_CYCLE_2) | instskip(SKIP_1) | instid1(SALU_CYCLE_2)
	s_trunc_f32 s77, s77
	s_wait_alu 0xfffe
	s_fmamk_f32 s0, s77, 0xcf800000, s0
	s_cvt_u32_f32 s87, s77
	s_wait_alu 0xfffe
	s_delay_alu instid0(SALU_CYCLE_1) | instskip(NEXT) | instid1(SALU_CYCLE_3)
	s_cvt_u32_f32 s86, s0
	s_mul_u64 s[90:91], s[88:89], s[86:87]
	s_delay_alu instid0(SALU_CYCLE_1)
	s_mul_hi_u32 s93, s86, s91
	s_mul_i32 s92, s86, s91
	s_mul_hi_u32 s0, s86, s90
	s_mul_i32 s94, s87, s90
	s_wait_alu 0xfffe
	s_add_nc_u64 s[92:93], s[0:1], s[92:93]
	s_mul_hi_u32 s77, s87, s90
	s_mul_hi_u32 s95, s87, s91
	s_add_co_u32 s0, s92, s94
	s_wait_alu 0xfffe
	s_add_co_ci_u32 s0, s93, s77
	s_mul_i32 s90, s87, s91
	s_add_co_ci_u32 s91, s95, 0
	s_wait_alu 0xfffe
	s_add_nc_u64 s[90:91], s[0:1], s[90:91]
	s_delay_alu instid0(SALU_CYCLE_1) | instskip(SKIP_4) | instid1(SALU_CYCLE_1)
	s_add_co_u32 s86, s86, s90
	s_cselect_b32 s0, -1, 0
	s_wait_alu 0xfffe
	s_cmp_lg_u32 s0, 0
	s_add_co_ci_u32 s87, s87, s91
	s_mul_u64 s[88:89], s[88:89], s[86:87]
	s_delay_alu instid0(SALU_CYCLE_1)
	s_mul_hi_u32 s91, s86, s89
	s_mul_i32 s90, s86, s89
	s_mul_hi_u32 s0, s86, s88
	s_mul_i32 s92, s87, s88
	s_wait_alu 0xfffe
	s_add_nc_u64 s[90:91], s[0:1], s[90:91]
	s_mul_hi_u32 s77, s87, s88
	s_mul_hi_u32 s93, s87, s89
	s_add_co_u32 s0, s90, s92
	s_wait_alu 0xfffe
	s_add_co_ci_u32 s0, s91, s77
	s_mul_i32 s88, s87, s89
	s_add_co_ci_u32 s89, s93, 0
	s_wait_alu 0xfffe
	s_add_nc_u64 s[88:89], s[0:1], s[88:89]
	s_delay_alu instid0(SALU_CYCLE_1)
	s_add_co_u32 s0, s86, s88
	s_cselect_b32 s77, -1, 0
	s_wait_alu 0xfffe
	v_mul_hi_u32 v34, v2, s0
	s_cmp_lg_u32 s77, 0
	v_mad_co_u64_u32 v[20:21], null, v33, s0, 0
	s_add_co_ci_u32 s77, s87, s89
	s_wait_alu 0xfffe
	v_mad_co_u64_u32 v[17:18], null, v2, s77, 0
	v_mad_co_u64_u32 v[23:24], null, v33, s77, 0
	s_delay_alu instid0(VALU_DEP_2) | instskip(SKIP_1) | instid1(VALU_DEP_3)
	v_add_co_u32 v17, vcc_lo, v34, v17
	s_wait_alu 0xfffd
	v_add_co_ci_u32_e64 v18, null, 0, v18, vcc_lo
	s_delay_alu instid0(VALU_DEP_2) | instskip(SKIP_1) | instid1(VALU_DEP_2)
	v_add_co_u32 v17, vcc_lo, v17, v20
	s_wait_alu 0xfffd
	v_add_co_ci_u32_e32 v17, vcc_lo, v18, v21, vcc_lo
	s_wait_alu 0xfffd
	v_add_co_ci_u32_e32 v18, vcc_lo, 0, v24, vcc_lo
	s_delay_alu instid0(VALU_DEP_2) | instskip(SKIP_1) | instid1(VALU_DEP_2)
	v_add_co_u32 v20, vcc_lo, v17, v23
	s_wait_alu 0xfffd
	v_add_co_ci_u32_e64 v21, null, 0, v18, vcc_lo
	s_delay_alu instid0(VALU_DEP_2) | instskip(SKIP_1) | instid1(VALU_DEP_3)
	v_mul_lo_u32 v23, s79, v20
	v_mad_co_u64_u32 v[17:18], null, s78, v20, 0
	v_mul_lo_u32 v24, s78, v21
	s_delay_alu instid0(VALU_DEP_2) | instskip(NEXT) | instid1(VALU_DEP_2)
	v_sub_co_u32 v2, vcc_lo, v2, v17
	v_add3_u32 v18, v18, v24, v23
	s_delay_alu instid0(VALU_DEP_1) | instskip(SKIP_2) | instid1(VALU_DEP_2)
	v_sub_nc_u32_e32 v23, v33, v18
	s_wait_alu 0xfffd
	v_sub_co_ci_u32_e64 v18, null, v33, v18, vcc_lo
	v_subrev_co_ci_u32_e64 v17, null, s79, v23, vcc_lo
	v_add_co_u32 v23, s0, v20, 2
	s_wait_alu 0xf1ff
	v_add_co_ci_u32_e64 v24, null, 0, v21, s0
	v_sub_co_u32 v34, s0, v2, s78
	s_wait_alu 0xf1ff
	v_subrev_co_ci_u32_e64 v17, null, 0, v17, s0
	s_delay_alu instid0(VALU_DEP_2) | instskip(SKIP_2) | instid1(VALU_DEP_3)
	v_cmp_le_u32_e32 vcc_lo, s78, v34
	s_wait_alu 0xfffd
	v_cndmask_b32_e64 v33, 0, -1, vcc_lo
	v_cmp_le_u32_e32 vcc_lo, s79, v17
	s_wait_alu 0xfffd
	v_cndmask_b32_e64 v34, 0, -1, vcc_lo
	;; [unrolled: 3-line block ×4, first 2 shown]
	v_cmp_eq_u32_e32 vcc_lo, s79, v17
	s_wait_alu 0xfffd
	v_cndmask_b32_e32 v17, v34, v33, vcc_lo
	v_add_co_u32 v33, vcc_lo, v20, 1
	s_wait_alu 0xfffd
	v_add_co_ci_u32_e64 v34, null, 0, v21, vcc_lo
	v_cmp_eq_u32_e32 vcc_lo, s79, v18
	v_xor_b32_e32 v18, s76, v19
	s_wait_alu 0xfffd
	v_cndmask_b32_e32 v2, v35, v2, vcc_lo
	v_cmp_ne_u32_e32 vcc_lo, 0, v17
	s_delay_alu instid0(VALU_DEP_2) | instskip(SKIP_3) | instid1(VALU_DEP_1)
	v_cmp_ne_u32_e64 s0, 0, v2
	s_wait_alu 0xfffd
	v_dual_cndmask_b32 v17, v34, v24 :: v_dual_cndmask_b32 v2, v33, v23
                                        ; implicit-def: $vgpr23
	s_wait_alu 0xf1ff
	v_cndmask_b32_e64 v17, v21, v17, s0
	s_delay_alu instid0(VALU_DEP_2) | instskip(NEXT) | instid1(VALU_DEP_2)
	v_cndmask_b32_e64 v2, v20, v2, s0
	v_xor_b32_e32 v19, v17, v18
	s_delay_alu instid0(VALU_DEP_2) | instskip(NEXT) | instid1(VALU_DEP_1)
	v_xor_b32_e32 v2, v2, v18
	v_sub_co_u32 v17, vcc_lo, v2, v18
	s_wait_alu 0xfffd
	s_delay_alu instid0(VALU_DEP_3)
	v_sub_co_ci_u32_e64 v18, null, v19, v18, vcc_lo
.LBB27_33:                              ;   in Loop: Header=BB27_3 Depth=1
	s_and_not1_saveexec_b32 s0, s85
	s_cbranch_execz .LBB27_35
; %bb.34:                               ;   in Loop: Header=BB27_3 Depth=1
	v_rcp_iflag_f32_e32 v2, v32
	s_sub_co_i32 s76, 0, s44
	s_delay_alu instid0(TRANS32_DEP_1) | instskip(NEXT) | instid1(VALU_DEP_1)
	v_mul_f32_e32 v2, 0x4f7ffffe, v2
	v_cvt_u32_f32_e32 v2, v2
	s_wait_alu 0xfffe
	s_delay_alu instid0(VALU_DEP_1) | instskip(NEXT) | instid1(VALU_DEP_1)
	v_mul_lo_u32 v17, s76, v2
	v_mul_hi_u32 v17, v2, v17
	s_delay_alu instid0(VALU_DEP_1) | instskip(NEXT) | instid1(VALU_DEP_1)
	v_add_nc_u32_e32 v2, v2, v17
	v_mul_hi_u32 v2, v23, v2
	s_delay_alu instid0(VALU_DEP_1) | instskip(SKIP_1) | instid1(VALU_DEP_2)
	v_mul_lo_u32 v17, v2, s44
	v_add_nc_u32_e32 v18, 1, v2
	v_sub_nc_u32_e32 v17, v23, v17
	s_delay_alu instid0(VALU_DEP_1) | instskip(SKIP_2) | instid1(VALU_DEP_2)
	v_subrev_nc_u32_e32 v19, s44, v17
	v_cmp_le_u32_e32 vcc_lo, s44, v17
	s_wait_alu 0xfffd
	v_dual_cndmask_b32 v17, v17, v19 :: v_dual_cndmask_b32 v2, v2, v18
	s_delay_alu instid0(VALU_DEP_1) | instskip(NEXT) | instid1(VALU_DEP_2)
	v_cmp_le_u32_e32 vcc_lo, s44, v17
	v_add_nc_u32_e32 v18, 1, v2
	s_wait_alu 0xfffd
	s_delay_alu instid0(VALU_DEP_1)
	v_dual_cndmask_b32 v17, v2, v18 :: v_dual_mov_b32 v18, v1
.LBB27_35:                              ;   in Loop: Header=BB27_3 Depth=1
	s_wait_alu 0xfffe
	s_or_b32 exec_lo, exec_lo, s0
	v_or_b32_e32 v2, s45, v31
                                        ; implicit-def: $vgpr19_vgpr20
	s_mov_b32 s0, exec_lo
	s_delay_alu instid0(VALU_DEP_1)
	v_cmpx_ne_u64_e32 0, v[1:2]
	s_wait_alu 0xfffe
	s_xor_b32 s85, exec_lo, s0
	s_cbranch_execz .LBB27_37
; %bb.36:                               ;   in Loop: Header=BB27_3 Depth=1
	s_ashr_i32 s76, s45, 31
	v_add_co_u32 v2, vcc_lo, v30, v22
	s_wait_alu 0xfffe
	s_mov_b32 s77, s76
	s_wait_alu 0xfffd
	v_add_co_ci_u32_e64 v19, null, v31, v22, vcc_lo
	s_wait_alu 0xfffe
	s_add_nc_u64 s[78:79], s[44:45], s[76:77]
	v_xor_b32_e32 v2, v2, v22
	s_wait_alu 0xfffe
	s_xor_b64 s[78:79], s[78:79], s[76:77]
	v_xor_b32_e32 v21, v19, v22
	s_wait_alu 0xfffe
	s_cvt_f32_u32 s0, s78
	s_cvt_f32_u32 s77, s79
	s_sub_nc_u64 s[88:89], 0, s[78:79]
	s_wait_alu 0xfffe
	s_delay_alu instid0(SALU_CYCLE_1) | instskip(SKIP_1) | instid1(SALU_CYCLE_2)
	s_fmamk_f32 s0, s77, 0x4f800000, s0
	s_wait_alu 0xfffe
	v_s_rcp_f32 s0, s0
	s_delay_alu instid0(TRANS32_DEP_1) | instskip(SKIP_1) | instid1(SALU_CYCLE_2)
	s_mul_f32 s0, s0, 0x5f7ffffc
	s_wait_alu 0xfffe
	s_mul_f32 s77, s0, 0x2f800000
	s_wait_alu 0xfffe
	s_delay_alu instid0(SALU_CYCLE_2) | instskip(SKIP_1) | instid1(SALU_CYCLE_2)
	s_trunc_f32 s77, s77
	s_wait_alu 0xfffe
	s_fmamk_f32 s0, s77, 0xcf800000, s0
	s_cvt_u32_f32 s87, s77
	s_wait_alu 0xfffe
	s_delay_alu instid0(SALU_CYCLE_1) | instskip(NEXT) | instid1(SALU_CYCLE_3)
	s_cvt_u32_f32 s86, s0
	s_mul_u64 s[90:91], s[88:89], s[86:87]
	s_delay_alu instid0(SALU_CYCLE_1)
	s_mul_hi_u32 s93, s86, s91
	s_mul_i32 s92, s86, s91
	s_mul_hi_u32 s0, s86, s90
	s_mul_i32 s94, s87, s90
	s_wait_alu 0xfffe
	s_add_nc_u64 s[92:93], s[0:1], s[92:93]
	s_mul_hi_u32 s77, s87, s90
	s_mul_hi_u32 s95, s87, s91
	s_add_co_u32 s0, s92, s94
	s_wait_alu 0xfffe
	s_add_co_ci_u32 s0, s93, s77
	s_mul_i32 s90, s87, s91
	s_add_co_ci_u32 s91, s95, 0
	s_wait_alu 0xfffe
	s_add_nc_u64 s[90:91], s[0:1], s[90:91]
	s_delay_alu instid0(SALU_CYCLE_1) | instskip(SKIP_4) | instid1(SALU_CYCLE_1)
	s_add_co_u32 s86, s86, s90
	s_cselect_b32 s0, -1, 0
	s_wait_alu 0xfffe
	s_cmp_lg_u32 s0, 0
	s_add_co_ci_u32 s87, s87, s91
	s_mul_u64 s[88:89], s[88:89], s[86:87]
	s_delay_alu instid0(SALU_CYCLE_1)
	s_mul_hi_u32 s91, s86, s89
	s_mul_i32 s90, s86, s89
	s_mul_hi_u32 s0, s86, s88
	s_mul_i32 s92, s87, s88
	s_wait_alu 0xfffe
	s_add_nc_u64 s[90:91], s[0:1], s[90:91]
	s_mul_hi_u32 s77, s87, s88
	s_mul_hi_u32 s93, s87, s89
	s_add_co_u32 s0, s90, s92
	s_wait_alu 0xfffe
	s_add_co_ci_u32 s0, s91, s77
	s_mul_i32 s88, s87, s89
	s_add_co_ci_u32 s89, s93, 0
	s_wait_alu 0xfffe
	s_add_nc_u64 s[88:89], s[0:1], s[88:89]
	s_delay_alu instid0(SALU_CYCLE_1)
	s_add_co_u32 s0, s86, s88
	s_cselect_b32 s77, -1, 0
	s_wait_alu 0xfffe
	v_mul_hi_u32 v32, v2, s0
	s_cmp_lg_u32 s77, 0
	v_mad_co_u64_u32 v[23:24], null, v21, s0, 0
	s_add_co_ci_u32 s77, s87, s89
	s_wait_alu 0xfffe
	v_mad_co_u64_u32 v[19:20], null, v2, s77, 0
	v_mad_co_u64_u32 v[30:31], null, v21, s77, 0
	s_delay_alu instid0(VALU_DEP_2) | instskip(SKIP_1) | instid1(VALU_DEP_3)
	v_add_co_u32 v19, vcc_lo, v32, v19
	s_wait_alu 0xfffd
	v_add_co_ci_u32_e64 v20, null, 0, v20, vcc_lo
	s_delay_alu instid0(VALU_DEP_2) | instskip(SKIP_1) | instid1(VALU_DEP_2)
	v_add_co_u32 v19, vcc_lo, v19, v23
	s_wait_alu 0xfffd
	v_add_co_ci_u32_e32 v19, vcc_lo, v20, v24, vcc_lo
	s_wait_alu 0xfffd
	v_add_co_ci_u32_e32 v20, vcc_lo, 0, v31, vcc_lo
	s_delay_alu instid0(VALU_DEP_2) | instskip(SKIP_1) | instid1(VALU_DEP_2)
	v_add_co_u32 v23, vcc_lo, v19, v30
	s_wait_alu 0xfffd
	v_add_co_ci_u32_e64 v24, null, 0, v20, vcc_lo
	s_delay_alu instid0(VALU_DEP_2) | instskip(SKIP_1) | instid1(VALU_DEP_3)
	v_mul_lo_u32 v30, s79, v23
	v_mad_co_u64_u32 v[19:20], null, s78, v23, 0
	v_mul_lo_u32 v31, s78, v24
	s_delay_alu instid0(VALU_DEP_2) | instskip(NEXT) | instid1(VALU_DEP_2)
	v_sub_co_u32 v2, vcc_lo, v2, v19
	v_add3_u32 v20, v20, v31, v30
	s_delay_alu instid0(VALU_DEP_1) | instskip(SKIP_2) | instid1(VALU_DEP_2)
	v_sub_nc_u32_e32 v30, v21, v20
	s_wait_alu 0xfffd
	v_sub_co_ci_u32_e64 v20, null, v21, v20, vcc_lo
	v_subrev_co_ci_u32_e64 v19, null, s79, v30, vcc_lo
	v_add_co_u32 v30, s0, v23, 2
	s_wait_alu 0xf1ff
	v_add_co_ci_u32_e64 v31, null, 0, v24, s0
	v_sub_co_u32 v32, s0, v2, s78
	s_wait_alu 0xf1ff
	v_subrev_co_ci_u32_e64 v19, null, 0, v19, s0
	s_delay_alu instid0(VALU_DEP_2) | instskip(SKIP_2) | instid1(VALU_DEP_3)
	v_cmp_le_u32_e32 vcc_lo, s78, v32
	s_wait_alu 0xfffd
	v_cndmask_b32_e64 v21, 0, -1, vcc_lo
	v_cmp_le_u32_e32 vcc_lo, s79, v19
	s_wait_alu 0xfffd
	v_cndmask_b32_e64 v32, 0, -1, vcc_lo
	;; [unrolled: 3-line block ×4, first 2 shown]
	v_cmp_eq_u32_e32 vcc_lo, s79, v19
	s_wait_alu 0xfffd
	v_cndmask_b32_e32 v19, v32, v21, vcc_lo
	v_add_co_u32 v21, vcc_lo, v23, 1
	s_wait_alu 0xfffd
	v_add_co_ci_u32_e64 v32, null, 0, v24, vcc_lo
	v_cmp_eq_u32_e32 vcc_lo, s79, v20
	v_xor_b32_e32 v20, s76, v22
	s_wait_alu 0xfffd
	v_cndmask_b32_e32 v2, v33, v2, vcc_lo
	v_cmp_ne_u32_e32 vcc_lo, 0, v19
	s_delay_alu instid0(VALU_DEP_2) | instskip(SKIP_3) | instid1(VALU_DEP_1)
	v_cmp_ne_u32_e64 s0, 0, v2
	s_wait_alu 0xfffd
	v_dual_cndmask_b32 v19, v32, v31 :: v_dual_cndmask_b32 v2, v21, v30
                                        ; implicit-def: $vgpr32
                                        ; implicit-def: $vgpr30
	s_wait_alu 0xf1ff
	v_cndmask_b32_e64 v19, v24, v19, s0
	s_delay_alu instid0(VALU_DEP_2) | instskip(NEXT) | instid1(VALU_DEP_2)
	v_cndmask_b32_e64 v2, v23, v2, s0
	v_xor_b32_e32 v21, v19, v20
	s_delay_alu instid0(VALU_DEP_2) | instskip(NEXT) | instid1(VALU_DEP_1)
	v_xor_b32_e32 v2, v2, v20
	v_sub_co_u32 v19, vcc_lo, v2, v20
	s_wait_alu 0xfffd
	s_delay_alu instid0(VALU_DEP_3)
	v_sub_co_ci_u32_e64 v20, null, v21, v20, vcc_lo
.LBB27_37:                              ;   in Loop: Header=BB27_3 Depth=1
	s_and_not1_saveexec_b32 s0, s85
	s_cbranch_execz .LBB27_39
; %bb.38:                               ;   in Loop: Header=BB27_3 Depth=1
	v_rcp_iflag_f32_e32 v2, v32
	s_sub_co_i32 s76, 0, s44
	s_delay_alu instid0(TRANS32_DEP_1) | instskip(NEXT) | instid1(VALU_DEP_1)
	v_mul_f32_e32 v2, 0x4f7ffffe, v2
	v_cvt_u32_f32_e32 v2, v2
	s_wait_alu 0xfffe
	s_delay_alu instid0(VALU_DEP_1) | instskip(NEXT) | instid1(VALU_DEP_1)
	v_mul_lo_u32 v19, s76, v2
	v_mul_hi_u32 v19, v2, v19
	s_delay_alu instid0(VALU_DEP_1) | instskip(NEXT) | instid1(VALU_DEP_1)
	v_add_nc_u32_e32 v2, v2, v19
	v_mul_hi_u32 v2, v30, v2
	s_delay_alu instid0(VALU_DEP_1) | instskip(SKIP_1) | instid1(VALU_DEP_2)
	v_mul_lo_u32 v19, v2, s44
	v_add_nc_u32_e32 v20, 1, v2
	v_sub_nc_u32_e32 v19, v30, v19
	s_delay_alu instid0(VALU_DEP_1) | instskip(SKIP_2) | instid1(VALU_DEP_2)
	v_subrev_nc_u32_e32 v21, s44, v19
	v_cmp_le_u32_e32 vcc_lo, s44, v19
	s_wait_alu 0xfffd
	v_dual_cndmask_b32 v19, v19, v21 :: v_dual_cndmask_b32 v2, v2, v20
	s_delay_alu instid0(VALU_DEP_1) | instskip(NEXT) | instid1(VALU_DEP_2)
	v_cmp_le_u32_e32 vcc_lo, s44, v19
	v_add_nc_u32_e32 v20, 1, v2
	s_wait_alu 0xfffd
	s_delay_alu instid0(VALU_DEP_1)
	v_dual_cndmask_b32 v19, v2, v20 :: v_dual_mov_b32 v20, v1
.LBB27_39:                              ;   in Loop: Header=BB27_3 Depth=1
	s_wait_alu 0xfffe
	s_or_b32 exec_lo, exec_lo, s0
	v_or_b32_e32 v2, s51, v4
                                        ; implicit-def: $vgpr21_vgpr22
	s_mov_b32 s0, exec_lo
	s_delay_alu instid0(VALU_DEP_1)
	v_cmpx_ne_u64_e32 0, v[1:2]
	s_wait_alu 0xfffe
	s_xor_b32 s85, exec_lo, s0
	s_cbranch_execz .LBB27_41
; %bb.40:                               ;   in Loop: Header=BB27_3 Depth=1
	s_ashr_i32 s76, s51, 31
	v_ashrrev_i32_e32 v2, 31, v4
	s_wait_alu 0xfffe
	s_mov_b32 s77, s76
	s_wait_alu 0xfffe
	s_add_nc_u64 s[78:79], s[50:51], s[76:77]
	v_add_co_u32 v21, vcc_lo, v3, v2
	s_wait_alu 0xfffe
	s_xor_b64 s[78:79], s[78:79], s[76:77]
	s_wait_alu 0xfffd
	v_add_co_ci_u32_e64 v22, null, v4, v2, vcc_lo
	s_wait_alu 0xfffe
	s_cvt_f32_u32 s0, s78
	s_cvt_f32_u32 s77, s79
	s_sub_nc_u64 s[88:89], 0, s[78:79]
	v_xor_b32_e32 v32, v21, v2
	v_xor_b32_e32 v33, v22, v2
	s_wait_alu 0xfffe
	s_fmamk_f32 s0, s77, 0x4f800000, s0
	v_xor_b32_e32 v2, s76, v2
	s_wait_alu 0xfffe
	s_delay_alu instid0(SALU_CYCLE_1) | instskip(NEXT) | instid1(TRANS32_DEP_1)
	v_s_rcp_f32 s0, s0
	s_mul_f32 s0, s0, 0x5f7ffffc
	s_wait_alu 0xfffe
	s_delay_alu instid0(SALU_CYCLE_2) | instskip(SKIP_1) | instid1(SALU_CYCLE_2)
	s_mul_f32 s77, s0, 0x2f800000
	s_wait_alu 0xfffe
	s_trunc_f32 s77, s77
	s_wait_alu 0xfffe
	s_delay_alu instid0(SALU_CYCLE_2) | instskip(SKIP_2) | instid1(SALU_CYCLE_1)
	s_fmamk_f32 s0, s77, 0xcf800000, s0
	s_cvt_u32_f32 s87, s77
	s_wait_alu 0xfffe
	s_cvt_u32_f32 s86, s0
	s_delay_alu instid0(SALU_CYCLE_3) | instskip(NEXT) | instid1(SALU_CYCLE_1)
	s_mul_u64 s[90:91], s[88:89], s[86:87]
	s_mul_hi_u32 s93, s86, s91
	s_mul_i32 s92, s86, s91
	s_mul_hi_u32 s0, s86, s90
	s_mul_i32 s94, s87, s90
	s_wait_alu 0xfffe
	s_add_nc_u64 s[92:93], s[0:1], s[92:93]
	s_mul_hi_u32 s77, s87, s90
	s_mul_hi_u32 s95, s87, s91
	s_add_co_u32 s0, s92, s94
	s_wait_alu 0xfffe
	s_add_co_ci_u32 s0, s93, s77
	s_mul_i32 s90, s87, s91
	s_add_co_ci_u32 s91, s95, 0
	s_wait_alu 0xfffe
	s_add_nc_u64 s[90:91], s[0:1], s[90:91]
	s_delay_alu instid0(SALU_CYCLE_1) | instskip(SKIP_4) | instid1(SALU_CYCLE_1)
	s_add_co_u32 s86, s86, s90
	s_cselect_b32 s0, -1, 0
	s_wait_alu 0xfffe
	s_cmp_lg_u32 s0, 0
	s_add_co_ci_u32 s87, s87, s91
	s_mul_u64 s[88:89], s[88:89], s[86:87]
	s_delay_alu instid0(SALU_CYCLE_1)
	s_mul_hi_u32 s91, s86, s89
	s_mul_i32 s90, s86, s89
	s_mul_hi_u32 s0, s86, s88
	s_mul_i32 s92, s87, s88
	s_wait_alu 0xfffe
	s_add_nc_u64 s[90:91], s[0:1], s[90:91]
	s_mul_hi_u32 s77, s87, s88
	s_mul_hi_u32 s93, s87, s89
	s_add_co_u32 s0, s90, s92
	s_wait_alu 0xfffe
	s_add_co_ci_u32 s0, s91, s77
	s_mul_i32 s88, s87, s89
	s_add_co_ci_u32 s89, s93, 0
	s_wait_alu 0xfffe
	s_add_nc_u64 s[88:89], s[0:1], s[88:89]
	s_delay_alu instid0(SALU_CYCLE_1)
	s_add_co_u32 s0, s86, s88
	s_cselect_b32 s77, -1, 0
	s_wait_alu 0xfffe
	v_mul_hi_u32 v34, v32, s0
	s_cmp_lg_u32 s77, 0
	v_mad_co_u64_u32 v[23:24], null, v33, s0, 0
	s_add_co_ci_u32 s77, s87, s89
	s_wait_alu 0xfffe
	v_mad_co_u64_u32 v[21:22], null, v32, s77, 0
	v_mad_co_u64_u32 v[30:31], null, v33, s77, 0
	s_delay_alu instid0(VALU_DEP_2) | instskip(SKIP_1) | instid1(VALU_DEP_3)
	v_add_co_u32 v21, vcc_lo, v34, v21
	s_wait_alu 0xfffd
	v_add_co_ci_u32_e64 v22, null, 0, v22, vcc_lo
	s_delay_alu instid0(VALU_DEP_2) | instskip(SKIP_1) | instid1(VALU_DEP_2)
	v_add_co_u32 v21, vcc_lo, v21, v23
	s_wait_alu 0xfffd
	v_add_co_ci_u32_e32 v21, vcc_lo, v22, v24, vcc_lo
	s_wait_alu 0xfffd
	v_add_co_ci_u32_e32 v22, vcc_lo, 0, v31, vcc_lo
	s_delay_alu instid0(VALU_DEP_2) | instskip(SKIP_1) | instid1(VALU_DEP_2)
	v_add_co_u32 v23, vcc_lo, v21, v30
	s_wait_alu 0xfffd
	v_add_co_ci_u32_e64 v24, null, 0, v22, vcc_lo
	s_delay_alu instid0(VALU_DEP_2) | instskip(SKIP_1) | instid1(VALU_DEP_3)
	v_mul_lo_u32 v30, s79, v23
	v_mad_co_u64_u32 v[21:22], null, s78, v23, 0
	v_mul_lo_u32 v31, s78, v24
	s_delay_alu instid0(VALU_DEP_2) | instskip(NEXT) | instid1(VALU_DEP_2)
	v_sub_co_u32 v21, vcc_lo, v32, v21
	v_add3_u32 v22, v22, v31, v30
	v_add_co_u32 v31, s0, v23, 2
	s_wait_alu 0xf1ff
	v_add_co_ci_u32_e64 v32, null, 0, v24, s0
	s_delay_alu instid0(VALU_DEP_3) | instskip(SKIP_3) | instid1(VALU_DEP_3)
	v_sub_nc_u32_e32 v30, v33, v22
	v_sub_co_u32 v34, s0, v21, s78
	s_wait_alu 0xfffd
	v_sub_co_ci_u32_e64 v22, null, v33, v22, vcc_lo
	v_subrev_co_ci_u32_e64 v30, null, s79, v30, vcc_lo
	s_delay_alu instid0(VALU_DEP_3) | instskip(SKIP_1) | instid1(VALU_DEP_2)
	v_cmp_le_u32_e32 vcc_lo, s78, v34
	s_wait_alu 0xf1ff
	v_subrev_co_ci_u32_e64 v30, null, 0, v30, s0
	s_wait_alu 0xfffd
	v_cndmask_b32_e64 v33, 0, -1, vcc_lo
	s_delay_alu instid0(VALU_DEP_2)
	v_cmp_le_u32_e32 vcc_lo, s79, v30
	s_wait_alu 0xfffd
	v_cndmask_b32_e64 v34, 0, -1, vcc_lo
	v_cmp_le_u32_e32 vcc_lo, s78, v21
	s_wait_alu 0xfffd
	v_cndmask_b32_e64 v21, 0, -1, vcc_lo
	v_cmp_le_u32_e32 vcc_lo, s79, v22
	s_wait_alu 0xfffd
	v_cndmask_b32_e64 v35, 0, -1, vcc_lo
	v_cmp_eq_u32_e32 vcc_lo, s79, v30
	s_wait_alu 0xfffd
	v_cndmask_b32_e32 v30, v34, v33, vcc_lo
	v_add_co_u32 v33, vcc_lo, v23, 1
	s_wait_alu 0xfffd
	v_add_co_ci_u32_e64 v34, null, 0, v24, vcc_lo
	v_cmp_eq_u32_e32 vcc_lo, s79, v22
	s_wait_alu 0xfffd
	v_cndmask_b32_e32 v21, v35, v21, vcc_lo
	v_cmp_ne_u32_e32 vcc_lo, 0, v30
	s_wait_alu 0xfffd
	v_cndmask_b32_e32 v22, v34, v32, vcc_lo
	s_delay_alu instid0(VALU_DEP_3) | instskip(SKIP_2) | instid1(VALU_DEP_2)
	v_cmp_ne_u32_e64 s0, 0, v21
	v_cndmask_b32_e32 v21, v33, v31, vcc_lo
	s_wait_alu 0xf1ff
	v_cndmask_b32_e64 v22, v24, v22, s0
	s_delay_alu instid0(VALU_DEP_2) | instskip(NEXT) | instid1(VALU_DEP_2)
	v_cndmask_b32_e64 v21, v23, v21, s0
	v_xor_b32_e32 v22, v22, v2
	s_delay_alu instid0(VALU_DEP_2) | instskip(NEXT) | instid1(VALU_DEP_1)
	v_xor_b32_e32 v21, v21, v2
	v_sub_co_u32 v21, vcc_lo, v21, v2
	s_wait_alu 0xfffd
	s_delay_alu instid0(VALU_DEP_3)
	v_sub_co_ci_u32_e64 v22, null, v22, v2, vcc_lo
.LBB27_41:                              ;   in Loop: Header=BB27_3 Depth=1
	s_and_not1_saveexec_b32 s0, s85
	s_cbranch_execz .LBB27_43
; %bb.42:                               ;   in Loop: Header=BB27_3 Depth=1
	v_cvt_f32_u32_e32 v2, s50
	s_sub_co_i32 s76, 0, s50
	s_delay_alu instid0(VALU_DEP_1) | instskip(NEXT) | instid1(TRANS32_DEP_1)
	v_rcp_iflag_f32_e32 v2, v2
	v_mul_f32_e32 v2, 0x4f7ffffe, v2
	s_delay_alu instid0(VALU_DEP_1) | instskip(SKIP_1) | instid1(VALU_DEP_1)
	v_cvt_u32_f32_e32 v2, v2
	s_wait_alu 0xfffe
	v_mul_lo_u32 v21, s76, v2
	s_delay_alu instid0(VALU_DEP_1) | instskip(NEXT) | instid1(VALU_DEP_1)
	v_mul_hi_u32 v21, v2, v21
	v_add_nc_u32_e32 v2, v2, v21
	s_delay_alu instid0(VALU_DEP_1) | instskip(NEXT) | instid1(VALU_DEP_1)
	v_mul_hi_u32 v2, v3, v2
	v_mul_lo_u32 v21, v2, s50
	v_add_nc_u32_e32 v22, 1, v2
	s_delay_alu instid0(VALU_DEP_2) | instskip(NEXT) | instid1(VALU_DEP_1)
	v_sub_nc_u32_e32 v21, v3, v21
	v_subrev_nc_u32_e32 v23, s50, v21
	v_cmp_le_u32_e32 vcc_lo, s50, v21
	s_wait_alu 0xfffd
	s_delay_alu instid0(VALU_DEP_2) | instskip(NEXT) | instid1(VALU_DEP_1)
	v_dual_cndmask_b32 v21, v21, v23 :: v_dual_cndmask_b32 v2, v2, v22
	v_cmp_le_u32_e32 vcc_lo, s50, v21
	s_delay_alu instid0(VALU_DEP_2) | instskip(SKIP_1) | instid1(VALU_DEP_1)
	v_add_nc_u32_e32 v22, 1, v2
	s_wait_alu 0xfffd
	v_dual_cndmask_b32 v21, v2, v22 :: v_dual_mov_b32 v22, v1
.LBB27_43:                              ;   in Loop: Header=BB27_3 Depth=1
	s_wait_alu 0xfffe
	s_or_b32 exec_lo, exec_lo, s0
	s_delay_alu instid0(VALU_DEP_1) | instskip(NEXT) | instid1(VALU_DEP_2)
	v_mad_co_u64_u32 v[23:24], null, s66, v21, v[3:4]
	v_mul_lo_u32 v2, s66, v22
	v_mul_lo_u32 v30, s67, v21
	;; [unrolled: 1-line block ×4, first 2 shown]
	v_mad_co_u64_u32 v[21:22], null, v21, s20, 0
	s_mov_b32 s0, exec_lo
	v_add3_u32 v2, v30, v24, v2
	v_mul_lo_u32 v30, v23, s23
	v_mad_co_u64_u32 v[23:24], null, v23, s22, 0
	v_add3_u32 v22, v22, v32, v31
	s_delay_alu instid0(VALU_DEP_4) | instskip(NEXT) | instid1(VALU_DEP_2)
	v_mul_lo_u32 v2, v2, s22
	v_lshlrev_b64_e32 v[21:22], 1, v[21:22]
	s_delay_alu instid0(VALU_DEP_2) | instskip(NEXT) | instid1(VALU_DEP_2)
	v_add3_u32 v24, v24, v30, v2
	v_add_co_u32 v2, vcc_lo, s48, v21
	s_wait_alu 0xfffd
	s_delay_alu instid0(VALU_DEP_3) | instskip(NEXT) | instid1(VALU_DEP_3)
	v_add_co_ci_u32_e64 v22, null, s49, v22, vcc_lo
	v_lshlrev_b64_e32 v[23:24], 1, v[23:24]
	s_delay_alu instid0(VALU_DEP_1) | instskip(SKIP_1) | instid1(VALU_DEP_2)
	v_add_co_u32 v21, vcc_lo, v2, v23
	s_wait_alu 0xfffd
	v_add_co_ci_u32_e64 v22, null, v22, v24, vcc_lo
	v_or_b32_e32 v2, s55, v4
	global_load_u16 v30, v[21:22], off
                                        ; implicit-def: $vgpr21_vgpr22
	v_cmpx_ne_u64_e32 0, v[1:2]
	s_wait_alu 0xfffe
	s_xor_b32 s85, exec_lo, s0
	s_cbranch_execz .LBB27_45
; %bb.44:                               ;   in Loop: Header=BB27_3 Depth=1
	s_ashr_i32 s76, s55, 31
	v_ashrrev_i32_e32 v2, 31, v4
	s_wait_alu 0xfffe
	s_mov_b32 s77, s76
	s_wait_alu 0xfffe
	s_add_nc_u64 s[78:79], s[54:55], s[76:77]
	v_add_co_u32 v21, vcc_lo, v3, v2
	s_wait_alu 0xfffe
	s_xor_b64 s[78:79], s[78:79], s[76:77]
	s_wait_alu 0xfffd
	v_add_co_ci_u32_e64 v22, null, v4, v2, vcc_lo
	s_wait_alu 0xfffe
	s_cvt_f32_u32 s0, s78
	s_cvt_f32_u32 s77, s79
	s_sub_nc_u64 s[88:89], 0, s[78:79]
	v_xor_b32_e32 v33, v21, v2
	v_xor_b32_e32 v34, v22, v2
	s_wait_alu 0xfffe
	s_fmamk_f32 s0, s77, 0x4f800000, s0
	v_xor_b32_e32 v2, s76, v2
	s_wait_alu 0xfffe
	s_delay_alu instid0(SALU_CYCLE_1) | instskip(NEXT) | instid1(TRANS32_DEP_1)
	v_s_rcp_f32 s0, s0
	s_mul_f32 s0, s0, 0x5f7ffffc
	s_wait_alu 0xfffe
	s_delay_alu instid0(SALU_CYCLE_2) | instskip(SKIP_1) | instid1(SALU_CYCLE_2)
	s_mul_f32 s77, s0, 0x2f800000
	s_wait_alu 0xfffe
	s_trunc_f32 s77, s77
	s_wait_alu 0xfffe
	s_delay_alu instid0(SALU_CYCLE_2) | instskip(SKIP_2) | instid1(SALU_CYCLE_1)
	s_fmamk_f32 s0, s77, 0xcf800000, s0
	s_cvt_u32_f32 s87, s77
	s_wait_alu 0xfffe
	s_cvt_u32_f32 s86, s0
	s_delay_alu instid0(SALU_CYCLE_3) | instskip(NEXT) | instid1(SALU_CYCLE_1)
	s_mul_u64 s[90:91], s[88:89], s[86:87]
	s_mul_hi_u32 s93, s86, s91
	s_mul_i32 s92, s86, s91
	s_mul_hi_u32 s0, s86, s90
	s_mul_i32 s94, s87, s90
	s_wait_alu 0xfffe
	s_add_nc_u64 s[92:93], s[0:1], s[92:93]
	s_mul_hi_u32 s77, s87, s90
	s_mul_hi_u32 s95, s87, s91
	s_add_co_u32 s0, s92, s94
	s_wait_alu 0xfffe
	s_add_co_ci_u32 s0, s93, s77
	s_mul_i32 s90, s87, s91
	s_add_co_ci_u32 s91, s95, 0
	s_wait_alu 0xfffe
	s_add_nc_u64 s[90:91], s[0:1], s[90:91]
	s_delay_alu instid0(SALU_CYCLE_1) | instskip(SKIP_4) | instid1(SALU_CYCLE_1)
	s_add_co_u32 s86, s86, s90
	s_cselect_b32 s0, -1, 0
	s_wait_alu 0xfffe
	s_cmp_lg_u32 s0, 0
	s_add_co_ci_u32 s87, s87, s91
	s_mul_u64 s[88:89], s[88:89], s[86:87]
	s_delay_alu instid0(SALU_CYCLE_1)
	s_mul_hi_u32 s91, s86, s89
	s_mul_i32 s90, s86, s89
	s_mul_hi_u32 s0, s86, s88
	s_mul_i32 s92, s87, s88
	s_wait_alu 0xfffe
	s_add_nc_u64 s[90:91], s[0:1], s[90:91]
	s_mul_hi_u32 s77, s87, s88
	s_mul_hi_u32 s93, s87, s89
	s_add_co_u32 s0, s90, s92
	s_wait_alu 0xfffe
	s_add_co_ci_u32 s0, s91, s77
	s_mul_i32 s88, s87, s89
	s_add_co_ci_u32 s89, s93, 0
	s_wait_alu 0xfffe
	s_add_nc_u64 s[88:89], s[0:1], s[88:89]
	s_delay_alu instid0(SALU_CYCLE_1)
	s_add_co_u32 s0, s86, s88
	s_cselect_b32 s77, -1, 0
	s_wait_alu 0xfffe
	v_mul_hi_u32 v35, v33, s0
	s_cmp_lg_u32 s77, 0
	v_mad_co_u64_u32 v[23:24], null, v34, s0, 0
	s_add_co_ci_u32 s77, s87, s89
	s_wait_alu 0xfffe
	v_mad_co_u64_u32 v[21:22], null, v33, s77, 0
	v_mad_co_u64_u32 v[31:32], null, v34, s77, 0
	s_delay_alu instid0(VALU_DEP_2) | instskip(SKIP_1) | instid1(VALU_DEP_3)
	v_add_co_u32 v21, vcc_lo, v35, v21
	s_wait_alu 0xfffd
	v_add_co_ci_u32_e64 v22, null, 0, v22, vcc_lo
	s_delay_alu instid0(VALU_DEP_2) | instskip(SKIP_1) | instid1(VALU_DEP_2)
	v_add_co_u32 v21, vcc_lo, v21, v23
	s_wait_alu 0xfffd
	v_add_co_ci_u32_e32 v21, vcc_lo, v22, v24, vcc_lo
	s_wait_alu 0xfffd
	v_add_co_ci_u32_e32 v22, vcc_lo, 0, v32, vcc_lo
	s_delay_alu instid0(VALU_DEP_2) | instskip(SKIP_1) | instid1(VALU_DEP_2)
	v_add_co_u32 v23, vcc_lo, v21, v31
	s_wait_alu 0xfffd
	v_add_co_ci_u32_e64 v24, null, 0, v22, vcc_lo
	s_delay_alu instid0(VALU_DEP_2) | instskip(SKIP_1) | instid1(VALU_DEP_3)
	v_mul_lo_u32 v31, s79, v23
	v_mad_co_u64_u32 v[21:22], null, s78, v23, 0
	v_mul_lo_u32 v32, s78, v24
	s_delay_alu instid0(VALU_DEP_2) | instskip(NEXT) | instid1(VALU_DEP_2)
	v_sub_co_u32 v21, vcc_lo, v33, v21
	v_add3_u32 v22, v22, v32, v31
	v_add_co_u32 v32, s0, v23, 2
	s_wait_alu 0xf1ff
	v_add_co_ci_u32_e64 v33, null, 0, v24, s0
	s_delay_alu instid0(VALU_DEP_3) | instskip(SKIP_3) | instid1(VALU_DEP_3)
	v_sub_nc_u32_e32 v31, v34, v22
	v_sub_co_u32 v35, s0, v21, s78
	s_wait_alu 0xfffd
	v_sub_co_ci_u32_e64 v22, null, v34, v22, vcc_lo
	v_subrev_co_ci_u32_e64 v31, null, s79, v31, vcc_lo
	s_delay_alu instid0(VALU_DEP_3) | instskip(SKIP_1) | instid1(VALU_DEP_2)
	v_cmp_le_u32_e32 vcc_lo, s78, v35
	s_wait_alu 0xf1ff
	v_subrev_co_ci_u32_e64 v31, null, 0, v31, s0
	s_wait_alu 0xfffd
	v_cndmask_b32_e64 v34, 0, -1, vcc_lo
	s_delay_alu instid0(VALU_DEP_2)
	v_cmp_le_u32_e32 vcc_lo, s79, v31
	s_wait_alu 0xfffd
	v_cndmask_b32_e64 v35, 0, -1, vcc_lo
	v_cmp_le_u32_e32 vcc_lo, s78, v21
	s_wait_alu 0xfffd
	v_cndmask_b32_e64 v21, 0, -1, vcc_lo
	;; [unrolled: 3-line block ×3, first 2 shown]
	v_cmp_eq_u32_e32 vcc_lo, s79, v31
	s_wait_alu 0xfffd
	v_cndmask_b32_e32 v31, v35, v34, vcc_lo
	v_add_co_u32 v34, vcc_lo, v23, 1
	s_wait_alu 0xfffd
	v_add_co_ci_u32_e64 v35, null, 0, v24, vcc_lo
	v_cmp_eq_u32_e32 vcc_lo, s79, v22
	s_wait_alu 0xfffd
	v_cndmask_b32_e32 v21, v36, v21, vcc_lo
	v_cmp_ne_u32_e32 vcc_lo, 0, v31
	s_delay_alu instid0(VALU_DEP_2) | instskip(SKIP_3) | instid1(VALU_DEP_1)
	v_cmp_ne_u32_e64 s0, 0, v21
	s_wait_alu 0xfffd
	v_dual_cndmask_b32 v22, v35, v33 :: v_dual_cndmask_b32 v21, v34, v32
	s_wait_alu 0xf1ff
	v_cndmask_b32_e64 v22, v24, v22, s0
	s_delay_alu instid0(VALU_DEP_2) | instskip(NEXT) | instid1(VALU_DEP_2)
	v_cndmask_b32_e64 v21, v23, v21, s0
	v_xor_b32_e32 v22, v22, v2
	s_delay_alu instid0(VALU_DEP_2) | instskip(NEXT) | instid1(VALU_DEP_1)
	v_xor_b32_e32 v21, v21, v2
	v_sub_co_u32 v21, vcc_lo, v21, v2
	s_wait_alu 0xfffd
	s_delay_alu instid0(VALU_DEP_3)
	v_sub_co_ci_u32_e64 v22, null, v22, v2, vcc_lo
.LBB27_45:                              ;   in Loop: Header=BB27_3 Depth=1
	s_and_not1_saveexec_b32 s0, s85
	s_cbranch_execz .LBB27_47
; %bb.46:                               ;   in Loop: Header=BB27_3 Depth=1
	v_cvt_f32_u32_e32 v2, s54
	s_sub_co_i32 s76, 0, s54
	s_delay_alu instid0(VALU_DEP_1) | instskip(NEXT) | instid1(TRANS32_DEP_1)
	v_rcp_iflag_f32_e32 v2, v2
	v_mul_f32_e32 v2, 0x4f7ffffe, v2
	s_delay_alu instid0(VALU_DEP_1) | instskip(SKIP_1) | instid1(VALU_DEP_1)
	v_cvt_u32_f32_e32 v2, v2
	s_wait_alu 0xfffe
	v_mul_lo_u32 v21, s76, v2
	s_delay_alu instid0(VALU_DEP_1) | instskip(NEXT) | instid1(VALU_DEP_1)
	v_mul_hi_u32 v21, v2, v21
	v_add_nc_u32_e32 v2, v2, v21
	s_delay_alu instid0(VALU_DEP_1) | instskip(NEXT) | instid1(VALU_DEP_1)
	v_mul_hi_u32 v2, v3, v2
	v_mul_lo_u32 v21, v2, s54
	v_add_nc_u32_e32 v22, 1, v2
	s_delay_alu instid0(VALU_DEP_2) | instskip(NEXT) | instid1(VALU_DEP_1)
	v_sub_nc_u32_e32 v21, v3, v21
	v_subrev_nc_u32_e32 v23, s54, v21
	v_cmp_le_u32_e32 vcc_lo, s54, v21
	s_wait_alu 0xfffd
	s_delay_alu instid0(VALU_DEP_2) | instskip(NEXT) | instid1(VALU_DEP_1)
	v_dual_cndmask_b32 v21, v21, v23 :: v_dual_cndmask_b32 v2, v2, v22
	v_cmp_le_u32_e32 vcc_lo, s54, v21
	s_delay_alu instid0(VALU_DEP_2) | instskip(SKIP_1) | instid1(VALU_DEP_1)
	v_add_nc_u32_e32 v22, 1, v2
	s_wait_alu 0xfffd
	v_dual_cndmask_b32 v21, v2, v22 :: v_dual_mov_b32 v22, v1
.LBB27_47:                              ;   in Loop: Header=BB27_3 Depth=1
	s_wait_alu 0xfffe
	s_or_b32 exec_lo, exec_lo, s0
	s_delay_alu instid0(VALU_DEP_1) | instskip(NEXT) | instid1(VALU_DEP_2)
	v_mad_co_u64_u32 v[23:24], null, s68, v21, v[3:4]
	v_mul_lo_u32 v2, s68, v22
	v_mul_lo_u32 v31, s69, v21
	;; [unrolled: 1-line block ×4, first 2 shown]
	v_mad_co_u64_u32 v[21:22], null, v21, s24, 0
	s_mov_b32 s0, exec_lo
	v_add3_u32 v2, v31, v24, v2
	v_mul_lo_u32 v31, v23, s27
	v_mad_co_u64_u32 v[23:24], null, v23, s26, 0
	v_add3_u32 v22, v22, v33, v32
	s_delay_alu instid0(VALU_DEP_4) | instskip(NEXT) | instid1(VALU_DEP_2)
	v_mul_lo_u32 v2, v2, s26
	v_lshlrev_b64_e32 v[21:22], 1, v[21:22]
	s_delay_alu instid0(VALU_DEP_2) | instskip(NEXT) | instid1(VALU_DEP_2)
	v_add3_u32 v24, v24, v31, v2
	v_add_co_u32 v2, vcc_lo, s52, v21
	s_wait_alu 0xfffd
	s_delay_alu instid0(VALU_DEP_3) | instskip(NEXT) | instid1(VALU_DEP_3)
	v_add_co_ci_u32_e64 v22, null, s53, v22, vcc_lo
	v_lshlrev_b64_e32 v[23:24], 1, v[23:24]
	s_delay_alu instid0(VALU_DEP_1) | instskip(SKIP_1) | instid1(VALU_DEP_2)
	v_add_co_u32 v21, vcc_lo, v2, v23
	s_wait_alu 0xfffd
	v_add_co_ci_u32_e64 v22, null, v22, v24, vcc_lo
	v_or_b32_e32 v2, s61, v4
	global_load_u16 v31, v[21:22], off
                                        ; implicit-def: $vgpr21_vgpr22
	v_cmpx_ne_u64_e32 0, v[1:2]
	s_wait_alu 0xfffe
	s_xor_b32 s85, exec_lo, s0
	s_cbranch_execnz .LBB27_60
; %bb.48:                               ;   in Loop: Header=BB27_3 Depth=1
	s_and_not1_saveexec_b32 s0, s85
	s_cbranch_execnz .LBB27_61
.LBB27_49:                              ;   in Loop: Header=BB27_3 Depth=1
	s_wait_alu 0xfffe
	s_or_b32 exec_lo, exec_lo, s0
	s_delay_alu instid0(SALU_CYCLE_1)
	s_and_not1_b32 vcc_lo, exec_lo, s33
	s_wait_alu 0xfffe
	s_cbranch_vccnz .LBB27_62
.LBB27_50:                              ;   in Loop: Header=BB27_3 Depth=1
	v_or_b32_e32 v2, s57, v4
                                        ; implicit-def: $vgpr23_vgpr24
	s_mov_b32 s0, exec_lo
	s_delay_alu instid0(VALU_DEP_1)
	v_cmpx_ne_u64_e32 0, v[1:2]
	s_wait_alu 0xfffe
	s_xor_b32 s85, exec_lo, s0
	s_cbranch_execz .LBB27_52
; %bb.51:                               ;   in Loop: Header=BB27_3 Depth=1
	s_ashr_i32 s76, s57, 31
	v_ashrrev_i32_e32 v2, 31, v4
	s_wait_alu 0xfffe
	s_mov_b32 s77, s76
	s_wait_alu 0xfffe
	s_add_nc_u64 s[78:79], s[56:57], s[76:77]
	v_add_co_u32 v23, vcc_lo, v3, v2
	s_wait_alu 0xfffe
	s_xor_b64 s[78:79], s[78:79], s[76:77]
	s_wait_alu 0xfffd
	v_add_co_ci_u32_e64 v24, null, v4, v2, vcc_lo
	s_wait_alu 0xfffe
	s_cvt_f32_u32 s0, s78
	s_cvt_f32_u32 s77, s79
	s_sub_nc_u64 s[88:89], 0, s[78:79]
	v_xor_b32_e32 v36, v23, v2
	v_xor_b32_e32 v37, v24, v2
	s_wait_alu 0xfffe
	s_fmamk_f32 s0, s77, 0x4f800000, s0
	v_xor_b32_e32 v2, s76, v2
	s_wait_alu 0xfffe
	s_delay_alu instid0(SALU_CYCLE_1) | instskip(NEXT) | instid1(TRANS32_DEP_1)
	v_s_rcp_f32 s0, s0
	s_mul_f32 s0, s0, 0x5f7ffffc
	s_wait_alu 0xfffe
	s_delay_alu instid0(SALU_CYCLE_2) | instskip(SKIP_1) | instid1(SALU_CYCLE_2)
	s_mul_f32 s77, s0, 0x2f800000
	s_wait_alu 0xfffe
	s_trunc_f32 s77, s77
	s_wait_alu 0xfffe
	s_delay_alu instid0(SALU_CYCLE_2) | instskip(SKIP_2) | instid1(SALU_CYCLE_1)
	s_fmamk_f32 s0, s77, 0xcf800000, s0
	s_cvt_u32_f32 s87, s77
	s_wait_alu 0xfffe
	s_cvt_u32_f32 s86, s0
	s_delay_alu instid0(SALU_CYCLE_3) | instskip(NEXT) | instid1(SALU_CYCLE_1)
	s_mul_u64 s[90:91], s[88:89], s[86:87]
	s_mul_hi_u32 s93, s86, s91
	s_mul_i32 s92, s86, s91
	s_mul_hi_u32 s0, s86, s90
	s_mul_i32 s94, s87, s90
	s_wait_alu 0xfffe
	s_add_nc_u64 s[92:93], s[0:1], s[92:93]
	s_mul_hi_u32 s77, s87, s90
	s_mul_hi_u32 s95, s87, s91
	s_add_co_u32 s0, s92, s94
	s_wait_alu 0xfffe
	s_add_co_ci_u32 s0, s93, s77
	s_mul_i32 s90, s87, s91
	s_add_co_ci_u32 s91, s95, 0
	s_wait_alu 0xfffe
	s_add_nc_u64 s[90:91], s[0:1], s[90:91]
	s_delay_alu instid0(SALU_CYCLE_1) | instskip(SKIP_4) | instid1(SALU_CYCLE_1)
	s_add_co_u32 s86, s86, s90
	s_cselect_b32 s0, -1, 0
	s_wait_alu 0xfffe
	s_cmp_lg_u32 s0, 0
	s_add_co_ci_u32 s87, s87, s91
	s_mul_u64 s[88:89], s[88:89], s[86:87]
	s_delay_alu instid0(SALU_CYCLE_1)
	s_mul_hi_u32 s91, s86, s89
	s_mul_i32 s90, s86, s89
	s_mul_hi_u32 s0, s86, s88
	s_mul_i32 s92, s87, s88
	s_wait_alu 0xfffe
	s_add_nc_u64 s[90:91], s[0:1], s[90:91]
	s_mul_hi_u32 s77, s87, s88
	s_mul_hi_u32 s93, s87, s89
	s_add_co_u32 s0, s90, s92
	s_wait_alu 0xfffe
	s_add_co_ci_u32 s0, s91, s77
	s_mul_i32 s88, s87, s89
	s_add_co_ci_u32 s89, s93, 0
	s_wait_alu 0xfffe
	s_add_nc_u64 s[88:89], s[0:1], s[88:89]
	s_delay_alu instid0(SALU_CYCLE_1)
	s_add_co_u32 s0, s86, s88
	s_cselect_b32 s77, -1, 0
	s_wait_alu 0xfffe
	v_mul_hi_u32 v38, v36, s0
	s_cmp_lg_u32 s77, 0
	v_mad_co_u64_u32 v[32:33], null, v37, s0, 0
	s_add_co_ci_u32 s77, s87, s89
	s_wait_alu 0xfffe
	v_mad_co_u64_u32 v[23:24], null, v36, s77, 0
	v_mad_co_u64_u32 v[34:35], null, v37, s77, 0
	s_delay_alu instid0(VALU_DEP_2) | instskip(SKIP_1) | instid1(VALU_DEP_3)
	v_add_co_u32 v23, vcc_lo, v38, v23
	s_wait_alu 0xfffd
	v_add_co_ci_u32_e64 v24, null, 0, v24, vcc_lo
	s_delay_alu instid0(VALU_DEP_2) | instskip(SKIP_1) | instid1(VALU_DEP_2)
	v_add_co_u32 v23, vcc_lo, v23, v32
	s_wait_alu 0xfffd
	v_add_co_ci_u32_e32 v23, vcc_lo, v24, v33, vcc_lo
	s_wait_alu 0xfffd
	v_add_co_ci_u32_e32 v24, vcc_lo, 0, v35, vcc_lo
	s_delay_alu instid0(VALU_DEP_2) | instskip(SKIP_1) | instid1(VALU_DEP_2)
	v_add_co_u32 v32, vcc_lo, v23, v34
	s_wait_alu 0xfffd
	v_add_co_ci_u32_e64 v33, null, 0, v24, vcc_lo
	s_delay_alu instid0(VALU_DEP_2) | instskip(SKIP_1) | instid1(VALU_DEP_3)
	v_mul_lo_u32 v34, s79, v32
	v_mad_co_u64_u32 v[23:24], null, s78, v32, 0
	v_mul_lo_u32 v35, s78, v33
	s_delay_alu instid0(VALU_DEP_2) | instskip(NEXT) | instid1(VALU_DEP_2)
	v_sub_co_u32 v23, vcc_lo, v36, v23
	v_add3_u32 v24, v24, v35, v34
	v_add_co_u32 v35, s0, v32, 2
	s_wait_alu 0xf1ff
	v_add_co_ci_u32_e64 v36, null, 0, v33, s0
	s_delay_alu instid0(VALU_DEP_3) | instskip(SKIP_3) | instid1(VALU_DEP_3)
	v_sub_nc_u32_e32 v34, v37, v24
	v_sub_co_u32 v38, s0, v23, s78
	s_wait_alu 0xfffd
	v_sub_co_ci_u32_e64 v24, null, v37, v24, vcc_lo
	v_subrev_co_ci_u32_e64 v34, null, s79, v34, vcc_lo
	s_delay_alu instid0(VALU_DEP_3) | instskip(SKIP_1) | instid1(VALU_DEP_2)
	v_cmp_le_u32_e32 vcc_lo, s78, v38
	s_wait_alu 0xf1ff
	v_subrev_co_ci_u32_e64 v34, null, 0, v34, s0
	s_wait_alu 0xfffd
	v_cndmask_b32_e64 v37, 0, -1, vcc_lo
	s_delay_alu instid0(VALU_DEP_2)
	v_cmp_le_u32_e32 vcc_lo, s79, v34
	s_wait_alu 0xfffd
	v_cndmask_b32_e64 v38, 0, -1, vcc_lo
	v_cmp_le_u32_e32 vcc_lo, s78, v23
	s_wait_alu 0xfffd
	v_cndmask_b32_e64 v23, 0, -1, vcc_lo
	;; [unrolled: 3-line block ×3, first 2 shown]
	v_cmp_eq_u32_e32 vcc_lo, s79, v34
	s_wait_alu 0xfffd
	v_cndmask_b32_e32 v34, v38, v37, vcc_lo
	v_add_co_u32 v37, vcc_lo, v32, 1
	s_wait_alu 0xfffd
	v_add_co_ci_u32_e64 v38, null, 0, v33, vcc_lo
	v_cmp_eq_u32_e32 vcc_lo, s79, v24
	s_wait_alu 0xfffd
	v_cndmask_b32_e32 v23, v39, v23, vcc_lo
	v_cmp_ne_u32_e32 vcc_lo, 0, v34
	s_delay_alu instid0(VALU_DEP_2) | instskip(SKIP_3) | instid1(VALU_DEP_1)
	v_cmp_ne_u32_e64 s0, 0, v23
	s_wait_alu 0xfffd
	v_dual_cndmask_b32 v24, v38, v36 :: v_dual_cndmask_b32 v23, v37, v35
	s_wait_alu 0xf1ff
	v_cndmask_b32_e64 v24, v33, v24, s0
	s_delay_alu instid0(VALU_DEP_2) | instskip(NEXT) | instid1(VALU_DEP_2)
	v_cndmask_b32_e64 v23, v32, v23, s0
	v_xor_b32_e32 v24, v24, v2
	s_delay_alu instid0(VALU_DEP_2) | instskip(NEXT) | instid1(VALU_DEP_1)
	v_xor_b32_e32 v23, v23, v2
	v_sub_co_u32 v23, vcc_lo, v23, v2
	s_wait_alu 0xfffd
	s_delay_alu instid0(VALU_DEP_3)
	v_sub_co_ci_u32_e64 v24, null, v24, v2, vcc_lo
.LBB27_52:                              ;   in Loop: Header=BB27_3 Depth=1
	s_and_not1_saveexec_b32 s0, s85
	s_cbranch_execz .LBB27_54
; %bb.53:                               ;   in Loop: Header=BB27_3 Depth=1
	v_cvt_f32_u32_e32 v2, s56
	s_sub_co_i32 s76, 0, s56
	s_delay_alu instid0(VALU_DEP_1) | instskip(NEXT) | instid1(TRANS32_DEP_1)
	v_rcp_iflag_f32_e32 v2, v2
	v_mul_f32_e32 v2, 0x4f7ffffe, v2
	s_delay_alu instid0(VALU_DEP_1) | instskip(SKIP_1) | instid1(VALU_DEP_1)
	v_cvt_u32_f32_e32 v2, v2
	s_wait_alu 0xfffe
	v_mul_lo_u32 v23, s76, v2
	s_delay_alu instid0(VALU_DEP_1) | instskip(NEXT) | instid1(VALU_DEP_1)
	v_mul_hi_u32 v23, v2, v23
	v_add_nc_u32_e32 v2, v2, v23
	s_delay_alu instid0(VALU_DEP_1) | instskip(NEXT) | instid1(VALU_DEP_1)
	v_mul_hi_u32 v2, v3, v2
	v_mul_lo_u32 v23, v2, s56
	v_add_nc_u32_e32 v24, 1, v2
	s_delay_alu instid0(VALU_DEP_2) | instskip(NEXT) | instid1(VALU_DEP_1)
	v_sub_nc_u32_e32 v23, v3, v23
	v_subrev_nc_u32_e32 v32, s56, v23
	v_cmp_le_u32_e32 vcc_lo, s56, v23
	s_wait_alu 0xfffd
	s_delay_alu instid0(VALU_DEP_2) | instskip(SKIP_1) | instid1(VALU_DEP_2)
	v_cndmask_b32_e32 v23, v23, v32, vcc_lo
	v_cndmask_b32_e32 v2, v2, v24, vcc_lo
	v_cmp_le_u32_e32 vcc_lo, s56, v23
	s_delay_alu instid0(VALU_DEP_2) | instskip(SKIP_1) | instid1(VALU_DEP_1)
	v_add_nc_u32_e32 v24, 1, v2
	s_wait_alu 0xfffd
	v_dual_cndmask_b32 v23, v2, v24 :: v_dual_mov_b32 v24, v1
.LBB27_54:                              ;   in Loop: Header=BB27_3 Depth=1
	s_wait_alu 0xfffe
	s_or_b32 exec_lo, exec_lo, s0
	s_delay_alu instid0(VALU_DEP_1) | instskip(NEXT) | instid1(VALU_DEP_2)
	v_mad_co_u64_u32 v[32:33], null, s72, v23, v[3:4]
	v_mul_lo_u32 v2, s72, v24
	v_mul_lo_u32 v34, s73, v23
	;; [unrolled: 1-line block ×4, first 2 shown]
	v_mad_co_u64_u32 v[23:24], null, v23, s16, 0
	s_delay_alu instid0(VALU_DEP_4) | instskip(SKIP_2) | instid1(VALU_DEP_4)
	v_add3_u32 v2, v34, v33, v2
	v_mul_lo_u32 v34, v32, s19
	v_mad_co_u64_u32 v[32:33], null, v32, s18, 0
	v_add3_u32 v24, v24, v36, v35
	s_delay_alu instid0(VALU_DEP_4) | instskip(NEXT) | instid1(VALU_DEP_2)
	v_mul_lo_u32 v2, v2, s18
	v_lshlrev_b64_e32 v[23:24], 1, v[23:24]
	s_delay_alu instid0(VALU_DEP_2) | instskip(NEXT) | instid1(VALU_DEP_2)
	v_add3_u32 v33, v33, v34, v2
	v_add_co_u32 v2, vcc_lo, s40, v23
	s_wait_alu 0xfffd
	s_delay_alu instid0(VALU_DEP_3) | instskip(NEXT) | instid1(VALU_DEP_3)
	v_add_co_ci_u32_e64 v24, null, s41, v24, vcc_lo
	v_lshlrev_b64_e32 v[32:33], 1, v[32:33]
	s_delay_alu instid0(VALU_DEP_1) | instskip(SKIP_1) | instid1(VALU_DEP_2)
	v_add_co_u32 v23, vcc_lo, v2, v32
	s_wait_alu 0xfffd
	v_add_co_ci_u32_e64 v24, null, v24, v33, vcc_lo
	global_load_u16 v2, v[23:24], off
	s_wait_loadcnt 0x0
	v_cvt_f32_f16_e32 v32, v2
	s_and_not1_b32 vcc_lo, exec_lo, s80
	s_wait_alu 0xfffe
	s_cbranch_vccnz .LBB27_63
.LBB27_55:                              ;   in Loop: Header=BB27_3 Depth=1
	v_or_b32_e32 v2, s63, v4
                                        ; implicit-def: $vgpr23_vgpr24
	s_mov_b32 s0, exec_lo
	s_delay_alu instid0(VALU_DEP_1)
	v_cmpx_ne_u64_e32 0, v[1:2]
	s_wait_alu 0xfffe
	s_xor_b32 s85, exec_lo, s0
	s_cbranch_execz .LBB27_57
; %bb.56:                               ;   in Loop: Header=BB27_3 Depth=1
	s_ashr_i32 s76, s63, 31
	v_ashrrev_i32_e32 v2, 31, v4
	s_wait_alu 0xfffe
	s_mov_b32 s77, s76
	s_wait_alu 0xfffe
	s_add_nc_u64 s[78:79], s[62:63], s[76:77]
	v_add_co_u32 v23, vcc_lo, v3, v2
	s_wait_alu 0xfffe
	s_xor_b64 s[78:79], s[78:79], s[76:77]
	s_wait_alu 0xfffd
	v_add_co_ci_u32_e64 v24, null, v4, v2, vcc_lo
	s_wait_alu 0xfffe
	s_cvt_f32_u32 s0, s78
	s_cvt_f32_u32 s77, s79
	s_sub_nc_u64 s[88:89], 0, s[78:79]
	v_xor_b32_e32 v37, v23, v2
	v_xor_b32_e32 v38, v24, v2
	s_wait_alu 0xfffe
	s_fmamk_f32 s0, s77, 0x4f800000, s0
	v_xor_b32_e32 v2, s76, v2
	s_wait_alu 0xfffe
	s_delay_alu instid0(SALU_CYCLE_1) | instskip(NEXT) | instid1(TRANS32_DEP_1)
	v_s_rcp_f32 s0, s0
	s_mul_f32 s0, s0, 0x5f7ffffc
	s_wait_alu 0xfffe
	s_delay_alu instid0(SALU_CYCLE_2) | instskip(SKIP_1) | instid1(SALU_CYCLE_2)
	s_mul_f32 s77, s0, 0x2f800000
	s_wait_alu 0xfffe
	s_trunc_f32 s77, s77
	s_wait_alu 0xfffe
	s_delay_alu instid0(SALU_CYCLE_2) | instskip(SKIP_2) | instid1(SALU_CYCLE_1)
	s_fmamk_f32 s0, s77, 0xcf800000, s0
	s_cvt_u32_f32 s87, s77
	s_wait_alu 0xfffe
	s_cvt_u32_f32 s86, s0
	s_delay_alu instid0(SALU_CYCLE_3) | instskip(NEXT) | instid1(SALU_CYCLE_1)
	s_mul_u64 s[90:91], s[88:89], s[86:87]
	s_mul_hi_u32 s93, s86, s91
	s_mul_i32 s92, s86, s91
	s_mul_hi_u32 s0, s86, s90
	s_mul_i32 s94, s87, s90
	s_wait_alu 0xfffe
	s_add_nc_u64 s[92:93], s[0:1], s[92:93]
	s_mul_hi_u32 s77, s87, s90
	s_mul_hi_u32 s95, s87, s91
	s_add_co_u32 s0, s92, s94
	s_wait_alu 0xfffe
	s_add_co_ci_u32 s0, s93, s77
	s_mul_i32 s90, s87, s91
	s_add_co_ci_u32 s91, s95, 0
	s_wait_alu 0xfffe
	s_add_nc_u64 s[90:91], s[0:1], s[90:91]
	s_delay_alu instid0(SALU_CYCLE_1) | instskip(SKIP_4) | instid1(SALU_CYCLE_1)
	s_add_co_u32 s86, s86, s90
	s_cselect_b32 s0, -1, 0
	s_wait_alu 0xfffe
	s_cmp_lg_u32 s0, 0
	s_add_co_ci_u32 s87, s87, s91
	s_mul_u64 s[88:89], s[88:89], s[86:87]
	s_delay_alu instid0(SALU_CYCLE_1)
	s_mul_hi_u32 s91, s86, s89
	s_mul_i32 s90, s86, s89
	s_mul_hi_u32 s0, s86, s88
	s_mul_i32 s92, s87, s88
	s_wait_alu 0xfffe
	s_add_nc_u64 s[90:91], s[0:1], s[90:91]
	s_mul_hi_u32 s77, s87, s88
	s_mul_hi_u32 s93, s87, s89
	s_add_co_u32 s0, s90, s92
	s_wait_alu 0xfffe
	s_add_co_ci_u32 s0, s91, s77
	s_mul_i32 s88, s87, s89
	s_add_co_ci_u32 s89, s93, 0
	s_wait_alu 0xfffe
	s_add_nc_u64 s[88:89], s[0:1], s[88:89]
	s_delay_alu instid0(SALU_CYCLE_1)
	s_add_co_u32 s0, s86, s88
	s_cselect_b32 s77, -1, 0
	s_wait_alu 0xfffe
	v_mul_hi_u32 v39, v37, s0
	s_cmp_lg_u32 s77, 0
	v_mad_co_u64_u32 v[33:34], null, v38, s0, 0
	s_add_co_ci_u32 s77, s87, s89
	s_wait_alu 0xfffe
	v_mad_co_u64_u32 v[23:24], null, v37, s77, 0
	v_mad_co_u64_u32 v[35:36], null, v38, s77, 0
	s_delay_alu instid0(VALU_DEP_2) | instskip(SKIP_1) | instid1(VALU_DEP_3)
	v_add_co_u32 v23, vcc_lo, v39, v23
	s_wait_alu 0xfffd
	v_add_co_ci_u32_e64 v24, null, 0, v24, vcc_lo
	s_delay_alu instid0(VALU_DEP_2) | instskip(SKIP_1) | instid1(VALU_DEP_2)
	v_add_co_u32 v23, vcc_lo, v23, v33
	s_wait_alu 0xfffd
	v_add_co_ci_u32_e32 v23, vcc_lo, v24, v34, vcc_lo
	s_wait_alu 0xfffd
	v_add_co_ci_u32_e32 v24, vcc_lo, 0, v36, vcc_lo
	s_delay_alu instid0(VALU_DEP_2) | instskip(SKIP_1) | instid1(VALU_DEP_2)
	v_add_co_u32 v33, vcc_lo, v23, v35
	s_wait_alu 0xfffd
	v_add_co_ci_u32_e64 v34, null, 0, v24, vcc_lo
	s_delay_alu instid0(VALU_DEP_2) | instskip(SKIP_1) | instid1(VALU_DEP_3)
	v_mul_lo_u32 v35, s79, v33
	v_mad_co_u64_u32 v[23:24], null, s78, v33, 0
	v_mul_lo_u32 v36, s78, v34
	s_delay_alu instid0(VALU_DEP_2) | instskip(NEXT) | instid1(VALU_DEP_2)
	v_sub_co_u32 v23, vcc_lo, v37, v23
	v_add3_u32 v24, v24, v36, v35
	v_add_co_u32 v36, s0, v33, 2
	s_wait_alu 0xf1ff
	v_add_co_ci_u32_e64 v37, null, 0, v34, s0
	s_delay_alu instid0(VALU_DEP_3) | instskip(SKIP_3) | instid1(VALU_DEP_3)
	v_sub_nc_u32_e32 v35, v38, v24
	v_sub_co_u32 v39, s0, v23, s78
	s_wait_alu 0xfffd
	v_sub_co_ci_u32_e64 v24, null, v38, v24, vcc_lo
	v_subrev_co_ci_u32_e64 v35, null, s79, v35, vcc_lo
	s_delay_alu instid0(VALU_DEP_3) | instskip(SKIP_1) | instid1(VALU_DEP_2)
	v_cmp_le_u32_e32 vcc_lo, s78, v39
	s_wait_alu 0xf1ff
	v_subrev_co_ci_u32_e64 v35, null, 0, v35, s0
	s_wait_alu 0xfffd
	v_cndmask_b32_e64 v38, 0, -1, vcc_lo
	s_delay_alu instid0(VALU_DEP_2)
	v_cmp_le_u32_e32 vcc_lo, s79, v35
	s_wait_alu 0xfffd
	v_cndmask_b32_e64 v39, 0, -1, vcc_lo
	v_cmp_le_u32_e32 vcc_lo, s78, v23
	s_wait_alu 0xfffd
	v_cndmask_b32_e64 v23, 0, -1, vcc_lo
	v_cmp_le_u32_e32 vcc_lo, s79, v24
	s_wait_alu 0xfffd
	v_cndmask_b32_e64 v40, 0, -1, vcc_lo
	v_cmp_eq_u32_e32 vcc_lo, s79, v35
	s_wait_alu 0xfffd
	v_cndmask_b32_e32 v35, v39, v38, vcc_lo
	v_add_co_u32 v38, vcc_lo, v33, 1
	s_wait_alu 0xfffd
	v_add_co_ci_u32_e64 v39, null, 0, v34, vcc_lo
	v_cmp_eq_u32_e32 vcc_lo, s79, v24
	s_wait_alu 0xfffd
	v_cndmask_b32_e32 v23, v40, v23, vcc_lo
	v_cmp_ne_u32_e32 vcc_lo, 0, v35
	s_wait_alu 0xfffd
	v_cndmask_b32_e32 v24, v39, v37, vcc_lo
	s_delay_alu instid0(VALU_DEP_3) | instskip(SKIP_2) | instid1(VALU_DEP_2)
	v_cmp_ne_u32_e64 s0, 0, v23
	v_cndmask_b32_e32 v23, v38, v36, vcc_lo
	s_wait_alu 0xf1ff
	v_cndmask_b32_e64 v24, v34, v24, s0
	s_delay_alu instid0(VALU_DEP_2) | instskip(NEXT) | instid1(VALU_DEP_2)
	v_cndmask_b32_e64 v23, v33, v23, s0
	v_xor_b32_e32 v24, v24, v2
	s_delay_alu instid0(VALU_DEP_2) | instskip(NEXT) | instid1(VALU_DEP_1)
	v_xor_b32_e32 v23, v23, v2
	v_sub_co_u32 v23, vcc_lo, v23, v2
	s_wait_alu 0xfffd
	s_delay_alu instid0(VALU_DEP_3)
	v_sub_co_ci_u32_e64 v24, null, v24, v2, vcc_lo
.LBB27_57:                              ;   in Loop: Header=BB27_3 Depth=1
	s_and_not1_saveexec_b32 s0, s85
	s_cbranch_execz .LBB27_59
; %bb.58:                               ;   in Loop: Header=BB27_3 Depth=1
	v_cvt_f32_u32_e32 v2, s62
	s_sub_co_i32 s76, 0, s62
	s_delay_alu instid0(VALU_DEP_1) | instskip(NEXT) | instid1(TRANS32_DEP_1)
	v_rcp_iflag_f32_e32 v2, v2
	v_mul_f32_e32 v2, 0x4f7ffffe, v2
	s_delay_alu instid0(VALU_DEP_1) | instskip(SKIP_1) | instid1(VALU_DEP_1)
	v_cvt_u32_f32_e32 v2, v2
	s_wait_alu 0xfffe
	v_mul_lo_u32 v23, s76, v2
	s_delay_alu instid0(VALU_DEP_1) | instskip(NEXT) | instid1(VALU_DEP_1)
	v_mul_hi_u32 v23, v2, v23
	v_add_nc_u32_e32 v2, v2, v23
	s_delay_alu instid0(VALU_DEP_1) | instskip(NEXT) | instid1(VALU_DEP_1)
	v_mul_hi_u32 v2, v3, v2
	v_mul_lo_u32 v23, v2, s62
	v_add_nc_u32_e32 v24, 1, v2
	s_delay_alu instid0(VALU_DEP_2) | instskip(NEXT) | instid1(VALU_DEP_1)
	v_sub_nc_u32_e32 v23, v3, v23
	v_subrev_nc_u32_e32 v33, s62, v23
	v_cmp_le_u32_e32 vcc_lo, s62, v23
	s_wait_alu 0xfffd
	s_delay_alu instid0(VALU_DEP_2) | instskip(NEXT) | instid1(VALU_DEP_1)
	v_dual_cndmask_b32 v23, v23, v33 :: v_dual_cndmask_b32 v2, v2, v24
	v_cmp_le_u32_e32 vcc_lo, s62, v23
	s_delay_alu instid0(VALU_DEP_2) | instskip(SKIP_1) | instid1(VALU_DEP_1)
	v_add_nc_u32_e32 v24, 1, v2
	s_wait_alu 0xfffd
	v_dual_cndmask_b32 v23, v2, v24 :: v_dual_mov_b32 v24, v1
.LBB27_59:                              ;   in Loop: Header=BB27_3 Depth=1
	s_wait_alu 0xfffe
	s_or_b32 exec_lo, exec_lo, s0
	s_delay_alu instid0(VALU_DEP_1) | instskip(NEXT) | instid1(VALU_DEP_2)
	v_mad_co_u64_u32 v[33:34], null, s74, v23, v[3:4]
	v_mul_lo_u32 v2, s74, v24
	v_mul_lo_u32 v35, s75, v23
	;; [unrolled: 1-line block ×4, first 2 shown]
	v_mad_co_u64_u32 v[23:24], null, v23, s28, 0
	s_delay_alu instid0(VALU_DEP_4) | instskip(SKIP_2) | instid1(VALU_DEP_4)
	v_add3_u32 v2, v35, v34, v2
	v_mul_lo_u32 v35, v33, s31
	v_mad_co_u64_u32 v[33:34], null, v33, s30, 0
	v_add3_u32 v24, v24, v37, v36
	s_delay_alu instid0(VALU_DEP_4) | instskip(NEXT) | instid1(VALU_DEP_2)
	v_mul_lo_u32 v2, v2, s30
	v_lshlrev_b64_e32 v[23:24], 1, v[23:24]
	s_delay_alu instid0(VALU_DEP_2) | instskip(NEXT) | instid1(VALU_DEP_2)
	v_add3_u32 v34, v34, v35, v2
	v_add_co_u32 v2, vcc_lo, s46, v23
	s_wait_alu 0xfffd
	s_delay_alu instid0(VALU_DEP_3) | instskip(NEXT) | instid1(VALU_DEP_3)
	v_add_co_ci_u32_e64 v24, null, s47, v24, vcc_lo
	v_lshlrev_b64_e32 v[33:34], 1, v[33:34]
	s_delay_alu instid0(VALU_DEP_1) | instskip(SKIP_1) | instid1(VALU_DEP_2)
	v_add_co_u32 v23, vcc_lo, v2, v33
	s_wait_alu 0xfffd
	v_add_co_ci_u32_e64 v24, null, v24, v34, vcc_lo
	global_load_u16 v2, v[23:24], off
	s_wait_loadcnt 0x0
	v_cvt_f32_f16_e32 v2, v2
	s_branch .LBB27_64
.LBB27_60:                              ;   in Loop: Header=BB27_3 Depth=1
	s_ashr_i32 s76, s61, 31
	v_ashrrev_i32_e32 v2, 31, v4
	s_wait_alu 0xfffe
	s_mov_b32 s77, s76
	s_wait_alu 0xfffe
	s_add_nc_u64 s[78:79], s[60:61], s[76:77]
	v_add_co_u32 v21, vcc_lo, v3, v2
	s_wait_alu 0xfffe
	s_xor_b64 s[78:79], s[78:79], s[76:77]
	s_wait_alu 0xfffd
	v_add_co_ci_u32_e64 v22, null, v4, v2, vcc_lo
	s_wait_alu 0xfffe
	s_cvt_f32_u32 s0, s78
	s_cvt_f32_u32 s77, s79
	s_sub_nc_u64 s[88:89], 0, s[78:79]
	v_xor_b32_e32 v34, v21, v2
	v_xor_b32_e32 v35, v22, v2
	s_wait_alu 0xfffe
	s_fmamk_f32 s0, s77, 0x4f800000, s0
	v_xor_b32_e32 v2, s76, v2
	s_wait_alu 0xfffe
	s_delay_alu instid0(SALU_CYCLE_1) | instskip(NEXT) | instid1(TRANS32_DEP_1)
	v_s_rcp_f32 s0, s0
	s_mul_f32 s0, s0, 0x5f7ffffc
	s_wait_alu 0xfffe
	s_delay_alu instid0(SALU_CYCLE_2) | instskip(SKIP_1) | instid1(SALU_CYCLE_2)
	s_mul_f32 s77, s0, 0x2f800000
	s_wait_alu 0xfffe
	s_trunc_f32 s77, s77
	s_wait_alu 0xfffe
	s_delay_alu instid0(SALU_CYCLE_2) | instskip(SKIP_2) | instid1(SALU_CYCLE_1)
	s_fmamk_f32 s0, s77, 0xcf800000, s0
	s_cvt_u32_f32 s87, s77
	s_wait_alu 0xfffe
	s_cvt_u32_f32 s86, s0
	s_delay_alu instid0(SALU_CYCLE_3) | instskip(NEXT) | instid1(SALU_CYCLE_1)
	s_mul_u64 s[90:91], s[88:89], s[86:87]
	s_mul_hi_u32 s93, s86, s91
	s_mul_i32 s92, s86, s91
	s_mul_hi_u32 s0, s86, s90
	s_mul_i32 s94, s87, s90
	s_wait_alu 0xfffe
	s_add_nc_u64 s[92:93], s[0:1], s[92:93]
	s_mul_hi_u32 s77, s87, s90
	s_mul_hi_u32 s95, s87, s91
	s_add_co_u32 s0, s92, s94
	s_wait_alu 0xfffe
	s_add_co_ci_u32 s0, s93, s77
	s_mul_i32 s90, s87, s91
	s_add_co_ci_u32 s91, s95, 0
	s_wait_alu 0xfffe
	s_add_nc_u64 s[90:91], s[0:1], s[90:91]
	s_delay_alu instid0(SALU_CYCLE_1) | instskip(SKIP_4) | instid1(SALU_CYCLE_1)
	s_add_co_u32 s86, s86, s90
	s_cselect_b32 s0, -1, 0
	s_wait_alu 0xfffe
	s_cmp_lg_u32 s0, 0
	s_add_co_ci_u32 s87, s87, s91
	s_mul_u64 s[88:89], s[88:89], s[86:87]
	s_delay_alu instid0(SALU_CYCLE_1)
	s_mul_hi_u32 s91, s86, s89
	s_mul_i32 s90, s86, s89
	s_mul_hi_u32 s0, s86, s88
	s_mul_i32 s92, s87, s88
	s_wait_alu 0xfffe
	s_add_nc_u64 s[90:91], s[0:1], s[90:91]
	s_mul_hi_u32 s77, s87, s88
	s_mul_hi_u32 s93, s87, s89
	s_add_co_u32 s0, s90, s92
	s_wait_alu 0xfffe
	s_add_co_ci_u32 s0, s91, s77
	s_mul_i32 s88, s87, s89
	s_add_co_ci_u32 s89, s93, 0
	s_wait_alu 0xfffe
	s_add_nc_u64 s[88:89], s[0:1], s[88:89]
	s_delay_alu instid0(SALU_CYCLE_1)
	s_add_co_u32 s0, s86, s88
	s_cselect_b32 s77, -1, 0
	s_wait_alu 0xfffe
	v_mul_hi_u32 v36, v34, s0
	s_cmp_lg_u32 s77, 0
	v_mad_co_u64_u32 v[23:24], null, v35, s0, 0
	s_add_co_ci_u32 s77, s87, s89
	s_wait_alu 0xfffe
	v_mad_co_u64_u32 v[21:22], null, v34, s77, 0
	v_mad_co_u64_u32 v[32:33], null, v35, s77, 0
	s_delay_alu instid0(VALU_DEP_2) | instskip(SKIP_1) | instid1(VALU_DEP_3)
	v_add_co_u32 v21, vcc_lo, v36, v21
	s_wait_alu 0xfffd
	v_add_co_ci_u32_e64 v22, null, 0, v22, vcc_lo
	s_delay_alu instid0(VALU_DEP_2) | instskip(SKIP_1) | instid1(VALU_DEP_2)
	v_add_co_u32 v21, vcc_lo, v21, v23
	s_wait_alu 0xfffd
	v_add_co_ci_u32_e32 v21, vcc_lo, v22, v24, vcc_lo
	s_wait_alu 0xfffd
	v_add_co_ci_u32_e32 v22, vcc_lo, 0, v33, vcc_lo
	s_delay_alu instid0(VALU_DEP_2) | instskip(SKIP_1) | instid1(VALU_DEP_2)
	v_add_co_u32 v23, vcc_lo, v21, v32
	s_wait_alu 0xfffd
	v_add_co_ci_u32_e64 v24, null, 0, v22, vcc_lo
	s_delay_alu instid0(VALU_DEP_2) | instskip(SKIP_1) | instid1(VALU_DEP_3)
	v_mul_lo_u32 v32, s79, v23
	v_mad_co_u64_u32 v[21:22], null, s78, v23, 0
	v_mul_lo_u32 v33, s78, v24
	s_delay_alu instid0(VALU_DEP_2) | instskip(NEXT) | instid1(VALU_DEP_2)
	v_sub_co_u32 v21, vcc_lo, v34, v21
	v_add3_u32 v22, v22, v33, v32
	v_add_co_u32 v33, s0, v23, 2
	s_wait_alu 0xf1ff
	v_add_co_ci_u32_e64 v34, null, 0, v24, s0
	s_delay_alu instid0(VALU_DEP_3) | instskip(SKIP_3) | instid1(VALU_DEP_3)
	v_sub_nc_u32_e32 v32, v35, v22
	v_sub_co_u32 v36, s0, v21, s78
	s_wait_alu 0xfffd
	v_sub_co_ci_u32_e64 v22, null, v35, v22, vcc_lo
	v_subrev_co_ci_u32_e64 v32, null, s79, v32, vcc_lo
	s_delay_alu instid0(VALU_DEP_3) | instskip(SKIP_1) | instid1(VALU_DEP_2)
	v_cmp_le_u32_e32 vcc_lo, s78, v36
	s_wait_alu 0xf1ff
	v_subrev_co_ci_u32_e64 v32, null, 0, v32, s0
	s_wait_alu 0xfffd
	v_cndmask_b32_e64 v35, 0, -1, vcc_lo
	s_delay_alu instid0(VALU_DEP_2)
	v_cmp_le_u32_e32 vcc_lo, s79, v32
	s_wait_alu 0xfffd
	v_cndmask_b32_e64 v36, 0, -1, vcc_lo
	v_cmp_le_u32_e32 vcc_lo, s78, v21
	s_wait_alu 0xfffd
	v_cndmask_b32_e64 v21, 0, -1, vcc_lo
	;; [unrolled: 3-line block ×3, first 2 shown]
	v_cmp_eq_u32_e32 vcc_lo, s79, v32
	s_wait_alu 0xfffd
	v_cndmask_b32_e32 v32, v36, v35, vcc_lo
	v_add_co_u32 v35, vcc_lo, v23, 1
	s_wait_alu 0xfffd
	v_add_co_ci_u32_e64 v36, null, 0, v24, vcc_lo
	v_cmp_eq_u32_e32 vcc_lo, s79, v22
	s_wait_alu 0xfffd
	v_cndmask_b32_e32 v21, v37, v21, vcc_lo
	v_cmp_ne_u32_e32 vcc_lo, 0, v32
	s_delay_alu instid0(VALU_DEP_2) | instskip(SKIP_3) | instid1(VALU_DEP_1)
	v_cmp_ne_u32_e64 s0, 0, v21
	s_wait_alu 0xfffd
	v_dual_cndmask_b32 v22, v36, v34 :: v_dual_cndmask_b32 v21, v35, v33
	s_wait_alu 0xf1ff
	v_cndmask_b32_e64 v22, v24, v22, s0
	s_delay_alu instid0(VALU_DEP_2) | instskip(NEXT) | instid1(VALU_DEP_2)
	v_cndmask_b32_e64 v21, v23, v21, s0
	v_xor_b32_e32 v22, v22, v2
	s_delay_alu instid0(VALU_DEP_2) | instskip(NEXT) | instid1(VALU_DEP_1)
	v_xor_b32_e32 v21, v21, v2
	v_sub_co_u32 v21, vcc_lo, v21, v2
	s_wait_alu 0xfffd
	s_delay_alu instid0(VALU_DEP_3)
	v_sub_co_ci_u32_e64 v22, null, v22, v2, vcc_lo
	s_and_not1_saveexec_b32 s0, s85
	s_cbranch_execz .LBB27_49
.LBB27_61:                              ;   in Loop: Header=BB27_3 Depth=1
	v_cvt_f32_u32_e32 v2, s60
	s_sub_co_i32 s76, 0, s60
	s_delay_alu instid0(VALU_DEP_1) | instskip(NEXT) | instid1(TRANS32_DEP_1)
	v_rcp_iflag_f32_e32 v2, v2
	v_mul_f32_e32 v2, 0x4f7ffffe, v2
	s_delay_alu instid0(VALU_DEP_1) | instskip(SKIP_1) | instid1(VALU_DEP_1)
	v_cvt_u32_f32_e32 v2, v2
	s_wait_alu 0xfffe
	v_mul_lo_u32 v21, s76, v2
	s_delay_alu instid0(VALU_DEP_1) | instskip(NEXT) | instid1(VALU_DEP_1)
	v_mul_hi_u32 v21, v2, v21
	v_add_nc_u32_e32 v2, v2, v21
	s_delay_alu instid0(VALU_DEP_1) | instskip(NEXT) | instid1(VALU_DEP_1)
	v_mul_hi_u32 v2, v3, v2
	v_mul_lo_u32 v21, v2, s60
	v_add_nc_u32_e32 v22, 1, v2
	s_delay_alu instid0(VALU_DEP_2) | instskip(NEXT) | instid1(VALU_DEP_1)
	v_sub_nc_u32_e32 v21, v3, v21
	v_subrev_nc_u32_e32 v23, s60, v21
	v_cmp_le_u32_e32 vcc_lo, s60, v21
	s_wait_alu 0xfffd
	s_delay_alu instid0(VALU_DEP_2) | instskip(NEXT) | instid1(VALU_DEP_1)
	v_dual_cndmask_b32 v21, v21, v23 :: v_dual_cndmask_b32 v2, v2, v22
	v_cmp_le_u32_e32 vcc_lo, s60, v21
	s_delay_alu instid0(VALU_DEP_2) | instskip(SKIP_1) | instid1(VALU_DEP_1)
	v_add_nc_u32_e32 v22, 1, v2
	s_wait_alu 0xfffd
	v_dual_cndmask_b32 v21, v2, v22 :: v_dual_mov_b32 v22, v1
	s_or_b32 exec_lo, exec_lo, s0
	s_delay_alu instid0(SALU_CYCLE_1)
	s_and_not1_b32 vcc_lo, exec_lo, s33
	s_wait_alu 0xfffe
	s_cbranch_vccz .LBB27_50
.LBB27_62:                              ;   in Loop: Header=BB27_3 Depth=1
	v_mov_b32_e32 v32, 0
	s_and_not1_b32 vcc_lo, exec_lo, s80
	s_wait_alu 0xfffe
	s_cbranch_vccz .LBB27_55
.LBB27_63:                              ;   in Loop: Header=BB27_3 Depth=1
	v_mov_b32_e32 v2, 0
.LBB27_64:                              ;   in Loop: Header=BB27_3 Depth=1
	s_wait_loadcnt 0x0
	v_cvt_f32_f16_e32 v23, v31
                                        ; implicit-def: $vgpr24
	s_delay_alu instid0(VALU_DEP_1)
	v_cmp_ngt_f32_e64 s0, 0x3f200000, |v23|
	s_and_saveexec_b32 s76, s0
	s_wait_alu 0xfffe
	s_xor_b32 s0, exec_lo, s76
	s_cbranch_execz .LBB27_66
; %bb.65:                               ;   in Loop: Header=BB27_3 Depth=1
	v_add_f32_e64 v24, |v23|, |v23|
	s_delay_alu instid0(VALU_DEP_1) | instskip(SKIP_1) | instid1(VALU_DEP_2)
	v_mul_f32_e32 v31, 0x3fb8aa3b, v24
	v_cmp_ngt_f32_e32 vcc_lo, 0xc2ce8ed0, v24
	v_rndne_f32_e32 v33, v31
	v_fma_f32 v34, 0x3fb8aa3b, v24, -v31
	s_delay_alu instid0(VALU_DEP_1) | instskip(SKIP_1) | instid1(VALU_DEP_2)
	v_dual_sub_f32 v31, v31, v33 :: v_dual_fmac_f32 v34, 0x32a5705f, v24
	v_cvt_i32_f32_e32 v33, v33
	v_add_f32_e32 v31, v31, v34
	s_delay_alu instid0(VALU_DEP_1) | instskip(NEXT) | instid1(TRANS32_DEP_1)
	v_exp_f32_e32 v31, v31
	v_ldexp_f32 v31, v31, v33
	s_wait_alu 0xfffd
	s_delay_alu instid0(VALU_DEP_1) | instskip(SKIP_2) | instid1(VALU_DEP_2)
	v_cndmask_b32_e32 v31, 0, v31, vcc_lo
	v_cmp_nlt_f32_e32 vcc_lo, 0x42b17218, v24
	s_wait_alu 0xfffd
	v_cndmask_b32_e32 v24, 0x7f800000, v31, vcc_lo
	s_delay_alu instid0(VALU_DEP_1) | instskip(NEXT) | instid1(VALU_DEP_1)
	v_add_f32_e32 v24, 1.0, v24
	v_rcp_f32_e32 v24, v24
	s_delay_alu instid0(TRANS32_DEP_1)
	v_fma_f32 v24, v24, -2.0, 1.0
.LBB27_66:                              ;   in Loop: Header=BB27_3 Depth=1
	s_wait_alu 0xfffe
	s_and_not1_saveexec_b32 s0, s0
	s_cbranch_execz .LBB27_2
; %bb.67:                               ;   in Loop: Header=BB27_3 Depth=1
	v_mul_f32_e32 v24, v23, v23
	s_delay_alu instid0(VALU_DEP_1) | instskip(NEXT) | instid1(VALU_DEP_1)
	v_fmaak_f32 v31, s82, v24, 0x3ca908c9
	v_fmaak_f32 v31, v24, v31, 0xbd5c1c4e
	s_delay_alu instid0(VALU_DEP_1) | instskip(NEXT) | instid1(VALU_DEP_1)
	v_fmaak_f32 v31, v24, v31, 0x3e088382
	v_fmaak_f32 v31, v24, v31, 0xbeaaaa99
	s_delay_alu instid0(VALU_DEP_1) | instskip(NEXT) | instid1(VALU_DEP_1)
	v_mul_f32_e64 v31, |v23|, v31
	v_fma_f32 v24, v24, v31, |v23|
	s_branch .LBB27_2
.LBB27_68:
	s_endpgm
	.section	.rodata,"a",@progbits
	.p2align	6, 0x0
	.amdhsa_kernel _ZN2at6native12_GLOBAL__N_16kernel18lstm_cell_backwardIN3c104HalfEflLi2EEEvNS_4cuda6detail10TensorInfoIT_T1_EESB_SB_SB_SB_SB_SB_SA_SA_
		.amdhsa_group_segment_fixed_size 0
		.amdhsa_private_segment_fixed_size 0
		.amdhsa_kernarg_size 3184
		.amdhsa_user_sgpr_count 2
		.amdhsa_user_sgpr_dispatch_ptr 0
		.amdhsa_user_sgpr_queue_ptr 0
		.amdhsa_user_sgpr_kernarg_segment_ptr 1
		.amdhsa_user_sgpr_dispatch_id 0
		.amdhsa_user_sgpr_private_segment_size 0
		.amdhsa_wavefront_size32 1
		.amdhsa_uses_dynamic_stack 0
		.amdhsa_enable_private_segment 0
		.amdhsa_system_sgpr_workgroup_id_x 1
		.amdhsa_system_sgpr_workgroup_id_y 0
		.amdhsa_system_sgpr_workgroup_id_z 0
		.amdhsa_system_sgpr_workgroup_info 0
		.amdhsa_system_vgpr_workitem_id 0
		.amdhsa_next_free_vgpr 43
		.amdhsa_next_free_sgpr 96
		.amdhsa_reserve_vcc 1
		.amdhsa_float_round_mode_32 0
		.amdhsa_float_round_mode_16_64 0
		.amdhsa_float_denorm_mode_32 3
		.amdhsa_float_denorm_mode_16_64 3
		.amdhsa_fp16_overflow 0
		.amdhsa_workgroup_processor_mode 1
		.amdhsa_memory_ordered 1
		.amdhsa_forward_progress 1
		.amdhsa_inst_pref_size 135
		.amdhsa_round_robin_scheduling 0
		.amdhsa_exception_fp_ieee_invalid_op 0
		.amdhsa_exception_fp_denorm_src 0
		.amdhsa_exception_fp_ieee_div_zero 0
		.amdhsa_exception_fp_ieee_overflow 0
		.amdhsa_exception_fp_ieee_underflow 0
		.amdhsa_exception_fp_ieee_inexact 0
		.amdhsa_exception_int_div_zero 0
	.end_amdhsa_kernel
	.section	.text._ZN2at6native12_GLOBAL__N_16kernel18lstm_cell_backwardIN3c104HalfEflLi2EEEvNS_4cuda6detail10TensorInfoIT_T1_EESB_SB_SB_SB_SB_SB_SA_SA_,"axG",@progbits,_ZN2at6native12_GLOBAL__N_16kernel18lstm_cell_backwardIN3c104HalfEflLi2EEEvNS_4cuda6detail10TensorInfoIT_T1_EESB_SB_SB_SB_SB_SB_SA_SA_,comdat
.Lfunc_end27:
	.size	_ZN2at6native12_GLOBAL__N_16kernel18lstm_cell_backwardIN3c104HalfEflLi2EEEvNS_4cuda6detail10TensorInfoIT_T1_EESB_SB_SB_SB_SB_SB_SA_SA_, .Lfunc_end27-_ZN2at6native12_GLOBAL__N_16kernel18lstm_cell_backwardIN3c104HalfEflLi2EEEvNS_4cuda6detail10TensorInfoIT_T1_EESB_SB_SB_SB_SB_SB_SA_SA_
                                        ; -- End function
	.set _ZN2at6native12_GLOBAL__N_16kernel18lstm_cell_backwardIN3c104HalfEflLi2EEEvNS_4cuda6detail10TensorInfoIT_T1_EESB_SB_SB_SB_SB_SB_SA_SA_.num_vgpr, 43
	.set _ZN2at6native12_GLOBAL__N_16kernel18lstm_cell_backwardIN3c104HalfEflLi2EEEvNS_4cuda6detail10TensorInfoIT_T1_EESB_SB_SB_SB_SB_SB_SA_SA_.num_agpr, 0
	.set _ZN2at6native12_GLOBAL__N_16kernel18lstm_cell_backwardIN3c104HalfEflLi2EEEvNS_4cuda6detail10TensorInfoIT_T1_EESB_SB_SB_SB_SB_SB_SA_SA_.numbered_sgpr, 96
	.set _ZN2at6native12_GLOBAL__N_16kernel18lstm_cell_backwardIN3c104HalfEflLi2EEEvNS_4cuda6detail10TensorInfoIT_T1_EESB_SB_SB_SB_SB_SB_SA_SA_.num_named_barrier, 0
	.set _ZN2at6native12_GLOBAL__N_16kernel18lstm_cell_backwardIN3c104HalfEflLi2EEEvNS_4cuda6detail10TensorInfoIT_T1_EESB_SB_SB_SB_SB_SB_SA_SA_.private_seg_size, 0
	.set _ZN2at6native12_GLOBAL__N_16kernel18lstm_cell_backwardIN3c104HalfEflLi2EEEvNS_4cuda6detail10TensorInfoIT_T1_EESB_SB_SB_SB_SB_SB_SA_SA_.uses_vcc, 1
	.set _ZN2at6native12_GLOBAL__N_16kernel18lstm_cell_backwardIN3c104HalfEflLi2EEEvNS_4cuda6detail10TensorInfoIT_T1_EESB_SB_SB_SB_SB_SB_SA_SA_.uses_flat_scratch, 0
	.set _ZN2at6native12_GLOBAL__N_16kernel18lstm_cell_backwardIN3c104HalfEflLi2EEEvNS_4cuda6detail10TensorInfoIT_T1_EESB_SB_SB_SB_SB_SB_SA_SA_.has_dyn_sized_stack, 0
	.set _ZN2at6native12_GLOBAL__N_16kernel18lstm_cell_backwardIN3c104HalfEflLi2EEEvNS_4cuda6detail10TensorInfoIT_T1_EESB_SB_SB_SB_SB_SB_SA_SA_.has_recursion, 0
	.set _ZN2at6native12_GLOBAL__N_16kernel18lstm_cell_backwardIN3c104HalfEflLi2EEEvNS_4cuda6detail10TensorInfoIT_T1_EESB_SB_SB_SB_SB_SB_SA_SA_.has_indirect_call, 0
	.section	.AMDGPU.csdata,"",@progbits
; Kernel info:
; codeLenInByte = 17208
; TotalNumSgprs: 98
; NumVgprs: 43
; ScratchSize: 0
; MemoryBound: 0
; FloatMode: 240
; IeeeMode: 1
; LDSByteSize: 0 bytes/workgroup (compile time only)
; SGPRBlocks: 0
; VGPRBlocks: 5
; NumSGPRsForWavesPerEU: 98
; NumVGPRsForWavesPerEU: 43
; Occupancy: 16
; WaveLimiterHint : 1
; COMPUTE_PGM_RSRC2:SCRATCH_EN: 0
; COMPUTE_PGM_RSRC2:USER_SGPR: 2
; COMPUTE_PGM_RSRC2:TRAP_HANDLER: 0
; COMPUTE_PGM_RSRC2:TGID_X_EN: 1
; COMPUTE_PGM_RSRC2:TGID_Y_EN: 0
; COMPUTE_PGM_RSRC2:TGID_Z_EN: 0
; COMPUTE_PGM_RSRC2:TIDIG_COMP_CNT: 0
	.section	.text._ZN2at6native12_GLOBAL__N_16kernel18lstm_cell_backwardIN3c108BFloat16EfiLi1EEEvNS_4cuda6detail10TensorInfoIT_T1_EESB_SB_SB_SB_SB_SB_SA_SA_,"axG",@progbits,_ZN2at6native12_GLOBAL__N_16kernel18lstm_cell_backwardIN3c108BFloat16EfiLi1EEEvNS_4cuda6detail10TensorInfoIT_T1_EESB_SB_SB_SB_SB_SB_SA_SA_,comdat
	.globl	_ZN2at6native12_GLOBAL__N_16kernel18lstm_cell_backwardIN3c108BFloat16EfiLi1EEEvNS_4cuda6detail10TensorInfoIT_T1_EESB_SB_SB_SB_SB_SB_SA_SA_ ; -- Begin function _ZN2at6native12_GLOBAL__N_16kernel18lstm_cell_backwardIN3c108BFloat16EfiLi1EEEvNS_4cuda6detail10TensorInfoIT_T1_EESB_SB_SB_SB_SB_SB_SA_SA_
	.p2align	8
	.type	_ZN2at6native12_GLOBAL__N_16kernel18lstm_cell_backwardIN3c108BFloat16EfiLi1EEEvNS_4cuda6detail10TensorInfoIT_T1_EESB_SB_SB_SB_SB_SB_SA_SA_,@function
_ZN2at6native12_GLOBAL__N_16kernel18lstm_cell_backwardIN3c108BFloat16EfiLi1EEEvNS_4cuda6detail10TensorInfoIT_T1_EESB_SB_SB_SB_SB_SB_SA_SA_: ; @_ZN2at6native12_GLOBAL__N_16kernel18lstm_cell_backwardIN3c108BFloat16EfiLi1EEEvNS_4cuda6detail10TensorInfoIT_T1_EESB_SB_SB_SB_SB_SB_SA_SA_
; %bb.0:
	s_clause 0x1
	s_load_b32 s4, s[0:1], 0x5fc
	s_load_b64 s[2:3], s[0:1], 0x5e8
	s_wait_kmcnt 0x0
	s_and_b32 s23, s4, 0xffff
	s_mov_b32 s4, exec_lo
	v_mad_co_u64_u32 v[0:1], null, ttmp9, s23, v[0:1]
	s_delay_alu instid0(VALU_DEP_1)
	v_cmpx_gt_i32_e64 s3, v0
	s_cbranch_execz .LBB28_11
; %bb.1:
	s_clause 0x6
	s_load_b64 s[4:5], s[0:1], 0x360
	s_load_b64 s[6:7], s[0:1], 0x438
	s_load_b32 s25, s[0:1], 0x21c
	s_load_b32 s26, s[0:1], 0x2f4
	;; [unrolled: 1-line block ×5, first 2 shown]
	s_add_nc_u64 s[8:9], s[0:1], 0x5f0
	s_mul_i32 s22, s2, 3
	s_load_b32 s24, s[8:9], 0x0
	s_clause 0x2
	s_load_b64 s[8:9], s[0:1], 0x1b0
	s_load_b64 s[10:11], s[0:1], 0x288
	;; [unrolled: 1-line block ×3, first 2 shown]
	s_wait_kmcnt 0x0
	v_mul_lo_u32 v1, v0, s25
	s_cmp_lg_u64 s[4:5], 0
	v_mul_lo_u32 v3, v0, s26
	s_cselect_b32 s18, -1, 0
	s_cmp_lg_u64 s[6:7], 0
	v_mul_lo_u32 v5, v0, s27
	s_cselect_b32 s19, -1, 0
	s_abs_i32 s20, s2
	v_mul_lo_u32 v7, v0, s28
	s_cvt_f32_u32 s14, s20
	v_mul_lo_u32 v9, v0, s29
	s_sub_co_i32 s31, 0, s20
	s_mul_i32 s23, s24, s23
	v_rcp_iflag_f32_e32 v2, s14
	s_clause 0x3
	s_load_b64 s[14:15], s[0:1], 0x0
	s_load_b32 s21, s[0:1], 0x6c
	s_load_b64 s[16:17], s[0:1], 0xd8
	s_load_b32 s0, s[0:1], 0x144
	s_mov_b32 s1, 0
	s_ashr_i32 s24, s2, 31
	s_mul_i32 s25, s23, s25
	s_mul_i32 s26, s23, s26
	;; [unrolled: 1-line block ×5, first 2 shown]
	v_readfirstlane_b32 s30, v2
	s_mul_f32 s30, s30, 0x4f7ffffe
	s_delay_alu instid0(SALU_CYCLE_3) | instskip(NEXT) | instid1(SALU_CYCLE_3)
	s_cvt_u32_f32 s30, s30
	s_mul_i32 s31, s31, s30
	s_delay_alu instid0(SALU_CYCLE_1) | instskip(NEXT) | instid1(SALU_CYCLE_1)
	s_mul_hi_u32 s31, s30, s31
	s_add_co_i32 s30, s30, s31
	s_mov_b32 s31, 0xbbbac73d
	s_branch .LBB28_3
.LBB28_2:                               ;   in Loop: Header=BB28_3 Depth=1
	s_or_b32 exec_lo, exec_lo, s33
	v_lshlrev_b32_e32 v22, 16, v16
	s_delay_alu instid0(VALU_DEP_2)
	v_bfi_b32 v23, 0x7fffffff, v18, v10
	v_mul_lo_u32 v17, v17, s0
	v_mul_lo_u32 v19, v14, s0
	;; [unrolled: 1-line block ×3, first 2 shown]
	v_dual_mul_f32 v21, v8, v22 :: v_dual_lshlrev_b32 v12, 16, v12
	v_fma_f32 v24, -v23, v23, 1.0
	v_lshlrev_b32_e32 v4, 16, v4
	v_mul_lo_u32 v10, v11, s0
	v_ashrrev_i32_e32 v18, 31, v17
	v_ashrrev_i32_e32 v20, 31, v19
	v_dual_fmac_f32 v2, v21, v24 :: v_dual_lshlrev_b32 v15, 16, v15
	v_ashrrev_i32_e32 v14, 31, v13
	s_delay_alu instid0(VALU_DEP_4) | instskip(NEXT) | instid1(VALU_DEP_4)
	v_lshlrev_b64_e32 v[16:17], 1, v[17:18]
	v_lshlrev_b64_e32 v[18:19], 1, v[19:20]
	s_delay_alu instid0(VALU_DEP_4) | instskip(SKIP_3) | instid1(VALU_DEP_4)
	v_dual_mul_f32 v20, v2, v15 :: v_dual_lshlrev_b32 v21, 16, v6
	v_ashrrev_i32_e32 v6, 31, v5
	v_lshlrev_b64_e32 v[13:14], 1, v[13:14]
	v_ashrrev_i32_e32 v11, 31, v10
	v_dual_mul_f32 v21, v2, v21 :: v_dual_sub_f32 v24, 1.0, v12
	v_fma_f32 v15, -v15, v15, 1.0
	v_add_nc_u32_e32 v1, s25, v1
	v_add_nc_u32_e32 v3, s26, v3
	v_add_co_u32 v13, vcc_lo, s16, v13
	v_mul_f32_e32 v24, v24, v20
	v_sub_f32_e32 v20, 1.0, v4
	v_lshlrev_b64_e32 v[10:11], 1, v[10:11]
	s_wait_alu 0xfffd
	v_add_co_ci_u32_e64 v14, null, s17, v14, vcc_lo
	v_add_co_u32 v16, vcc_lo, s16, v16
	v_mul_f32_e32 v25, v20, v21
	v_lshlrev_b64_e32 v[20:21], 1, v[5:6]
	v_mul_f32_e32 v6, v8, v23
	v_dual_mul_f32 v8, v24, v12 :: v_dual_add_nc_u32 v5, s27, v5
	v_dual_mul_f32 v12, v2, v12 :: v_dual_add_nc_u32 v7, s28, v7
	v_dual_mul_f32 v23, v25, v4 :: v_dual_sub_f32 v24, 1.0, v22
	v_add_nc_u32_e32 v9, s29, v9
	s_delay_alu instid0(VALU_DEP_4) | instskip(SKIP_3) | instid1(VALU_DEP_3)
	v_bfe_u32 v25, v8, 16, 1
	s_wait_alu 0xfffd
	v_add_co_ci_u32_e64 v17, null, s17, v17, vcc_lo
	v_add_co_u32 v18, vcc_lo, s16, v18
	v_add3_u32 v25, v8, v25, 0x7fff
	v_bfe_u32 v26, v23, 16, 1
	v_mul_f32_e32 v6, v24, v6
	v_mul_f32_e32 v12, v15, v12
	s_wait_alu 0xfffd
	v_add_co_ci_u32_e64 v19, null, s17, v19, vcc_lo
	v_add_co_u32 v10, vcc_lo, s16, v10
	s_wait_alu 0xfffd
	v_add_co_ci_u32_e64 v11, null, s17, v11, vcc_lo
	v_add_co_u32 v20, vcc_lo, s12, v20
	s_wait_alu 0xfffd
	v_add_co_ci_u32_e64 v21, null, s13, v21, vcc_lo
	v_mul_f32_e32 v2, v2, v4
	v_lshrrev_b32_e32 v4, 16, v25
	v_add3_u32 v15, v23, v26, 0x7fff
	v_mul_f32_e32 v6, v6, v22
	v_bfe_u32 v22, v12, 16, 1
	v_cmp_o_f32_e32 vcc_lo, v8, v8
	v_bfe_u32 v24, v2, 16, 1
	v_lshrrev_b32_e32 v8, 16, v15
	v_bfe_u32 v15, v6, 16, 1
	v_add3_u32 v22, v12, v22, 0x7fff
	s_wait_alu 0xfffd
	v_cndmask_b32_e32 v4, 0x7fc0, v4, vcc_lo
	v_cmp_o_f32_e32 vcc_lo, v23, v23
	v_add_nc_u32_e32 v0, s23, v0
	v_add3_u32 v15, v6, v15, 0x7fff
	global_store_b16 v[13:14], v4, off
	s_wait_alu 0xfffd
	v_cndmask_b32_e32 v8, 0x7fc0, v8, vcc_lo
	v_lshrrev_b32_e32 v4, 16, v22
	v_cmp_o_f32_e32 vcc_lo, v12, v12
	v_add3_u32 v13, v2, v24, 0x7fff
	global_store_b16 v[16:17], v8, off
	v_lshrrev_b32_e32 v8, 16, v15
	s_wait_alu 0xfffd
	v_cndmask_b32_e32 v4, 0x7fc0, v4, vcc_lo
	v_cmp_o_f32_e32 vcc_lo, v6, v6
	v_lshrrev_b32_e32 v12, 16, v13
	global_store_b16 v[18:19], v4, off
	s_wait_alu 0xfffd
	v_cndmask_b32_e32 v6, 0x7fc0, v8, vcc_lo
	v_cmp_o_f32_e32 vcc_lo, v2, v2
	s_wait_alu 0xfffd
	v_cndmask_b32_e32 v2, 0x7fc0, v12, vcc_lo
	v_cmp_le_i32_e32 vcc_lo, s3, v0
	global_store_b16 v[10:11], v6, off
	global_store_b16 v[20:21], v2, off
	s_or_b32 s1, vcc_lo, s1
	s_wait_alu 0xfffe
	s_and_not1_b32 exec_lo, exec_lo, s1
	s_cbranch_execz .LBB28_11
.LBB28_3:                               ; =>This Inner Loop Header: Depth=1
	v_sub_nc_u32_e32 v2, 0, v0
	s_delay_alu instid0(VALU_DEP_1) | instskip(NEXT) | instid1(VALU_DEP_1)
	v_max_i32_e32 v2, v0, v2
	v_mul_hi_u32 v4, v2, s30
	s_delay_alu instid0(VALU_DEP_1) | instskip(NEXT) | instid1(VALU_DEP_1)
	v_mul_lo_u32 v6, v4, s20
	v_sub_nc_u32_e32 v2, v2, v6
	v_add_nc_u32_e32 v6, 1, v4
	s_delay_alu instid0(VALU_DEP_2) | instskip(SKIP_2) | instid1(VALU_DEP_3)
	v_subrev_nc_u32_e32 v8, s20, v2
	v_cmp_le_u32_e32 vcc_lo, s20, v2
	s_wait_alu 0xfffd
	v_cndmask_b32_e32 v4, v4, v6, vcc_lo
	s_delay_alu instid0(VALU_DEP_3) | instskip(SKIP_1) | instid1(VALU_DEP_3)
	v_cndmask_b32_e32 v2, v2, v8, vcc_lo
	v_ashrrev_i32_e32 v6, 31, v0
	v_add_nc_u32_e32 v8, 1, v4
	s_delay_alu instid0(VALU_DEP_3) | instskip(SKIP_1) | instid1(VALU_DEP_3)
	v_cmp_le_u32_e32 vcc_lo, s20, v2
	s_wait_alu 0xfffe
	v_xor_b32_e32 v6, s24, v6
	s_wait_alu 0xfffd
	v_cndmask_b32_e32 v2, v4, v8, vcc_lo
	s_delay_alu instid0(VALU_DEP_2) | instskip(NEXT) | instid1(VALU_DEP_2)
	v_mul_i32_i24_e32 v4, 3, v6
	v_xor_b32_e32 v2, v2, v6
	s_delay_alu instid0(VALU_DEP_1) | instskip(SKIP_1) | instid1(VALU_DEP_2)
	v_lshl_add_u32 v8, v2, 1, v2
	v_sub_nc_u32_e32 v2, v2, v6
	v_sub_nc_u32_e32 v6, v8, v4
	s_delay_alu instid0(VALU_DEP_2) | instskip(SKIP_2) | instid1(VALU_DEP_4)
	v_mad_co_u64_u32 v[13:14], null, s22, v2, v[0:1]
	v_ashrrev_i32_e32 v2, 31, v1
	v_ashrrev_i32_e32 v4, 31, v3
	v_mul_lo_u32 v8, s2, v6
	s_delay_alu instid0(VALU_DEP_3) | instskip(SKIP_1) | instid1(VALU_DEP_4)
	v_lshlrev_b64_e32 v[18:19], 1, v[1:2]
	v_add_nc_u32_e32 v2, 2, v6
	v_lshlrev_b64_e32 v[22:23], 1, v[3:4]
	v_add_nc_u32_e32 v4, 3, v6
	s_wait_kmcnt 0x0
	v_mul_lo_u32 v20, v13, s21
	v_add3_u32 v17, v8, s2, v0
	v_mad_co_u64_u32 v[14:15], null, s2, v2, v[0:1]
	v_mad_co_u64_u32 v[11:12], null, s2, v4, v[0:1]
	s_delay_alu instid0(VALU_DEP_3)
	v_mul_lo_u32 v15, v17, s21
	v_add_co_u32 v18, vcc_lo, s8, v18
	v_ashrrev_i32_e32 v21, 31, v20
	v_mul_lo_u32 v24, v14, s21
	s_wait_alu 0xfffd
	v_add_co_ci_u32_e64 v19, null, s9, v19, vcc_lo
	v_mul_lo_u32 v26, v11, s21
	v_ashrrev_i32_e32 v16, 31, v15
	v_lshlrev_b64_e32 v[20:21], 1, v[20:21]
	v_add_co_u32 v22, vcc_lo, s10, v22
	v_ashrrev_i32_e32 v25, 31, v24
	s_delay_alu instid0(VALU_DEP_4)
	v_lshlrev_b64_e32 v[15:16], 1, v[15:16]
	s_wait_alu 0xfffd
	v_add_co_ci_u32_e64 v23, null, s11, v23, vcc_lo
	v_ashrrev_i32_e32 v27, 31, v26
	v_lshlrev_b64_e32 v[24:25], 1, v[24:25]
	v_add_co_u32 v20, vcc_lo, s14, v20
	s_wait_alu 0xfffd
	v_add_co_ci_u32_e64 v21, null, s15, v21, vcc_lo
	v_lshlrev_b64_e32 v[26:27], 1, v[26:27]
	v_add_co_u32 v15, vcc_lo, s14, v15
	s_wait_alu 0xfffd
	v_add_co_ci_u32_e64 v16, null, s15, v16, vcc_lo
	v_add_co_u32 v24, vcc_lo, s14, v24
	s_wait_alu 0xfffd
	v_add_co_ci_u32_e64 v25, null, s15, v25, vcc_lo
	;; [unrolled: 3-line block ×3, first 2 shown]
	global_load_u16 v6, v[18:19], off
	s_clause 0x3
	global_load_u16 v12, v[20:21], off
	global_load_u16 v4, v[15:16], off
	;; [unrolled: 1-line block ×5, first 2 shown]
	v_mov_b32_e32 v2, 0
	v_mov_b32_e32 v8, 0
	s_and_not1_b32 vcc_lo, exec_lo, s18
	s_wait_alu 0xfffe
	s_cbranch_vccnz .LBB28_5
; %bb.4:                                ;   in Loop: Header=BB28_3 Depth=1
	v_ashrrev_i32_e32 v8, 31, v7
	s_delay_alu instid0(VALU_DEP_1) | instskip(NEXT) | instid1(VALU_DEP_1)
	v_lshlrev_b64_e32 v[19:20], 1, v[7:8]
	v_add_co_u32 v19, vcc_lo, s4, v19
	s_wait_alu 0xfffd
	s_delay_alu instid0(VALU_DEP_2)
	v_add_co_ci_u32_e64 v20, null, s5, v20, vcc_lo
	global_load_u16 v8, v[19:20], off
	s_wait_loadcnt 0x0
	v_lshlrev_b32_e32 v8, 16, v8
.LBB28_5:                               ;   in Loop: Header=BB28_3 Depth=1
	s_and_not1_b32 vcc_lo, exec_lo, s19
	s_wait_alu 0xfffe
	s_cbranch_vccnz .LBB28_7
; %bb.6:                                ;   in Loop: Header=BB28_3 Depth=1
	v_ashrrev_i32_e32 v10, 31, v9
	s_delay_alu instid0(VALU_DEP_1) | instskip(NEXT) | instid1(VALU_DEP_1)
	v_lshlrev_b64_e32 v[19:20], 1, v[9:10]
	v_add_co_u32 v19, vcc_lo, s6, v19
	s_wait_alu 0xfffd
	s_delay_alu instid0(VALU_DEP_2)
	v_add_co_ci_u32_e64 v20, null, s7, v20, vcc_lo
	global_load_u16 v2, v[19:20], off
	s_wait_loadcnt 0x0
	v_lshlrev_b32_e32 v2, 16, v2
.LBB28_7:                               ;   in Loop: Header=BB28_3 Depth=1
	s_wait_loadcnt 0x0
	v_lshlrev_b32_e32 v10, 16, v18
                                        ; implicit-def: $vgpr18
	s_delay_alu instid0(VALU_DEP_1) | instskip(SKIP_1) | instid1(SALU_CYCLE_1)
	v_cmp_ngt_f32_e64 s33, 0x3f200000, |v10|
	s_and_saveexec_b32 s34, s33
	s_xor_b32 s33, exec_lo, s34
	s_cbranch_execz .LBB28_9
; %bb.8:                                ;   in Loop: Header=BB28_3 Depth=1
	v_add_f32_e64 v18, |v10|, |v10|
	s_delay_alu instid0(VALU_DEP_1) | instskip(SKIP_1) | instid1(VALU_DEP_2)
	v_mul_f32_e32 v19, 0x3fb8aa3b, v18
	v_cmp_ngt_f32_e32 vcc_lo, 0xc2ce8ed0, v18
	v_rndne_f32_e32 v20, v19
	v_fma_f32 v21, 0x3fb8aa3b, v18, -v19
	s_delay_alu instid0(VALU_DEP_2) | instskip(NEXT) | instid1(VALU_DEP_2)
	v_sub_f32_e32 v19, v19, v20
	v_fmac_f32_e32 v21, 0x32a5705f, v18
	v_cvt_i32_f32_e32 v20, v20
	s_delay_alu instid0(VALU_DEP_2) | instskip(NEXT) | instid1(VALU_DEP_1)
	v_add_f32_e32 v19, v19, v21
	v_exp_f32_e32 v19, v19
	s_delay_alu instid0(TRANS32_DEP_1) | instskip(SKIP_1) | instid1(VALU_DEP_1)
	v_ldexp_f32 v19, v19, v20
	s_wait_alu 0xfffd
	v_cndmask_b32_e32 v19, 0, v19, vcc_lo
	v_cmp_nlt_f32_e32 vcc_lo, 0x42b17218, v18
	s_wait_alu 0xfffd
	s_delay_alu instid0(VALU_DEP_2) | instskip(NEXT) | instid1(VALU_DEP_1)
	v_cndmask_b32_e32 v18, 0x7f800000, v19, vcc_lo
	v_add_f32_e32 v18, 1.0, v18
	s_delay_alu instid0(VALU_DEP_1) | instskip(NEXT) | instid1(TRANS32_DEP_1)
	v_rcp_f32_e32 v18, v18
	v_fma_f32 v18, v18, -2.0, 1.0
.LBB28_9:                               ;   in Loop: Header=BB28_3 Depth=1
	s_and_not1_saveexec_b32 s33, s33
	s_cbranch_execz .LBB28_2
; %bb.10:                               ;   in Loop: Header=BB28_3 Depth=1
	v_mul_f32_e32 v18, v10, v10
	s_delay_alu instid0(VALU_DEP_1) | instskip(NEXT) | instid1(VALU_DEP_1)
	v_fmaak_f32 v19, s31, v18, 0x3ca908c9
	v_fmaak_f32 v19, v18, v19, 0xbd5c1c4e
	s_delay_alu instid0(VALU_DEP_1) | instskip(NEXT) | instid1(VALU_DEP_1)
	v_fmaak_f32 v19, v18, v19, 0x3e088382
	v_fmaak_f32 v19, v18, v19, 0xbeaaaa99
	s_delay_alu instid0(VALU_DEP_1) | instskip(NEXT) | instid1(VALU_DEP_1)
	v_mul_f32_e64 v19, |v10|, v19
	v_fma_f32 v18, v18, v19, |v10|
	s_branch .LBB28_2
.LBB28_11:
	s_endpgm
	.section	.rodata,"a",@progbits
	.p2align	6, 0x0
	.amdhsa_kernel _ZN2at6native12_GLOBAL__N_16kernel18lstm_cell_backwardIN3c108BFloat16EfiLi1EEEvNS_4cuda6detail10TensorInfoIT_T1_EESB_SB_SB_SB_SB_SB_SA_SA_
		.amdhsa_group_segment_fixed_size 0
		.amdhsa_private_segment_fixed_size 0
		.amdhsa_kernarg_size 1776
		.amdhsa_user_sgpr_count 2
		.amdhsa_user_sgpr_dispatch_ptr 0
		.amdhsa_user_sgpr_queue_ptr 0
		.amdhsa_user_sgpr_kernarg_segment_ptr 1
		.amdhsa_user_sgpr_dispatch_id 0
		.amdhsa_user_sgpr_private_segment_size 0
		.amdhsa_wavefront_size32 1
		.amdhsa_uses_dynamic_stack 0
		.amdhsa_enable_private_segment 0
		.amdhsa_system_sgpr_workgroup_id_x 1
		.amdhsa_system_sgpr_workgroup_id_y 0
		.amdhsa_system_sgpr_workgroup_id_z 0
		.amdhsa_system_sgpr_workgroup_info 0
		.amdhsa_system_vgpr_workitem_id 0
		.amdhsa_next_free_vgpr 28
		.amdhsa_next_free_sgpr 35
		.amdhsa_reserve_vcc 1
		.amdhsa_float_round_mode_32 0
		.amdhsa_float_round_mode_16_64 0
		.amdhsa_float_denorm_mode_32 3
		.amdhsa_float_denorm_mode_16_64 3
		.amdhsa_fp16_overflow 0
		.amdhsa_workgroup_processor_mode 1
		.amdhsa_memory_ordered 1
		.amdhsa_forward_progress 1
		.amdhsa_inst_pref_size 15
		.amdhsa_round_robin_scheduling 0
		.amdhsa_exception_fp_ieee_invalid_op 0
		.amdhsa_exception_fp_denorm_src 0
		.amdhsa_exception_fp_ieee_div_zero 0
		.amdhsa_exception_fp_ieee_overflow 0
		.amdhsa_exception_fp_ieee_underflow 0
		.amdhsa_exception_fp_ieee_inexact 0
		.amdhsa_exception_int_div_zero 0
	.end_amdhsa_kernel
	.section	.text._ZN2at6native12_GLOBAL__N_16kernel18lstm_cell_backwardIN3c108BFloat16EfiLi1EEEvNS_4cuda6detail10TensorInfoIT_T1_EESB_SB_SB_SB_SB_SB_SA_SA_,"axG",@progbits,_ZN2at6native12_GLOBAL__N_16kernel18lstm_cell_backwardIN3c108BFloat16EfiLi1EEEvNS_4cuda6detail10TensorInfoIT_T1_EESB_SB_SB_SB_SB_SB_SA_SA_,comdat
.Lfunc_end28:
	.size	_ZN2at6native12_GLOBAL__N_16kernel18lstm_cell_backwardIN3c108BFloat16EfiLi1EEEvNS_4cuda6detail10TensorInfoIT_T1_EESB_SB_SB_SB_SB_SB_SA_SA_, .Lfunc_end28-_ZN2at6native12_GLOBAL__N_16kernel18lstm_cell_backwardIN3c108BFloat16EfiLi1EEEvNS_4cuda6detail10TensorInfoIT_T1_EESB_SB_SB_SB_SB_SB_SA_SA_
                                        ; -- End function
	.set _ZN2at6native12_GLOBAL__N_16kernel18lstm_cell_backwardIN3c108BFloat16EfiLi1EEEvNS_4cuda6detail10TensorInfoIT_T1_EESB_SB_SB_SB_SB_SB_SA_SA_.num_vgpr, 28
	.set _ZN2at6native12_GLOBAL__N_16kernel18lstm_cell_backwardIN3c108BFloat16EfiLi1EEEvNS_4cuda6detail10TensorInfoIT_T1_EESB_SB_SB_SB_SB_SB_SA_SA_.num_agpr, 0
	.set _ZN2at6native12_GLOBAL__N_16kernel18lstm_cell_backwardIN3c108BFloat16EfiLi1EEEvNS_4cuda6detail10TensorInfoIT_T1_EESB_SB_SB_SB_SB_SB_SA_SA_.numbered_sgpr, 35
	.set _ZN2at6native12_GLOBAL__N_16kernel18lstm_cell_backwardIN3c108BFloat16EfiLi1EEEvNS_4cuda6detail10TensorInfoIT_T1_EESB_SB_SB_SB_SB_SB_SA_SA_.num_named_barrier, 0
	.set _ZN2at6native12_GLOBAL__N_16kernel18lstm_cell_backwardIN3c108BFloat16EfiLi1EEEvNS_4cuda6detail10TensorInfoIT_T1_EESB_SB_SB_SB_SB_SB_SA_SA_.private_seg_size, 0
	.set _ZN2at6native12_GLOBAL__N_16kernel18lstm_cell_backwardIN3c108BFloat16EfiLi1EEEvNS_4cuda6detail10TensorInfoIT_T1_EESB_SB_SB_SB_SB_SB_SA_SA_.uses_vcc, 1
	.set _ZN2at6native12_GLOBAL__N_16kernel18lstm_cell_backwardIN3c108BFloat16EfiLi1EEEvNS_4cuda6detail10TensorInfoIT_T1_EESB_SB_SB_SB_SB_SB_SA_SA_.uses_flat_scratch, 0
	.set _ZN2at6native12_GLOBAL__N_16kernel18lstm_cell_backwardIN3c108BFloat16EfiLi1EEEvNS_4cuda6detail10TensorInfoIT_T1_EESB_SB_SB_SB_SB_SB_SA_SA_.has_dyn_sized_stack, 0
	.set _ZN2at6native12_GLOBAL__N_16kernel18lstm_cell_backwardIN3c108BFloat16EfiLi1EEEvNS_4cuda6detail10TensorInfoIT_T1_EESB_SB_SB_SB_SB_SB_SA_SA_.has_recursion, 0
	.set _ZN2at6native12_GLOBAL__N_16kernel18lstm_cell_backwardIN3c108BFloat16EfiLi1EEEvNS_4cuda6detail10TensorInfoIT_T1_EESB_SB_SB_SB_SB_SB_SA_SA_.has_indirect_call, 0
	.section	.AMDGPU.csdata,"",@progbits
; Kernel info:
; codeLenInByte = 1848
; TotalNumSgprs: 37
; NumVgprs: 28
; ScratchSize: 0
; MemoryBound: 0
; FloatMode: 240
; IeeeMode: 1
; LDSByteSize: 0 bytes/workgroup (compile time only)
; SGPRBlocks: 0
; VGPRBlocks: 3
; NumSGPRsForWavesPerEU: 37
; NumVGPRsForWavesPerEU: 28
; Occupancy: 16
; WaveLimiterHint : 1
; COMPUTE_PGM_RSRC2:SCRATCH_EN: 0
; COMPUTE_PGM_RSRC2:USER_SGPR: 2
; COMPUTE_PGM_RSRC2:TRAP_HANDLER: 0
; COMPUTE_PGM_RSRC2:TGID_X_EN: 1
; COMPUTE_PGM_RSRC2:TGID_Y_EN: 0
; COMPUTE_PGM_RSRC2:TGID_Z_EN: 0
; COMPUTE_PGM_RSRC2:TIDIG_COMP_CNT: 0
	.section	.text._ZN2at6native12_GLOBAL__N_16kernel18lstm_cell_backwardIN3c108BFloat16EfiLi2EEEvNS_4cuda6detail10TensorInfoIT_T1_EESB_SB_SB_SB_SB_SB_SA_SA_,"axG",@progbits,_ZN2at6native12_GLOBAL__N_16kernel18lstm_cell_backwardIN3c108BFloat16EfiLi2EEEvNS_4cuda6detail10TensorInfoIT_T1_EESB_SB_SB_SB_SB_SB_SA_SA_,comdat
	.globl	_ZN2at6native12_GLOBAL__N_16kernel18lstm_cell_backwardIN3c108BFloat16EfiLi2EEEvNS_4cuda6detail10TensorInfoIT_T1_EESB_SB_SB_SB_SB_SB_SA_SA_ ; -- Begin function _ZN2at6native12_GLOBAL__N_16kernel18lstm_cell_backwardIN3c108BFloat16EfiLi2EEEvNS_4cuda6detail10TensorInfoIT_T1_EESB_SB_SB_SB_SB_SB_SA_SA_
	.p2align	8
	.type	_ZN2at6native12_GLOBAL__N_16kernel18lstm_cell_backwardIN3c108BFloat16EfiLi2EEEvNS_4cuda6detail10TensorInfoIT_T1_EESB_SB_SB_SB_SB_SB_SA_SA_,@function
_ZN2at6native12_GLOBAL__N_16kernel18lstm_cell_backwardIN3c108BFloat16EfiLi2EEEvNS_4cuda6detail10TensorInfoIT_T1_EESB_SB_SB_SB_SB_SB_SA_SA_: ; @_ZN2at6native12_GLOBAL__N_16kernel18lstm_cell_backwardIN3c108BFloat16EfiLi2EEEvNS_4cuda6detail10TensorInfoIT_T1_EESB_SB_SB_SB_SB_SB_SA_SA_
; %bb.0:
	s_clause 0x1
	s_load_b32 s4, s[0:1], 0x5fc
	s_load_b64 s[2:3], s[0:1], 0x5e8
	s_wait_kmcnt 0x0
	s_and_b32 s41, s4, 0xffff
	s_mov_b32 s4, exec_lo
	v_mad_co_u64_u32 v[0:1], null, ttmp9, s41, v[0:1]
	s_delay_alu instid0(VALU_DEP_1)
	v_cmpx_gt_i32_e64 s3, v0
	s_cbranch_execz .LBB29_12
; %bb.1:
	s_clause 0xb
	s_load_b64 s[4:5], s[0:1], 0x360
	s_load_b64 s[6:7], s[0:1], 0x438
	s_load_b32 s33, s[0:1], 0xc
	s_load_b32 s67, s[0:1], 0x36c
	s_load_b64 s[8:9], s[0:1], 0x3cc
	s_load_b32 s34, s[0:1], 0xe4
	s_load_b64 s[10:11], s[0:1], 0x0
	s_load_b64 s[12:13], s[0:1], 0x6c
	;; [unrolled: 1-line block ×5, first 2 shown]
	s_load_b32 s64, s[0:1], 0x1bc
	s_add_nc_u64 s[20:21], s[0:1], 0x5f0
	s_load_b64 s[30:31], s[0:1], 0x57c
	s_load_b32 s42, s[20:21], 0x0
	s_clause 0x3
	s_load_b64 s[20:21], s[0:1], 0x21c
	s_load_b64 s[22:23], s[0:1], 0x288
	s_load_b32 s65, s[0:1], 0x294
	s_load_b64 s[24:25], s[0:1], 0x2f4
	s_mov_b32 s40, 0
	s_mul_i32 s63, s2, 3
	s_mov_b32 s69, 0xbbbac73d
	s_wait_kmcnt 0x0
	s_cmp_lg_u64 s[4:5], 0
	s_cselect_b32 s35, -1, 0
	s_cmp_lg_u64 s[6:7], 0
	s_cselect_b32 s36, -1, 0
	s_abs_i32 s37, s2
	s_abs_i32 s38, s33
	s_cvt_f32_u32 s26, s37
	s_cvt_f32_u32 s27, s38
	s_abs_i32 s39, s34
	s_abs_i32 s44, s64
	v_rcp_iflag_f32_e32 v1, s26
	v_rcp_iflag_f32_e32 v2, s27
	s_cvt_f32_u32 s43, s39
	s_clause 0x3
	s_load_b32 s68, s[0:1], 0x444
	s_load_b64 s[26:27], s[0:1], 0x4a4
	s_load_b64 s[28:29], s[0:1], 0x510
	s_load_b32 s66, s[0:1], 0x51c
	s_cvt_f32_u32 s46, s44
	s_sub_co_i32 s45, 0, s37
	v_rcp_iflag_f32_e32 v3, s43
	s_sub_co_i32 s48, 0, s38
	s_sub_co_i32 s50, 0, s39
	s_abs_i32 s53, s67
	v_readfirstlane_b32 s0, v1
	v_readfirstlane_b32 s1, v2
	v_rcp_iflag_f32_e32 v1, s46
	s_sub_co_i32 s60, 0, s53
	s_mul_i32 s41, s42, s41
	s_mul_f32 s0, s0, 0x4f7ffffe
	v_readfirstlane_b32 s47, v3
	s_mul_f32 s1, s1, 0x4f7ffffe
	s_ashr_i32 s42, s2, 31
	s_wait_alu 0xfffe
	s_cvt_u32_f32 s0, s0
	s_ashr_i32 s43, s33, 31
	s_cvt_u32_f32 s1, s1
	s_mul_f32 s47, s47, 0x4f7ffffe
	s_wait_alu 0xfffe
	s_mul_i32 s45, s45, s0
	s_delay_alu instid0(SALU_CYCLE_1)
	s_mul_hi_u32 s45, s0, s45
	s_mul_i32 s48, s48, s1
	s_add_co_i32 s45, s0, s45
	s_cvt_u32_f32 s0, s47
	s_abs_i32 s47, s65
	s_mul_hi_u32 s46, s1, s48
	s_wait_alu 0xfffe
	s_cvt_f32_u32 s49, s47
	s_add_co_i32 s46, s1, s46
	v_readfirstlane_b32 s1, v1
	s_mul_i32 s50, s50, s0
	v_rcp_iflag_f32_e32 v1, s49
	s_wait_kmcnt 0x0
	s_abs_i32 s49, s66
	s_mul_hi_u32 s50, s0, s50
	s_mul_f32 s1, s1, 0x4f7ffffe
	s_wait_alu 0xfffe
	s_cvt_f32_u32 s51, s49
	s_add_co_i32 s50, s0, s50
	s_sub_co_i32 s0, 0, s44
	s_cvt_u32_f32 s1, s1
	v_rcp_iflag_f32_e32 v2, s51
	s_sub_co_i32 s57, 0, s49
	v_readfirstlane_b32 s54, v1
	s_wait_alu 0xfffe
	s_mul_i32 s0, s0, s1
	s_ashr_i32 s48, s34, 31
	s_wait_alu 0xfffe
	s_mul_hi_u32 s0, s1, s0
	s_ashr_i32 s51, s64, 31
	s_wait_alu 0xfffe
	s_add_co_i32 s52, s1, s0
	s_mul_f32 s0, s54, 0x4f7ffffe
	s_cvt_f32_u32 s1, s53
	s_abs_i32 s54, s68
	v_readfirstlane_b32 s55, v2
	s_cvt_f32_u32 s56, s54
	s_wait_alu 0xfffe
	v_rcp_iflag_f32_e32 v1, s1
	s_cvt_u32_f32 s0, s0
	s_sub_co_i32 s1, 0, s47
	v_rcp_iflag_f32_e32 v2, s56
	s_mul_f32 s56, s55, 0x4f7ffffe
	s_wait_alu 0xfffe
	s_mul_i32 s1, s1, s0
	s_sub_co_i32 s61, 0, s54
	s_wait_alu 0xfffe
	s_mul_hi_u32 s1, s0, s1
	s_cvt_u32_f32 s58, s56
	s_wait_alu 0xfffe
	s_add_co_i32 s56, s0, s1
	v_readfirstlane_b32 s59, v1
	s_ashr_i32 s55, s65, 31
	s_mul_i32 s57, s57, s58
	v_readfirstlane_b32 s0, v2
	s_wait_alu 0xfffe
	s_mul_hi_u32 s1, s58, s57
	s_mul_f32 s59, s59, 0x4f7ffffe
	s_wait_alu 0xfffe
	s_add_co_i32 s58, s58, s1
	s_ashr_i32 s57, s66, 31
	s_mul_f32 s0, s0, 0x4f7ffffe
	s_cvt_u32_f32 s1, s59
	s_ashr_i32 s59, s67, 31
	s_sub_co_i32 s64, 0, s64
	s_wait_alu 0xfffe
	s_cvt_u32_f32 s0, s0
	s_mul_i32 s60, s60, s1
	s_sub_co_i32 s65, 0, s65
	s_mul_hi_u32 s60, s1, s60
	s_wait_alu 0xfffe
	s_mul_i32 s61, s61, s0
	s_add_co_i32 s60, s1, s60
	s_mul_hi_u32 s1, s0, s61
	s_ashr_i32 s61, s68, 31
	s_wait_alu 0xfffe
	s_add_co_i32 s62, s0, s1
	s_sub_co_i32 s66, 0, s66
	s_sub_co_i32 s67, 0, s67
	;; [unrolled: 1-line block ×3, first 2 shown]
	s_branch .LBB29_3
.LBB29_2:                               ;   in Loop: Header=BB29_3 Depth=1
	s_wait_alu 0xfffe
	s_or_b32 exec_lo, exec_lo, s0
	v_mul_hi_u32 v24, v7, s50
	v_mul_hi_u32 v25, v8, s50
	;; [unrolled: 1-line block ×5, first 2 shown]
	v_xor_b32_e32 v21, s48, v21
	v_xor_b32_e32 v20, s48, v20
	v_lshlrev_b32_e32 v14, 16, v14
	v_mul_lo_u32 v26, v24, s39
	v_mul_lo_u32 v31, v25, s39
	v_xor_b32_e32 v19, s48, v19
	v_mul_lo_u32 v34, v28, s39
	v_lshlrev_b32_e32 v13, 16, v13
	v_lshlrev_b32_e32 v12, 16, v12
	v_xor_b32_e32 v17, s48, v17
	v_sub_nc_u32_e32 v7, v7, v26
	v_mul_lo_u32 v26, v27, s39
	v_sub_nc_u32_e32 v8, v8, v31
	v_sub_nc_u32_e32 v10, v10, v34
	s_delay_alu instid0(VALU_DEP_4)
	v_subrev_nc_u32_e32 v36, s39, v7
	v_cmp_le_u32_e32 vcc_lo, s39, v7
	v_add_nc_u32_e32 v33, 1, v27
	v_add_nc_u32_e32 v30, 1, v24
	;; [unrolled: 1-line block ×3, first 2 shown]
	v_subrev_nc_u32_e32 v31, s39, v8
	s_wait_alu 0xfffd
	v_cndmask_b32_e32 v7, v7, v36, vcc_lo
	v_sub_nc_u32_e32 v11, v11, v26
	v_cndmask_b32_e32 v24, v24, v30, vcc_lo
	v_cmp_le_u32_e32 vcc_lo, s39, v8
	v_add_nc_u32_e32 v35, 1, v28
	v_cmp_le_u32_e64 s0, s39, v7
	v_mul_lo_u32 v30, v29, s49
	v_add_nc_u32_e32 v26, 1, v24
	s_wait_alu 0xfffd
	v_dual_cndmask_b32 v8, v8, v31 :: v_dual_cndmask_b32 v25, v25, v32
	v_cmp_le_u32_e32 vcc_lo, s39, v11
	s_wait_alu 0xf1ff
	v_cndmask_b32_e64 v7, v24, v26, s0
	v_subrev_nc_u32_e32 v24, s39, v11
	v_add_nc_u32_e32 v26, 1, v25
	v_cmp_le_u32_e64 s0, s39, v8
	s_wait_alu 0xfffd
	v_cndmask_b32_e32 v27, v27, v33, vcc_lo
	v_xor_b32_e32 v7, v7, v21
	v_cndmask_b32_e32 v11, v11, v24, vcc_lo
	v_cmp_le_u32_e32 vcc_lo, s39, v10
	s_wait_alu 0xf1ff
	v_cndmask_b32_e64 v8, v25, v26, s0
	v_sub_nc_u32_e32 v3, v3, v30
	v_sub_nc_u32_e32 v7, v7, v21
	v_cmp_le_u32_e64 s0, s39, v11
	v_add_nc_u32_e32 v25, 1, v29
	v_xor_b32_e32 v8, v8, v20
	s_delay_alu instid0(VALU_DEP_4) | instskip(NEXT) | instid1(VALU_DEP_2)
	v_mul_lo_u32 v24, v7, s34
	v_sub_nc_u32_e32 v8, v8, v20
	s_wait_alu 0xfffd
	v_cndmask_b32_e32 v20, v28, v35, vcc_lo
	s_delay_alu instid0(VALU_DEP_3) | instskip(NEXT) | instid1(VALU_DEP_2)
	v_sub_nc_u32_e32 v6, v6, v24
	v_add_nc_u32_e32 v24, 1, v20
	v_add_nc_u32_e32 v21, 1, v27
	s_delay_alu instid0(VALU_DEP_3) | instskip(SKIP_1) | instid1(VALU_DEP_2)
	v_add_nc_u32_e32 v6, v0, v6
	s_wait_alu 0xf1ff
	v_cndmask_b32_e64 v11, v27, v21, s0
	v_subrev_nc_u32_e32 v21, s39, v10
	s_delay_alu instid0(VALU_DEP_2) | instskip(NEXT) | instid1(VALU_DEP_2)
	v_xor_b32_e32 v11, v11, v19
	v_cndmask_b32_e32 v10, v10, v21, vcc_lo
	v_mul_lo_u32 v21, v8, s34
	s_delay_alu instid0(VALU_DEP_3) | instskip(NEXT) | instid1(VALU_DEP_3)
	v_sub_nc_u32_e32 v11, v11, v19
	v_cmp_le_u32_e32 vcc_lo, s39, v10
	s_delay_alu instid0(VALU_DEP_2)
	v_mul_lo_u32 v19, v11, s34
	s_wait_alu 0xfffd
	v_cndmask_b32_e32 v10, v20, v24, vcc_lo
	v_sub_nc_u32_e32 v20, v1, v21
	v_mul_lo_u32 v1, v6, s17
	v_cmp_le_u32_e32 vcc_lo, s49, v3
	v_subrev_nc_u32_e32 v24, s49, v3
	v_xor_b32_e32 v10, v10, v17
	v_add_nc_u32_e32 v20, v0, v20
	v_sub_nc_u32_e32 v19, v5, v19
	s_wait_alu 0xfffd
	v_cndmask_b32_e32 v21, v29, v25, vcc_lo
	v_cndmask_b32_e32 v3, v3, v24, vcc_lo
	v_mad_co_u64_u32 v[5:6], null, v7, s16, v[1:2]
	v_mul_lo_u32 v1, v20, s17
	v_sub_nc_u32_e32 v10, v10, v17
	v_add_nc_u32_e32 v7, v0, v19
	v_add_nc_u32_e32 v6, 1, v21
	v_cmp_le_u32_e32 vcc_lo, s49, v3
	v_xor_b32_e32 v19, s57, v4
	v_mul_lo_u32 v17, v10, s34
	v_mad_co_u64_u32 v[3:4], null, v8, s16, v[1:2]
	v_mul_lo_u32 v1, v7, s17
	s_wait_alu 0xfffd
	v_cndmask_b32_e32 v20, v21, v6, vcc_lo
	v_ashrrev_i32_e32 v6, 31, v5
	v_sub_nc_u32_e32 v8, v2, v17
	s_delay_alu instid0(VALU_DEP_3) | instskip(SKIP_2) | instid1(VALU_DEP_4)
	v_xor_b32_e32 v7, v20, v19
	v_ashrrev_i32_e32 v4, 31, v3
	v_mad_co_u64_u32 v[1:2], null, v11, s16, v[1:2]
	v_add_nc_u32_e32 v11, v0, v8
	s_delay_alu instid0(VALU_DEP_4) | instskip(SKIP_3) | instid1(VALU_DEP_4)
	v_sub_nc_u32_e32 v17, v7, v19
	v_bfi_b32 v19, 0x7fffffff, v23, v22
	v_lshlrev_b64_e32 v[5:6], 1, v[5:6]
	v_lshlrev_b64_e32 v[3:4], 1, v[3:4]
	v_mad_co_u64_u32 v[7:8], null, s66, v17, v[0:1]
	v_mul_lo_u32 v8, v11, s17
	v_fma_f32 v21, -v19, v19, 1.0
	v_lshlrev_b32_e32 v15, 16, v15
	v_ashrrev_i32_e32 v2, 31, v1
	v_add_co_u32 v5, vcc_lo, s14, v5
	v_mul_lo_u32 v7, v7, s31
	s_delay_alu instid0(VALU_DEP_4) | instskip(SKIP_3) | instid1(VALU_DEP_4)
	v_mul_f32_e32 v20, v16, v15
	v_mad_co_u64_u32 v[10:11], null, v10, s16, v[8:9]
	v_mul_f32_e32 v16, v16, v19
	v_lshlrev_b64_e32 v[1:2], 1, v[1:2]
	v_fmac_f32_e32 v18, v20, v21
	v_sub_f32_e32 v20, 1.0, v13
	v_mad_co_u64_u32 v[7:8], null, v17, s30, v[7:8]
	v_ashrrev_i32_e32 v11, 31, v10
	s_delay_alu instid0(VALU_DEP_4)
	v_mul_f32_e32 v17, v18, v14
	v_lshlrev_b32_e32 v21, 16, v9
	s_wait_alu 0xfffd
	v_add_co_ci_u32_e64 v6, null, s15, v6, vcc_lo
	v_lshlrev_b64_e32 v[9:10], 1, v[10:11]
	v_dual_mul_f32 v11, v18, v12 :: v_dual_mul_f32 v12, v20, v17
	v_sub_f32_e32 v17, 1.0, v21
	v_ashrrev_i32_e32 v8, 31, v7
	v_add_co_u32 v3, vcc_lo, s14, v3
	s_delay_alu instid0(VALU_DEP_3) | instskip(SKIP_1) | instid1(VALU_DEP_4)
	v_dual_mul_f32 v12, v12, v13 :: v_dual_mul_f32 v11, v17, v11
	v_sub_f32_e32 v17, 1.0, v15
	v_lshlrev_b64_e32 v[7:8], 1, v[7:8]
	s_wait_alu 0xfffd
	v_add_co_ci_u32_e64 v4, null, s15, v4, vcc_lo
	v_bfe_u32 v19, v12, 16, 1
	v_add_co_u32 v1, vcc_lo, s14, v1
	v_mul_f32_e32 v13, v18, v13
	v_dual_mul_f32 v11, v11, v21 :: v_dual_mul_f32 v16, v17, v16
	v_fma_f32 v14, -v14, v14, 1.0
	v_add3_u32 v17, v12, v19, 0x7fff
	s_wait_alu 0xfffd
	v_add_co_ci_u32_e64 v2, null, s15, v2, vcc_lo
	v_add_co_u32 v9, vcc_lo, s14, v9
	s_wait_alu 0xfffd
	v_add_co_ci_u32_e64 v10, null, s15, v10, vcc_lo
	v_add_co_u32 v7, vcc_lo, s28, v7
	s_wait_alu 0xfffd
	v_add_co_ci_u32_e64 v8, null, s29, v8, vcc_lo
	v_lshrrev_b32_e32 v17, 16, v17
	v_bfe_u32 v19, v11, 16, 1
	v_dual_mul_f32 v13, v14, v13 :: v_dual_mul_f32 v14, v16, v15
	v_cmp_o_f32_e32 vcc_lo, v12, v12
	v_add_nc_u32_e32 v0, s41, v0
	s_delay_alu instid0(VALU_DEP_4) | instskip(NEXT) | instid1(VALU_DEP_4)
	v_add3_u32 v15, v11, v19, 0x7fff
	v_bfe_u32 v16, v13, 16, 1
	s_wait_alu 0xfffd
	v_cndmask_b32_e32 v12, 0x7fc0, v17, vcc_lo
	v_mul_f32_e32 v17, v18, v21
	v_bfe_u32 v18, v14, 16, 1
	v_cmp_o_f32_e32 vcc_lo, v11, v11
	global_store_b16 v[5:6], v12, off
	v_lshrrev_b32_e32 v5, 16, v15
	v_add3_u32 v6, v13, v16, 0x7fff
	v_bfe_u32 v12, v17, 16, 1
	v_add3_u32 v15, v14, v18, 0x7fff
	v_cmp_o_f32_e64 s0, v17, v17
	s_wait_alu 0xfffd
	v_cndmask_b32_e32 v5, 0x7fc0, v5, vcc_lo
	v_lshrrev_b32_e32 v6, 16, v6
	v_cmp_o_f32_e32 vcc_lo, v13, v13
	v_add3_u32 v11, v17, v12, 0x7fff
	v_lshrrev_b32_e32 v12, 16, v15
	s_wait_alu 0xfffd
	v_cndmask_b32_e32 v6, 0x7fc0, v6, vcc_lo
	v_cmp_o_f32_e32 vcc_lo, v14, v14
	v_lshrrev_b32_e32 v11, 16, v11
	s_clause 0x1
	global_store_b16 v[3:4], v5, off
	global_store_b16 v[1:2], v6, off
	s_wait_alu 0xfffd
	v_cndmask_b32_e32 v12, 0x7fc0, v12, vcc_lo
	v_cmp_le_i32_e32 vcc_lo, s3, v0
	s_wait_alu 0xf1ff
	v_cndmask_b32_e64 v11, 0x7fc0, v11, s0
	global_store_b16 v[9:10], v12, off
	global_store_b16 v[7:8], v11, off
	s_or_b32 s40, vcc_lo, s40
	s_wait_alu 0xfffe
	s_and_not1_b32 exec_lo, exec_lo, s40
	s_cbranch_execz .LBB29_12
.LBB29_3:                               ; =>This Inner Loop Header: Depth=1
	v_sub_nc_u32_e32 v1, 0, v0
	s_delay_alu instid0(VALU_DEP_1) | instskip(NEXT) | instid1(VALU_DEP_1)
	v_max_i32_e32 v3, v0, v1
	v_mul_hi_u32 v1, v3, s45
	v_mul_hi_u32 v5, v3, s52
	v_mul_hi_u32 v7, v3, s56
	s_delay_alu instid0(VALU_DEP_3) | instskip(SKIP_1) | instid1(VALU_DEP_4)
	v_mul_lo_u32 v2, v1, s37
	v_add_nc_u32_e32 v4, 1, v1
	v_mul_lo_u32 v9, v5, s44
	s_delay_alu instid0(VALU_DEP_3) | instskip(NEXT) | instid1(VALU_DEP_2)
	v_sub_nc_u32_e32 v2, v3, v2
	v_sub_nc_u32_e32 v9, v3, v9
	s_delay_alu instid0(VALU_DEP_2) | instskip(SKIP_2) | instid1(VALU_DEP_2)
	v_subrev_nc_u32_e32 v6, s37, v2
	v_cmp_le_u32_e32 vcc_lo, s37, v2
	s_wait_alu 0xfffd
	v_dual_cndmask_b32 v1, v1, v4 :: v_dual_cndmask_b32 v2, v2, v6
	v_ashrrev_i32_e32 v4, 31, v0
	s_delay_alu instid0(VALU_DEP_2) | instskip(NEXT) | instid1(VALU_DEP_3)
	v_add_nc_u32_e32 v6, 1, v1
	v_cmp_le_u32_e32 vcc_lo, s37, v2
	s_delay_alu instid0(VALU_DEP_3)
	v_xor_b32_e32 v8, s42, v4
	v_mul_lo_u32 v2, v7, s47
	v_xor_b32_e32 v12, s51, v4
	v_xor_b32_e32 v13, s55, v4
	s_wait_alu 0xfffd
	v_cndmask_b32_e32 v1, v1, v6, vcc_lo
	v_mul_i32_i24_e32 v10, 3, v8
	v_add_nc_u32_e32 v6, 1, v5
	v_cmp_le_u32_e32 vcc_lo, s44, v9
	v_add_nc_u32_e32 v11, 1, v7
	v_xor_b32_e32 v1, v1, v8
	v_sub_nc_u32_e32 v14, v3, v2
	s_delay_alu instid0(VALU_DEP_2)
	v_sub_nc_u32_e32 v2, v1, v8
	v_lshl_add_u32 v1, v1, 1, v1
	s_wait_alu 0xfffd
	v_cndmask_b32_e32 v8, v5, v6, vcc_lo
	v_subrev_nc_u32_e32 v5, s44, v9
	v_cmp_le_u32_e64 s0, s47, v14
	v_mul_lo_u32 v6, s63, v2
	v_sub_nc_u32_e32 v10, v1, v10
	s_delay_alu instid0(VALU_DEP_4)
	v_dual_cndmask_b32 v9, v9, v5 :: v_dual_add_nc_u32 v16, 1, v8
	s_wait_alu 0xf1ff
	v_cndmask_b32_e64 v11, v7, v11, s0
	v_subrev_nc_u32_e32 v7, s47, v14
	v_mad_co_u64_u32 v[1:2], null, s2, v10, s[2:3]
	v_add_nc_u32_e32 v2, 2, v10
	v_add_nc_u32_e32 v10, 3, v10
	v_add_nc_u32_e32 v15, v0, v6
	v_cmp_le_u32_e32 vcc_lo, s44, v9
	s_delay_alu instid0(VALU_DEP_4) | instskip(NEXT) | instid1(VALU_DEP_4)
	v_mul_lo_u32 v5, s2, v2
	v_mul_lo_u32 v2, s2, v10
	v_cndmask_b32_e64 v10, v14, v7, s0
	v_ashrrev_i32_e32 v21, 31, v15
	s_wait_alu 0xfffd
	v_dual_cndmask_b32 v9, v8, v16 :: v_dual_add_nc_u32 v14, 1, v11
	s_delay_alu instid0(VALU_DEP_3)
	v_cmp_le_u32_e32 vcc_lo, s47, v10
	v_add_nc_u32_e32 v15, v0, v1
	v_add_nc_u32_e32 v8, v0, v2
	v_add3_u32 v7, v21, v6, v0
	v_xor_b32_e32 v9, v9, v12
	s_wait_alu 0xfffd
	v_cndmask_b32_e32 v14, v11, v14, vcc_lo
	v_ashrrev_i32_e32 v20, 31, v15
	v_ashrrev_i32_e32 v17, 31, v8
	v_xor_b32_e32 v7, v7, v21
	s_delay_alu instid0(VALU_DEP_4) | instskip(NEXT) | instid1(VALU_DEP_4)
	v_xor_b32_e32 v14, v14, v13
	v_add3_u32 v16, v20, v1, v0
	s_delay_alu instid0(VALU_DEP_4) | instskip(SKIP_1) | instid1(VALU_DEP_3)
	v_add3_u32 v18, v17, v2, v0
	v_xor_b32_e32 v24, s43, v20
	v_xor_b32_e32 v8, v16, v20
	;; [unrolled: 1-line block ×3, first 2 shown]
	s_delay_alu instid0(VALU_DEP_2) | instskip(NEXT) | instid1(VALU_DEP_1)
	v_mul_hi_u32 v22, v8, s46
	v_add_nc_u32_e32 v30, 1, v22
	v_add_nc_u32_e32 v15, v0, v5
	v_mul_lo_u32 v28, v22, s38
	s_delay_alu instid0(VALU_DEP_2) | instskip(SKIP_1) | instid1(VALU_DEP_2)
	v_ashrrev_i32_e32 v19, 31, v15
	v_mul_hi_u32 v15, v7, s46
	v_add3_u32 v10, v19, v5, v0
	v_xor_b32_e32 v25, s43, v19
	s_delay_alu instid0(VALU_DEP_3) | instskip(NEXT) | instid1(VALU_DEP_3)
	v_mul_lo_u32 v23, v15, s38
	v_xor_b32_e32 v11, v10, v19
	v_xor_b32_e32 v10, v18, v17
	v_add_nc_u32_e32 v27, 1, v15
	v_xor_b32_e32 v18, s43, v17
	s_delay_alu instid0(VALU_DEP_4) | instskip(NEXT) | instid1(VALU_DEP_4)
	v_mul_hi_u32 v26, v11, s46
	v_mul_hi_u32 v29, v10, s46
	v_sub_nc_u32_e32 v23, v7, v23
	s_delay_alu instid0(VALU_DEP_1)
	v_cmp_le_u32_e32 vcc_lo, s38, v23
	v_subrev_nc_u32_e32 v33, s38, v23
	v_mul_lo_u32 v31, v26, s38
	v_add_nc_u32_e32 v32, 1, v26
	s_wait_alu 0xfffd
	v_dual_cndmask_b32 v15, v15, v27 :: v_dual_add_nc_u32 v34, 1, v29
	v_sub_nc_u32_e32 v27, v8, v28
	v_cndmask_b32_e32 v23, v23, v33, vcc_lo
	v_mul_lo_u32 v28, v29, s38
	v_sub_nc_u32_e32 v31, v11, v31
	s_delay_alu instid0(VALU_DEP_4)
	v_cmp_le_u32_e32 vcc_lo, s38, v27
	v_add_nc_u32_e32 v33, 1, v15
	v_cmp_le_u32_e64 s0, s38, v23
	s_wait_alu 0xfffd
	v_cndmask_b32_e32 v22, v22, v30, vcc_lo
	v_subrev_nc_u32_e32 v30, s38, v27
	v_sub_nc_u32_e32 v28, v10, v28
	s_wait_alu 0xf1ff
	v_cndmask_b32_e64 v15, v15, v33, s0
	s_delay_alu instid0(VALU_DEP_3)
	v_cndmask_b32_e32 v23, v27, v30, vcc_lo
	v_cmp_le_u32_e32 vcc_lo, s38, v31
	v_subrev_nc_u32_e32 v30, s38, v31
	v_add_nc_u32_e32 v27, 1, v22
	v_cmp_le_u32_e64 s0, s38, v28
	v_cmp_le_u32_e64 s1, s38, v23
	s_wait_alu 0xfffd
	v_cndmask_b32_e32 v26, v26, v32, vcc_lo
	v_subrev_nc_u32_e32 v32, s38, v28
	v_cndmask_b32_e32 v23, v31, v30, vcc_lo
	s_wait_alu 0xf1ff
	v_cndmask_b32_e64 v29, v29, v34, s0
	v_xor_b32_e32 v15, v15, v16
	v_cndmask_b32_e64 v22, v22, v27, s1
	v_add_nc_u32_e32 v27, 1, v26
	v_cndmask_b32_e64 v28, v28, v32, s0
	v_cmp_le_u32_e32 vcc_lo, s38, v23
	v_add_nc_u32_e32 v30, 1, v29
	v_sub_nc_u32_e32 v31, v15, v16
	v_xor_b32_e32 v15, v22, v24
	s_wait_alu 0xfffd
	v_cndmask_b32_e32 v16, v26, v27, vcc_lo
	v_cmp_le_u32_e32 vcc_lo, s38, v28
	v_mul_lo_u32 v23, v31, s33
	v_sub_nc_u32_e32 v24, v15, v24
	v_sub_nc_u32_e32 v26, v14, v13
	v_xor_b32_e32 v15, v16, v25
	s_wait_alu 0xfffd
	v_cndmask_b32_e32 v22, v29, v30, vcc_lo
	s_delay_alu instid0(VALU_DEP_2) | instskip(NEXT) | instid1(VALU_DEP_2)
	v_sub_nc_u32_e32 v27, v15, v25
	v_xor_b32_e32 v16, v22, v18
	v_sub_nc_u32_e32 v22, v9, v12
	v_mul_lo_u32 v9, v24, s33
	v_sub_nc_u32_e32 v15, v6, v23
	s_delay_alu instid0(VALU_DEP_4) | instskip(NEXT) | instid1(VALU_DEP_4)
	v_sub_nc_u32_e32 v18, v16, v18
	v_mad_co_u64_u32 v[12:13], null, s64, v22, v[0:1]
	v_mul_lo_u32 v16, v27, s33
	v_mad_co_u64_u32 v[13:14], null, s65, v26, v[0:1]
	s_delay_alu instid0(VALU_DEP_4) | instskip(SKIP_4) | instid1(VALU_DEP_4)
	v_mul_lo_u32 v23, v18, s33
	v_sub_nc_u32_e32 v25, v1, v9
	v_add_nc_u32_e32 v14, v0, v15
	v_mul_lo_u32 v9, v12, s21
	v_sub_nc_u32_e32 v16, v5, v16
	v_add_nc_u32_e32 v15, v0, v25
	s_delay_alu instid0(VALU_DEP_4)
	v_mul_lo_u32 v12, v14, s13
	v_sub_nc_u32_e32 v23, v2, v23
	v_mul_lo_u32 v13, v13, s25
	v_add_nc_u32_e32 v25, v0, v16
	v_mul_lo_u32 v14, v15, s13
	v_mad_co_u64_u32 v[15:16], null, v22, s20, v[9:10]
	v_add_nc_u32_e32 v28, v0, v23
	s_delay_alu instid0(VALU_DEP_4) | instskip(SKIP_1) | instid1(VALU_DEP_3)
	v_mul_lo_u32 v9, v25, s13
	v_mad_co_u64_u32 v[22:23], null, v31, s12, v[12:13]
	v_mul_lo_u32 v12, v28, s13
	v_mad_co_u64_u32 v[24:25], null, v24, s12, v[14:15]
	v_mad_co_u64_u32 v[13:14], null, v26, s24, v[13:14]
	;; [unrolled: 1-line block ×3, first 2 shown]
	v_ashrrev_i32_e32 v23, 31, v22
	v_ashrrev_i32_e32 v16, 31, v15
	;; [unrolled: 1-line block ×3, first 2 shown]
	v_mad_co_u64_u32 v[28:29], null, v18, s12, v[12:13]
	v_ashrrev_i32_e32 v27, 31, v26
	v_lshlrev_b64_e32 v[22:23], 1, v[22:23]
	s_delay_alu instid0(VALU_DEP_4)
	v_lshlrev_b64_e32 v[24:25], 1, v[24:25]
	v_ashrrev_i32_e32 v14, 31, v13
	v_lshlrev_b64_e32 v[15:16], 1, v[15:16]
	v_lshlrev_b64_e32 v[26:27], 1, v[26:27]
	v_ashrrev_i32_e32 v29, 31, v28
	v_add_co_u32 v22, vcc_lo, s10, v22
	s_wait_alu 0xfffd
	v_add_co_ci_u32_e64 v23, null, s11, v23, vcc_lo
	s_delay_alu instid0(VALU_DEP_3)
	v_lshlrev_b64_e32 v[28:29], 1, v[28:29]
	v_add_co_u32 v24, vcc_lo, s10, v24
	s_wait_alu 0xfffd
	v_add_co_ci_u32_e64 v25, null, s11, v25, vcc_lo
	v_add_co_u32 v26, vcc_lo, s10, v26
	v_lshlrev_b64_e32 v[12:13], 1, v[13:14]
	s_wait_alu 0xfffd
	v_add_co_ci_u32_e64 v27, null, s11, v27, vcc_lo
	v_add_co_u32 v28, vcc_lo, s10, v28
	s_wait_alu 0xfffd
	v_add_co_ci_u32_e64 v29, null, s11, v29, vcc_lo
	v_add_co_u32 v30, vcc_lo, s18, v15
	;; [unrolled: 3-line block ×3, first 2 shown]
	s_wait_alu 0xfffd
	v_add_co_ci_u32_e64 v33, null, s23, v13, vcc_lo
	s_clause 0x3
	global_load_u16 v13, v[22:23], off
	global_load_u16 v9, v[24:25], off
	global_load_u16 v14, v[26:27], off
	global_load_u16 v15, v[28:29], off
	global_load_u16 v12, v[30:31], off
	global_load_u16 v22, v[32:33], off
	v_mov_b32_e32 v16, 0
	s_and_not1_b32 vcc_lo, exec_lo, s35
	s_wait_alu 0xfffe
	s_cbranch_vccnz .LBB29_5
; %bb.4:                                ;   in Loop: Header=BB29_3 Depth=1
	v_mul_hi_u32 v16, v3, s60
	s_delay_alu instid0(VALU_DEP_1) | instskip(SKIP_1) | instid1(VALU_DEP_2)
	v_mul_lo_u32 v18, v16, s53
	v_add_nc_u32_e32 v23, 1, v16
	v_sub_nc_u32_e32 v18, v3, v18
	s_delay_alu instid0(VALU_DEP_1) | instskip(SKIP_3) | instid1(VALU_DEP_3)
	v_subrev_nc_u32_e32 v24, s53, v18
	v_cmp_le_u32_e32 vcc_lo, s53, v18
	s_wait_alu 0xfffd
	v_cndmask_b32_e32 v16, v16, v23, vcc_lo
	v_cndmask_b32_e32 v18, v18, v24, vcc_lo
	v_xor_b32_e32 v24, s59, v4
	s_delay_alu instid0(VALU_DEP_3) | instskip(NEXT) | instid1(VALU_DEP_3)
	v_add_nc_u32_e32 v23, 1, v16
	v_cmp_le_u32_e32 vcc_lo, s53, v18
	s_wait_alu 0xfffd
	s_delay_alu instid0(VALU_DEP_2) | instskip(NEXT) | instid1(VALU_DEP_1)
	v_cndmask_b32_e32 v16, v16, v23, vcc_lo
	v_xor_b32_e32 v16, v16, v24
	s_delay_alu instid0(VALU_DEP_1) | instskip(NEXT) | instid1(VALU_DEP_1)
	v_sub_nc_u32_e32 v18, v16, v24
	v_mad_co_u64_u32 v[23:24], null, s67, v18, v[0:1]
	s_delay_alu instid0(VALU_DEP_1) | instskip(NEXT) | instid1(VALU_DEP_1)
	v_mul_lo_u32 v16, v23, s9
	v_mad_co_u64_u32 v[23:24], null, v18, s8, v[16:17]
	s_delay_alu instid0(VALU_DEP_1) | instskip(NEXT) | instid1(VALU_DEP_1)
	v_ashrrev_i32_e32 v24, 31, v23
	v_lshlrev_b64_e32 v[23:24], 1, v[23:24]
	s_delay_alu instid0(VALU_DEP_1) | instskip(SKIP_1) | instid1(VALU_DEP_2)
	v_add_co_u32 v23, vcc_lo, s4, v23
	s_wait_alu 0xfffd
	v_add_co_ci_u32_e64 v24, null, s5, v24, vcc_lo
	global_load_u16 v16, v[23:24], off
	s_wait_loadcnt 0x0
	v_lshlrev_b32_e32 v16, 16, v16
.LBB29_5:                               ;   in Loop: Header=BB29_3 Depth=1
	s_and_not1_b32 vcc_lo, exec_lo, s36
	s_wait_alu 0xfffe
	s_cbranch_vccnz .LBB29_7
; %bb.6:                                ;   in Loop: Header=BB29_3 Depth=1
	v_mul_hi_u32 v18, v3, s62
	s_delay_alu instid0(VALU_DEP_1) | instskip(NEXT) | instid1(VALU_DEP_1)
	v_mul_lo_u32 v23, v18, s54
	v_sub_nc_u32_e32 v23, v3, v23
	s_delay_alu instid0(VALU_DEP_1) | instskip(SKIP_2) | instid1(VALU_DEP_2)
	v_subrev_nc_u32_e32 v25, s54, v23
	v_cmp_le_u32_e32 vcc_lo, s54, v23
	s_wait_alu 0xfffd
	v_dual_cndmask_b32 v23, v23, v25 :: v_dual_add_nc_u32 v24, 1, v18
	s_delay_alu instid0(VALU_DEP_1) | instskip(SKIP_1) | instid1(VALU_DEP_3)
	v_cndmask_b32_e32 v18, v18, v24, vcc_lo
	v_xor_b32_e32 v25, s61, v4
	v_cmp_le_u32_e32 vcc_lo, s54, v23
	s_delay_alu instid0(VALU_DEP_3) | instskip(SKIP_1) | instid1(VALU_DEP_1)
	v_add_nc_u32_e32 v24, 1, v18
	s_wait_alu 0xfffd
	v_cndmask_b32_e32 v18, v18, v24, vcc_lo
	s_delay_alu instid0(VALU_DEP_1) | instskip(NEXT) | instid1(VALU_DEP_1)
	v_xor_b32_e32 v18, v18, v25
	v_sub_nc_u32_e32 v25, v18, v25
	s_delay_alu instid0(VALU_DEP_1) | instskip(NEXT) | instid1(VALU_DEP_1)
	v_mad_co_u64_u32 v[23:24], null, s68, v25, v[0:1]
	v_mul_lo_u32 v18, v23, s27
	s_delay_alu instid0(VALU_DEP_1) | instskip(NEXT) | instid1(VALU_DEP_1)
	v_mad_co_u64_u32 v[23:24], null, v25, s26, v[18:19]
	v_ashrrev_i32_e32 v24, 31, v23
	s_delay_alu instid0(VALU_DEP_1) | instskip(NEXT) | instid1(VALU_DEP_1)
	v_lshlrev_b64_e32 v[23:24], 1, v[23:24]
	v_add_co_u32 v23, vcc_lo, s6, v23
	s_wait_alu 0xfffd
	s_delay_alu instid0(VALU_DEP_2)
	v_add_co_ci_u32_e64 v24, null, s7, v24, vcc_lo
	global_load_u16 v18, v[23:24], off
	s_wait_loadcnt 0x0
	v_lshlrev_b32_e32 v18, 16, v18
	s_branch .LBB29_8
.LBB29_7:                               ;   in Loop: Header=BB29_3 Depth=1
	v_mov_b32_e32 v18, 0
.LBB29_8:                               ;   in Loop: Header=BB29_3 Depth=1
	s_wait_loadcnt 0x0
	v_lshlrev_b32_e32 v22, 16, v22
                                        ; implicit-def: $vgpr23
	s_delay_alu instid0(VALU_DEP_1)
	v_cmp_ngt_f32_e64 s0, 0x3f200000, |v22|
	s_and_saveexec_b32 s1, s0
	s_wait_alu 0xfffe
	s_xor_b32 s0, exec_lo, s1
	s_cbranch_execz .LBB29_10
; %bb.9:                                ;   in Loop: Header=BB29_3 Depth=1
	v_add_f32_e64 v23, |v22|, |v22|
	s_delay_alu instid0(VALU_DEP_1) | instskip(SKIP_1) | instid1(VALU_DEP_2)
	v_mul_f32_e32 v24, 0x3fb8aa3b, v23
	v_cmp_ngt_f32_e32 vcc_lo, 0xc2ce8ed0, v23
	v_rndne_f32_e32 v25, v24
	v_fma_f32 v26, 0x3fb8aa3b, v23, -v24
	s_delay_alu instid0(VALU_DEP_2) | instskip(NEXT) | instid1(VALU_DEP_2)
	v_sub_f32_e32 v24, v24, v25
	v_fmac_f32_e32 v26, 0x32a5705f, v23
	v_cvt_i32_f32_e32 v25, v25
	s_delay_alu instid0(VALU_DEP_2) | instskip(NEXT) | instid1(VALU_DEP_1)
	v_add_f32_e32 v24, v24, v26
	v_exp_f32_e32 v24, v24
	s_delay_alu instid0(TRANS32_DEP_1) | instskip(SKIP_1) | instid1(VALU_DEP_1)
	v_ldexp_f32 v24, v24, v25
	s_wait_alu 0xfffd
	v_cndmask_b32_e32 v24, 0, v24, vcc_lo
	v_cmp_nlt_f32_e32 vcc_lo, 0x42b17218, v23
	s_wait_alu 0xfffd
	s_delay_alu instid0(VALU_DEP_2) | instskip(NEXT) | instid1(VALU_DEP_1)
	v_cndmask_b32_e32 v23, 0x7f800000, v24, vcc_lo
	v_add_f32_e32 v23, 1.0, v23
	s_delay_alu instid0(VALU_DEP_1) | instskip(NEXT) | instid1(TRANS32_DEP_1)
	v_rcp_f32_e32 v23, v23
	v_fma_f32 v23, v23, -2.0, 1.0
.LBB29_10:                              ;   in Loop: Header=BB29_3 Depth=1
	s_wait_alu 0xfffe
	s_and_not1_saveexec_b32 s0, s0
	s_cbranch_execz .LBB29_2
; %bb.11:                               ;   in Loop: Header=BB29_3 Depth=1
	v_mul_f32_e32 v23, v22, v22
	s_delay_alu instid0(VALU_DEP_1) | instskip(NEXT) | instid1(VALU_DEP_1)
	v_fmaak_f32 v24, s69, v23, 0x3ca908c9
	v_fmaak_f32 v24, v23, v24, 0xbd5c1c4e
	s_delay_alu instid0(VALU_DEP_1) | instskip(NEXT) | instid1(VALU_DEP_1)
	v_fmaak_f32 v24, v23, v24, 0x3e088382
	v_fmaak_f32 v24, v23, v24, 0xbeaaaa99
	s_delay_alu instid0(VALU_DEP_1) | instskip(NEXT) | instid1(VALU_DEP_1)
	v_mul_f32_e64 v24, |v22|, v24
	v_fma_f32 v23, v23, v24, |v22|
	s_branch .LBB29_2
.LBB29_12:
	s_endpgm
	.section	.rodata,"a",@progbits
	.p2align	6, 0x0
	.amdhsa_kernel _ZN2at6native12_GLOBAL__N_16kernel18lstm_cell_backwardIN3c108BFloat16EfiLi2EEEvNS_4cuda6detail10TensorInfoIT_T1_EESB_SB_SB_SB_SB_SB_SA_SA_
		.amdhsa_group_segment_fixed_size 0
		.amdhsa_private_segment_fixed_size 0
		.amdhsa_kernarg_size 1776
		.amdhsa_user_sgpr_count 2
		.amdhsa_user_sgpr_dispatch_ptr 0
		.amdhsa_user_sgpr_queue_ptr 0
		.amdhsa_user_sgpr_kernarg_segment_ptr 1
		.amdhsa_user_sgpr_dispatch_id 0
		.amdhsa_user_sgpr_private_segment_size 0
		.amdhsa_wavefront_size32 1
		.amdhsa_uses_dynamic_stack 0
		.amdhsa_enable_private_segment 0
		.amdhsa_system_sgpr_workgroup_id_x 1
		.amdhsa_system_sgpr_workgroup_id_y 0
		.amdhsa_system_sgpr_workgroup_id_z 0
		.amdhsa_system_sgpr_workgroup_info 0
		.amdhsa_system_vgpr_workitem_id 0
		.amdhsa_next_free_vgpr 37
		.amdhsa_next_free_sgpr 70
		.amdhsa_reserve_vcc 1
		.amdhsa_float_round_mode_32 0
		.amdhsa_float_round_mode_16_64 0
		.amdhsa_float_denorm_mode_32 3
		.amdhsa_float_denorm_mode_16_64 3
		.amdhsa_fp16_overflow 0
		.amdhsa_workgroup_processor_mode 1
		.amdhsa_memory_ordered 1
		.amdhsa_forward_progress 1
		.amdhsa_inst_pref_size 30
		.amdhsa_round_robin_scheduling 0
		.amdhsa_exception_fp_ieee_invalid_op 0
		.amdhsa_exception_fp_denorm_src 0
		.amdhsa_exception_fp_ieee_div_zero 0
		.amdhsa_exception_fp_ieee_overflow 0
		.amdhsa_exception_fp_ieee_underflow 0
		.amdhsa_exception_fp_ieee_inexact 0
		.amdhsa_exception_int_div_zero 0
	.end_amdhsa_kernel
	.section	.text._ZN2at6native12_GLOBAL__N_16kernel18lstm_cell_backwardIN3c108BFloat16EfiLi2EEEvNS_4cuda6detail10TensorInfoIT_T1_EESB_SB_SB_SB_SB_SB_SA_SA_,"axG",@progbits,_ZN2at6native12_GLOBAL__N_16kernel18lstm_cell_backwardIN3c108BFloat16EfiLi2EEEvNS_4cuda6detail10TensorInfoIT_T1_EESB_SB_SB_SB_SB_SB_SA_SA_,comdat
.Lfunc_end29:
	.size	_ZN2at6native12_GLOBAL__N_16kernel18lstm_cell_backwardIN3c108BFloat16EfiLi2EEEvNS_4cuda6detail10TensorInfoIT_T1_EESB_SB_SB_SB_SB_SB_SA_SA_, .Lfunc_end29-_ZN2at6native12_GLOBAL__N_16kernel18lstm_cell_backwardIN3c108BFloat16EfiLi2EEEvNS_4cuda6detail10TensorInfoIT_T1_EESB_SB_SB_SB_SB_SB_SA_SA_
                                        ; -- End function
	.set _ZN2at6native12_GLOBAL__N_16kernel18lstm_cell_backwardIN3c108BFloat16EfiLi2EEEvNS_4cuda6detail10TensorInfoIT_T1_EESB_SB_SB_SB_SB_SB_SA_SA_.num_vgpr, 37
	.set _ZN2at6native12_GLOBAL__N_16kernel18lstm_cell_backwardIN3c108BFloat16EfiLi2EEEvNS_4cuda6detail10TensorInfoIT_T1_EESB_SB_SB_SB_SB_SB_SA_SA_.num_agpr, 0
	.set _ZN2at6native12_GLOBAL__N_16kernel18lstm_cell_backwardIN3c108BFloat16EfiLi2EEEvNS_4cuda6detail10TensorInfoIT_T1_EESB_SB_SB_SB_SB_SB_SA_SA_.numbered_sgpr, 70
	.set _ZN2at6native12_GLOBAL__N_16kernel18lstm_cell_backwardIN3c108BFloat16EfiLi2EEEvNS_4cuda6detail10TensorInfoIT_T1_EESB_SB_SB_SB_SB_SB_SA_SA_.num_named_barrier, 0
	.set _ZN2at6native12_GLOBAL__N_16kernel18lstm_cell_backwardIN3c108BFloat16EfiLi2EEEvNS_4cuda6detail10TensorInfoIT_T1_EESB_SB_SB_SB_SB_SB_SA_SA_.private_seg_size, 0
	.set _ZN2at6native12_GLOBAL__N_16kernel18lstm_cell_backwardIN3c108BFloat16EfiLi2EEEvNS_4cuda6detail10TensorInfoIT_T1_EESB_SB_SB_SB_SB_SB_SA_SA_.uses_vcc, 1
	.set _ZN2at6native12_GLOBAL__N_16kernel18lstm_cell_backwardIN3c108BFloat16EfiLi2EEEvNS_4cuda6detail10TensorInfoIT_T1_EESB_SB_SB_SB_SB_SB_SA_SA_.uses_flat_scratch, 0
	.set _ZN2at6native12_GLOBAL__N_16kernel18lstm_cell_backwardIN3c108BFloat16EfiLi2EEEvNS_4cuda6detail10TensorInfoIT_T1_EESB_SB_SB_SB_SB_SB_SA_SA_.has_dyn_sized_stack, 0
	.set _ZN2at6native12_GLOBAL__N_16kernel18lstm_cell_backwardIN3c108BFloat16EfiLi2EEEvNS_4cuda6detail10TensorInfoIT_T1_EESB_SB_SB_SB_SB_SB_SA_SA_.has_recursion, 0
	.set _ZN2at6native12_GLOBAL__N_16kernel18lstm_cell_backwardIN3c108BFloat16EfiLi2EEEvNS_4cuda6detail10TensorInfoIT_T1_EESB_SB_SB_SB_SB_SB_SA_SA_.has_indirect_call, 0
	.section	.AMDGPU.csdata,"",@progbits
; Kernel info:
; codeLenInByte = 3792
; TotalNumSgprs: 72
; NumVgprs: 37
; ScratchSize: 0
; MemoryBound: 0
; FloatMode: 240
; IeeeMode: 1
; LDSByteSize: 0 bytes/workgroup (compile time only)
; SGPRBlocks: 0
; VGPRBlocks: 4
; NumSGPRsForWavesPerEU: 72
; NumVGPRsForWavesPerEU: 37
; Occupancy: 16
; WaveLimiterHint : 1
; COMPUTE_PGM_RSRC2:SCRATCH_EN: 0
; COMPUTE_PGM_RSRC2:USER_SGPR: 2
; COMPUTE_PGM_RSRC2:TRAP_HANDLER: 0
; COMPUTE_PGM_RSRC2:TGID_X_EN: 1
; COMPUTE_PGM_RSRC2:TGID_Y_EN: 0
; COMPUTE_PGM_RSRC2:TGID_Z_EN: 0
; COMPUTE_PGM_RSRC2:TIDIG_COMP_CNT: 0
	.section	.text._ZN2at6native12_GLOBAL__N_16kernel18lstm_cell_backwardIN3c108BFloat16EflLi1EEEvNS_4cuda6detail10TensorInfoIT_T1_EESB_SB_SB_SB_SB_SB_SA_SA_,"axG",@progbits,_ZN2at6native12_GLOBAL__N_16kernel18lstm_cell_backwardIN3c108BFloat16EflLi1EEEvNS_4cuda6detail10TensorInfoIT_T1_EESB_SB_SB_SB_SB_SB_SA_SA_,comdat
	.globl	_ZN2at6native12_GLOBAL__N_16kernel18lstm_cell_backwardIN3c108BFloat16EflLi1EEEvNS_4cuda6detail10TensorInfoIT_T1_EESB_SB_SB_SB_SB_SB_SA_SA_ ; -- Begin function _ZN2at6native12_GLOBAL__N_16kernel18lstm_cell_backwardIN3c108BFloat16EflLi1EEEvNS_4cuda6detail10TensorInfoIT_T1_EESB_SB_SB_SB_SB_SB_SA_SA_
	.p2align	8
	.type	_ZN2at6native12_GLOBAL__N_16kernel18lstm_cell_backwardIN3c108BFloat16EflLi1EEEvNS_4cuda6detail10TensorInfoIT_T1_EESB_SB_SB_SB_SB_SB_SA_SA_,@function
_ZN2at6native12_GLOBAL__N_16kernel18lstm_cell_backwardIN3c108BFloat16EflLi1EEEvNS_4cuda6detail10TensorInfoIT_T1_EESB_SB_SB_SB_SB_SB_SA_SA_: ; @_ZN2at6native12_GLOBAL__N_16kernel18lstm_cell_backwardIN3c108BFloat16EflLi1EEEvNS_4cuda6detail10TensorInfoIT_T1_EESB_SB_SB_SB_SB_SB_SA_SA_
; %bb.0:
	s_clause 0x1
	s_load_b32 s2, s[0:1], 0xb7c
	s_load_b128 s[4:7], s[0:1], 0xb60
	v_mov_b32_e32 v1, 0
	s_wait_kmcnt 0x0
	s_and_b32 s16, s2, 0xffff
	s_mov_b32 s2, exec_lo
	s_delay_alu instid0(VALU_DEP_1) | instskip(SKIP_1) | instid1(VALU_DEP_1)
	v_mad_co_u64_u32 v[3:4], null, ttmp9, s16, v[0:1]
	v_mov_b32_e32 v4, v1
	v_cmpx_gt_i64_e64 s[6:7], v[3:4]
	s_cbranch_execz .LBB30_15
; %bb.1:
	s_clause 0x4
	s_load_b64 s[18:19], s[0:1], 0x410
	s_load_b64 s[24:25], s[0:1], 0x680
	;; [unrolled: 1-line block ×5, first 2 shown]
	s_add_nc_u64 s[14:15], s[0:1], 0xb70
	s_clause 0x4
	s_load_b64 s[2:3], s[0:1], 0x0
	s_load_b64 s[8:9], s[0:1], 0xd0
	;; [unrolled: 1-line block ×5, first 2 shown]
	s_load_b32 s34, s[14:15], 0x0
	s_clause 0x3
	s_load_b64 s[30:31], s[0:1], 0x750
	s_load_b64 s[28:29], s[0:1], 0x8f0
	;; [unrolled: 1-line block ×4, first 2 shown]
	s_mov_b32 s1, 0
	s_mul_u64 s[14:15], s[4:5], 3
	s_wait_alu 0xfffe
	s_mov_b32 s17, s1
	s_mov_b32 s35, 0
	s_wait_kmcnt 0x0
	v_mul_lo_u32 v0, 0, s18
	v_mul_lo_u32 v2, v3, s19
	v_mad_co_u64_u32 v[5:6], null, v3, s18, 0
	v_mul_lo_u32 v9, 0, s36
	v_mul_lo_u32 v10, v3, s37
	v_mad_co_u64_u32 v[7:8], null, v3, s36, 0
	v_mad_co_u64_u32 v[11:12], null, v3, s30, 0
	v_add3_u32 v6, v6, v2, v0
	v_mul_lo_u32 v0, 0, s40
	v_mul_lo_u32 v2, v3, s41
	;; [unrolled: 1-line block ×3, first 2 shown]
	v_add3_u32 v8, v8, v10, v9
	v_mad_co_u64_u32 v[9:10], null, v3, s40, 0
	v_mul_lo_u32 v16, v3, s29
	v_mad_co_u64_u32 v[13:14], null, v3, s28, 0
	v_lshlrev_b64_e32 v[5:6], 1, v[5:6]
	v_lshlrev_b64_e32 v[7:8], 1, v[7:8]
	s_cmp_lg_u64 s[24:25], 0
	v_add3_u32 v10, v10, v2, v0
	v_mul_lo_u32 v0, 0, s30
	v_mul_lo_u32 v2, v3, s31
	v_add3_u32 v14, v14, v16, v15
	v_add_co_u32 v5, vcc_lo, s20, v5
	v_lshlrev_b64_e32 v[9:10], 1, v[9:10]
	v_add_co_ci_u32_e64 v6, null, s21, v6, vcc_lo
	v_add_co_u32 v7, vcc_lo, s22, v7
	v_add3_u32 v12, v12, v2, v0
	v_cvt_f32_u32_e32 v0, s4
	v_lshlrev_b64_e32 v[13:14], 1, v[13:14]
	s_wait_alu 0xfffd
	v_add_co_ci_u32_e64 v8, null, s23, v8, vcc_lo
	v_lshlrev_b64_e32 v[11:12], 1, v[11:12]
	v_rcp_iflag_f32_e32 v0, v0
	v_add_co_u32 v9, vcc_lo, s38, v9
	s_wait_alu 0xfffd
	v_add_co_ci_u32_e64 v10, null, s39, v10, vcc_lo
	s_delay_alu instid0(VALU_DEP_3) | instskip(SKIP_3) | instid1(TRANS32_DEP_1)
	v_add_co_u32 v11, vcc_lo, s24, v11
	s_wait_alu 0xfffd
	v_add_co_ci_u32_e64 v12, null, s25, v12, vcc_lo
	v_add_co_u32 v13, vcc_lo, s26, v13
	v_mul_f32_e32 v0, 0x4f7ffffe, v0
	s_mul_i32 s16, s34, s16
	s_wait_alu 0xfffd
	v_add_co_ci_u32_e64 v14, null, s27, v14, vcc_lo
	s_cselect_b32 s33, -1, 0
	v_cvt_u32_f32_e32 v0, v0
	s_cmp_lg_u64 s[26:27], 0
	s_wait_alu 0xfffe
	s_mul_u64 s[18:19], s[16:17], s[18:19]
	s_mul_u64 s[20:21], s[16:17], s[36:37]
	;; [unrolled: 1-line block ×5, first 2 shown]
	s_cselect_b32 s34, -1, 0
	s_wait_alu 0xfffe
	s_lshl_b64 s[18:19], s[18:19], 1
	s_lshl_b64 s[20:21], s[20:21], 1
	;; [unrolled: 1-line block ×5, first 2 shown]
	s_ashr_i32 s28, s5, 31
	s_mov_b32 s17, 0xbbbac73d
	s_branch .LBB30_3
.LBB30_2:                               ;   in Loop: Header=BB30_3 Depth=1
	s_wait_alu 0xfffe
	s_or_b32 exec_lo, exec_lo, s0
	v_mul_lo_u32 v22, v22, s12
	v_mul_lo_u32 v33, v17, s13
	v_mad_co_u64_u32 v[31:32], null, v17, s12, 0
	v_mul_lo_u32 v28, v28, s12
	v_mul_lo_u32 v34, v18, s13
	v_mad_co_u64_u32 v[17:18], null, v18, s12, 0
	v_lshlrev_b32_e32 v21, 16, v21
	v_add_co_u32 v13, s0, v13, s26
	v_add3_u32 v32, v32, v33, v22
	v_mul_lo_u32 v22, v26, s12
	v_mul_lo_u32 v26, v20, s13
	v_add3_u32 v18, v18, v34, v28
	v_mad_co_u64_u32 v[33:34], null, v20, s12, 0
	v_lshlrev_b32_e32 v28, 16, v27
	v_lshlrev_b64_e32 v[31:32], 1, v[31:32]
	s_delay_alu instid0(VALU_DEP_4)
	v_lshlrev_b64_e32 v[17:18], 1, v[17:18]
	v_lshlrev_b32_e32 v25, 16, v25
	s_wait_alu 0xf1ff
	v_add_co_ci_u32_e64 v14, null, s27, v14, s0
	v_add3_u32 v34, v34, v26, v22
	v_bfi_b32 v22, 0x7fffffff, v30, v29
	v_mul_f32_e32 v20, v23, v28
	v_add_co_u32 v31, vcc_lo, s10, v31
	s_delay_alu instid0(VALU_DEP_4) | instskip(NEXT) | instid1(VALU_DEP_4)
	v_lshlrev_b64_e32 v[26:27], 1, v[33:34]
	v_fma_f32 v29, -v22, v22, 1.0
	s_wait_alu 0xfffd
	v_add_co_ci_u32_e64 v32, null, s11, v32, vcc_lo
	v_add_co_u32 v17, vcc_lo, s10, v17
	s_delay_alu instid0(VALU_DEP_3)
	v_dual_fmac_f32 v2, v20, v29 :: v_dual_lshlrev_b32 v29, 16, v19
	v_lshlrev_b32_e32 v24, 16, v24
	s_wait_alu 0xfffd
	v_add_co_ci_u32_e64 v18, null, s11, v18, vcc_lo
	v_add_co_u32 v19, vcc_lo, s10, v26
	s_wait_alu 0xfffd
	v_add_co_ci_u32_e64 v20, null, s11, v27, vcc_lo
	v_mul_f32_e32 v25, v2, v25
	v_dual_mul_f32 v26, v2, v24 :: v_dual_sub_f32 v27, 1.0, v21
	v_mul_lo_u32 v30, v16, s12
	v_mul_lo_u32 v33, v15, s13
	v_mad_co_u64_u32 v[15:16], null, v15, s12, 0
	v_sub_f32_e32 v34, 1.0, v29
	v_mul_f32_e32 v22, v23, v22
	v_dual_mul_f32 v23, v27, v26 :: v_dual_mul_f32 v26, v2, v21
	v_sub_f32_e32 v27, 1.0, v28
	s_delay_alu instid0(VALU_DEP_4) | instskip(SKIP_1) | instid1(VALU_DEP_4)
	v_mul_f32_e32 v25, v34, v25
	v_fma_f32 v24, -v24, v24, 1.0
	v_mul_f32_e32 v21, v23, v21
	v_add3_u32 v16, v16, v33, v30
	s_delay_alu instid0(VALU_DEP_4) | instskip(NEXT) | instid1(VALU_DEP_4)
	v_dual_mul_f32 v22, v27, v22 :: v_dual_mul_f32 v23, v25, v29
	v_mul_f32_e32 v24, v24, v26
	s_delay_alu instid0(VALU_DEP_4) | instskip(NEXT) | instid1(VALU_DEP_4)
	v_bfe_u32 v25, v21, 16, 1
	v_lshlrev_b64_e32 v[15:16], 1, v[15:16]
	v_mul_f32_e32 v2, v2, v29
	v_bfe_u32 v26, v23, 16, 1
	v_bfe_u32 v27, v24, 16, 1
	v_add3_u32 v25, v21, v25, 0x7fff
	v_add_co_u32 v15, vcc_lo, s10, v15
	s_wait_alu 0xfffd
	v_add_co_ci_u32_e64 v16, null, s11, v16, vcc_lo
	s_delay_alu instid0(VALU_DEP_3)
	v_lshrrev_b32_e32 v25, 16, v25
	v_add3_u32 v26, v23, v26, 0x7fff
	v_cmp_o_f32_e32 vcc_lo, v21, v21
	v_mul_f32_e32 v22, v22, v28
	v_add3_u32 v27, v24, v27, 0x7fff
	v_bfe_u32 v29, v2, 16, 1
	s_wait_alu 0xfffd
	v_cndmask_b32_e32 v21, 0x7fc0, v25, vcc_lo
	v_bfe_u32 v28, v22, 16, 1
	v_lshrrev_b32_e32 v25, 16, v26
	v_cmp_o_f32_e32 vcc_lo, v23, v23
	v_lshrrev_b32_e32 v27, 16, v27
	s_delay_alu instid0(VALU_DEP_4)
	v_add3_u32 v26, v22, v28, 0x7fff
	v_add3_u32 v28, v2, v29, 0x7fff
	s_wait_alu 0xfffd
	v_cndmask_b32_e32 v23, 0x7fc0, v25, vcc_lo
	v_cmp_o_f32_e32 vcc_lo, v24, v24
	v_lshrrev_b32_e32 v25, 16, v26
	v_lshrrev_b32_e32 v26, 16, v28
	s_wait_alu 0xfffd
	v_cndmask_b32_e32 v24, 0x7fc0, v27, vcc_lo
	v_cmp_o_f32_e32 vcc_lo, v22, v22
	s_wait_alu 0xfffd
	v_cndmask_b32_e32 v22, 0x7fc0, v25, vcc_lo
	v_cmp_o_f32_e32 vcc_lo, v2, v2
	s_wait_alu 0xfffd
	v_cndmask_b32_e32 v2, 0x7fc0, v26, vcc_lo
	v_add_co_u32 v3, vcc_lo, v3, s16
	s_wait_alu 0xfffd
	v_add_co_ci_u32_e64 v4, null, 0, v4, vcc_lo
	v_add_co_u32 v5, vcc_lo, v5, s18
	s_wait_alu 0xfffd
	v_add_co_ci_u32_e64 v6, null, s19, v6, vcc_lo
	v_add_co_u32 v7, vcc_lo, v7, s20
	s_clause 0x3
	global_store_b16 v[31:32], v21, off
	global_store_b16 v[17:18], v23, off
	;; [unrolled: 1-line block ×5, first 2 shown]
	s_wait_alu 0xfffd
	v_add_co_ci_u32_e64 v8, null, s21, v8, vcc_lo
	v_add_co_u32 v9, vcc_lo, v9, s22
	s_wait_alu 0xfffd
	v_add_co_ci_u32_e64 v10, null, s23, v10, vcc_lo
	v_add_co_u32 v11, vcc_lo, v11, s24
	s_wait_alu 0xfffd
	v_add_co_ci_u32_e64 v12, null, s25, v12, vcc_lo
	v_cmp_le_i64_e32 vcc_lo, s[6:7], v[3:4]
	s_or_b32 s35, vcc_lo, s35
	s_delay_alu instid0(SALU_CYCLE_1)
	s_and_not1_b32 exec_lo, exec_lo, s35
	s_cbranch_execz .LBB30_15
.LBB30_3:                               ; =>This Inner Loop Header: Depth=1
	v_or_b32_e32 v2, s5, v4
                                        ; implicit-def: $vgpr15_vgpr16
	s_mov_b32 s0, exec_lo
	s_delay_alu instid0(VALU_DEP_1)
	v_cmpx_ne_u64_e32 0, v[1:2]
	s_wait_alu 0xfffe
	s_xor_b32 s36, exec_lo, s0
	s_cbranch_execz .LBB30_5
; %bb.4:                                ;   in Loop: Header=BB30_3 Depth=1
	s_mov_b32 s29, s28
	v_ashrrev_i32_e32 v2, 31, v4
	s_wait_alu 0xfffe
	s_add_nc_u64 s[30:31], s[4:5], s[28:29]
	s_wait_alu 0xfffe
	s_xor_b64 s[30:31], s[30:31], s[28:29]
	v_add_co_u32 v15, vcc_lo, v3, v2
	s_wait_alu 0xfffe
	s_cvt_f32_u32 s0, s30
	s_cvt_f32_u32 s29, s31
	s_sub_nc_u64 s[40:41], 0, s[30:31]
	s_wait_alu 0xfffd
	v_add_co_ci_u32_e64 v16, null, v4, v2, vcc_lo
	s_wait_alu 0xfffe
	s_fmamk_f32 s0, s29, 0x4f800000, s0
	v_xor_b32_e32 v21, v15, v2
	s_delay_alu instid0(VALU_DEP_2) | instskip(SKIP_3) | instid1(TRANS32_DEP_1)
	v_xor_b32_e32 v22, v16, v2
	s_wait_alu 0xfffe
	v_s_rcp_f32 s0, s0
	v_xor_b32_e32 v2, s28, v2
	s_mul_f32 s0, s0, 0x5f7ffffc
	s_wait_alu 0xfffe
	s_delay_alu instid0(SALU_CYCLE_2) | instskip(SKIP_1) | instid1(SALU_CYCLE_2)
	s_mul_f32 s29, s0, 0x2f800000
	s_wait_alu 0xfffe
	s_trunc_f32 s29, s29
	s_wait_alu 0xfffe
	s_delay_alu instid0(SALU_CYCLE_2) | instskip(SKIP_2) | instid1(SALU_CYCLE_1)
	s_fmamk_f32 s0, s29, 0xcf800000, s0
	s_cvt_u32_f32 s39, s29
	s_wait_alu 0xfffe
	s_cvt_u32_f32 s38, s0
	s_wait_alu 0xfffe
	s_delay_alu instid0(SALU_CYCLE_2) | instskip(NEXT) | instid1(SALU_CYCLE_1)
	s_mul_u64 s[42:43], s[40:41], s[38:39]
	s_mul_hi_u32 s45, s38, s43
	s_mul_i32 s44, s38, s43
	s_mul_hi_u32 s0, s38, s42
	s_mul_i32 s37, s39, s42
	s_wait_alu 0xfffe
	s_add_nc_u64 s[44:45], s[0:1], s[44:45]
	s_mul_hi_u32 s29, s39, s42
	s_mul_hi_u32 s46, s39, s43
	s_add_co_u32 s0, s44, s37
	s_wait_alu 0xfffe
	s_add_co_ci_u32 s0, s45, s29
	s_mul_i32 s42, s39, s43
	s_add_co_ci_u32 s43, s46, 0
	s_wait_alu 0xfffe
	s_add_nc_u64 s[42:43], s[0:1], s[42:43]
	s_delay_alu instid0(SALU_CYCLE_1)
	s_add_co_u32 s38, s38, s42
	s_cselect_b32 s0, -1, 0
	s_wait_alu 0xfffe
	s_cmp_lg_u32 s0, 0
	s_add_co_ci_u32 s39, s39, s43
	s_wait_alu 0xfffe
	s_mul_u64 s[40:41], s[40:41], s[38:39]
	s_wait_alu 0xfffe
	s_mul_hi_u32 s43, s38, s41
	s_mul_i32 s42, s38, s41
	s_mul_hi_u32 s0, s38, s40
	s_mul_i32 s37, s39, s40
	s_wait_alu 0xfffe
	s_add_nc_u64 s[42:43], s[0:1], s[42:43]
	s_mul_hi_u32 s29, s39, s40
	s_mul_hi_u32 s44, s39, s41
	s_add_co_u32 s0, s42, s37
	s_wait_alu 0xfffe
	s_add_co_ci_u32 s0, s43, s29
	s_mul_i32 s40, s39, s41
	s_add_co_ci_u32 s41, s44, 0
	s_wait_alu 0xfffe
	s_add_nc_u64 s[40:41], s[0:1], s[40:41]
	s_wait_alu 0xfffe
	s_add_co_u32 s0, s38, s40
	s_cselect_b32 s29, -1, 0
	s_wait_alu 0xfffe
	v_mul_hi_u32 v23, v21, s0
	s_cmp_lg_u32 s29, 0
	v_mad_co_u64_u32 v[17:18], null, v22, s0, 0
	s_add_co_ci_u32 s29, s39, s41
	s_wait_alu 0xfffe
	v_mad_co_u64_u32 v[15:16], null, v21, s29, 0
	v_mad_co_u64_u32 v[19:20], null, v22, s29, 0
	s_delay_alu instid0(VALU_DEP_2) | instskip(SKIP_1) | instid1(VALU_DEP_3)
	v_add_co_u32 v15, vcc_lo, v23, v15
	s_wait_alu 0xfffd
	v_add_co_ci_u32_e64 v16, null, 0, v16, vcc_lo
	s_delay_alu instid0(VALU_DEP_2) | instskip(SKIP_1) | instid1(VALU_DEP_2)
	v_add_co_u32 v15, vcc_lo, v15, v17
	s_wait_alu 0xfffd
	v_add_co_ci_u32_e32 v15, vcc_lo, v16, v18, vcc_lo
	s_wait_alu 0xfffd
	v_add_co_ci_u32_e32 v16, vcc_lo, 0, v20, vcc_lo
	s_delay_alu instid0(VALU_DEP_2) | instskip(SKIP_1) | instid1(VALU_DEP_2)
	v_add_co_u32 v17, vcc_lo, v15, v19
	s_wait_alu 0xfffd
	v_add_co_ci_u32_e64 v18, null, 0, v16, vcc_lo
	s_delay_alu instid0(VALU_DEP_2) | instskip(SKIP_1) | instid1(VALU_DEP_3)
	v_mul_lo_u32 v19, s31, v17
	v_mad_co_u64_u32 v[15:16], null, s30, v17, 0
	v_mul_lo_u32 v20, s30, v18
	s_delay_alu instid0(VALU_DEP_2) | instskip(NEXT) | instid1(VALU_DEP_2)
	v_sub_co_u32 v15, vcc_lo, v21, v15
	v_add3_u32 v16, v16, v20, v19
	v_add_co_u32 v20, s0, v17, 2
	s_wait_alu 0xf1ff
	v_add_co_ci_u32_e64 v21, null, 0, v18, s0
	s_delay_alu instid0(VALU_DEP_3) | instskip(SKIP_3) | instid1(VALU_DEP_3)
	v_sub_nc_u32_e32 v19, v22, v16
	v_sub_co_u32 v23, s0, v15, s30
	s_wait_alu 0xfffd
	v_sub_co_ci_u32_e64 v16, null, v22, v16, vcc_lo
	v_subrev_co_ci_u32_e64 v19, null, s31, v19, vcc_lo
	s_delay_alu instid0(VALU_DEP_3) | instskip(SKIP_1) | instid1(VALU_DEP_2)
	v_cmp_le_u32_e32 vcc_lo, s30, v23
	s_wait_alu 0xf1ff
	v_subrev_co_ci_u32_e64 v19, null, 0, v19, s0
	s_wait_alu 0xfffd
	v_cndmask_b32_e64 v22, 0, -1, vcc_lo
	s_delay_alu instid0(VALU_DEP_2)
	v_cmp_le_u32_e32 vcc_lo, s31, v19
	s_wait_alu 0xfffd
	v_cndmask_b32_e64 v23, 0, -1, vcc_lo
	v_cmp_le_u32_e32 vcc_lo, s30, v15
	s_wait_alu 0xfffd
	v_cndmask_b32_e64 v15, 0, -1, vcc_lo
	;; [unrolled: 3-line block ×3, first 2 shown]
	v_cmp_eq_u32_e32 vcc_lo, s31, v19
	s_wait_alu 0xfffd
	v_cndmask_b32_e32 v19, v23, v22, vcc_lo
	v_add_co_u32 v22, vcc_lo, v17, 1
	s_wait_alu 0xfffd
	v_add_co_ci_u32_e64 v23, null, 0, v18, vcc_lo
	v_cmp_eq_u32_e32 vcc_lo, s31, v16
	s_wait_alu 0xfffd
	v_cndmask_b32_e32 v15, v24, v15, vcc_lo
	v_cmp_ne_u32_e32 vcc_lo, 0, v19
	s_wait_alu 0xfffd
	v_cndmask_b32_e32 v16, v23, v21, vcc_lo
	s_delay_alu instid0(VALU_DEP_3) | instskip(SKIP_2) | instid1(VALU_DEP_2)
	v_cmp_ne_u32_e64 s0, 0, v15
	v_cndmask_b32_e32 v15, v22, v20, vcc_lo
	s_wait_alu 0xf1ff
	v_cndmask_b32_e64 v16, v18, v16, s0
	s_delay_alu instid0(VALU_DEP_2) | instskip(NEXT) | instid1(VALU_DEP_2)
	v_cndmask_b32_e64 v15, v17, v15, s0
	v_xor_b32_e32 v16, v16, v2
	s_delay_alu instid0(VALU_DEP_2) | instskip(NEXT) | instid1(VALU_DEP_1)
	v_xor_b32_e32 v15, v15, v2
	v_sub_co_u32 v15, vcc_lo, v15, v2
	s_wait_alu 0xfffd
	s_delay_alu instid0(VALU_DEP_3)
	v_sub_co_ci_u32_e64 v16, null, v16, v2, vcc_lo
.LBB30_5:                               ;   in Loop: Header=BB30_3 Depth=1
	s_wait_alu 0xfffe
	s_and_not1_saveexec_b32 s0, s36
	s_cbranch_execz .LBB30_7
; %bb.6:                                ;   in Loop: Header=BB30_3 Depth=1
	s_sub_co_i32 s29, 0, s4
	s_wait_alu 0xfffe
	v_mul_lo_u32 v2, s29, v0
	s_delay_alu instid0(VALU_DEP_1) | instskip(NEXT) | instid1(VALU_DEP_1)
	v_mul_hi_u32 v2, v0, v2
	v_add_nc_u32_e32 v2, v0, v2
	s_delay_alu instid0(VALU_DEP_1) | instskip(NEXT) | instid1(VALU_DEP_1)
	v_mul_hi_u32 v2, v3, v2
	v_mul_lo_u32 v15, v2, s4
	v_add_nc_u32_e32 v16, 1, v2
	s_delay_alu instid0(VALU_DEP_2) | instskip(NEXT) | instid1(VALU_DEP_1)
	v_sub_nc_u32_e32 v15, v3, v15
	v_subrev_nc_u32_e32 v17, s4, v15
	v_cmp_le_u32_e32 vcc_lo, s4, v15
	s_wait_alu 0xfffd
	s_delay_alu instid0(VALU_DEP_2) | instskip(NEXT) | instid1(VALU_DEP_1)
	v_dual_cndmask_b32 v15, v15, v17 :: v_dual_cndmask_b32 v2, v2, v16
	v_cmp_le_u32_e32 vcc_lo, s4, v15
	s_delay_alu instid0(VALU_DEP_2) | instskip(SKIP_1) | instid1(VALU_DEP_1)
	v_add_nc_u32_e32 v16, 1, v2
	s_wait_alu 0xfffd
	v_dual_cndmask_b32 v15, v2, v16 :: v_dual_mov_b32 v16, v1
.LBB30_7:                               ;   in Loop: Header=BB30_3 Depth=1
	s_wait_alu 0xfffe
	s_or_b32 exec_lo, exec_lo, s0
	s_delay_alu instid0(VALU_DEP_1) | instskip(SKIP_3) | instid1(VALU_DEP_4)
	v_mad_co_u64_u32 v[20:21], null, v15, 3, 0
	v_mad_co_u64_u32 v[17:18], null, s14, v15, v[3:4]
	v_mul_lo_u32 v19, s14, v16
	v_mul_lo_u32 v15, s15, v15
	v_mov_b32_e32 v2, v21
	s_delay_alu instid0(VALU_DEP_4) | instskip(NEXT) | instid1(VALU_DEP_3)
	v_mad_co_u64_u32 v[23:24], null, v17, s8, 0
	v_add3_u32 v22, v15, v18, v19
	s_delay_alu instid0(VALU_DEP_3) | instskip(SKIP_2) | instid1(VALU_DEP_4)
	v_mad_co_u64_u32 v[15:16], null, v16, 3, v[2:3]
	v_add_co_u32 v16, vcc_lo, v20, 1
	v_mul_lo_u32 v2, v17, s9
	v_mul_lo_u32 v25, v22, s8
	s_delay_alu instid0(VALU_DEP_3)
	v_mul_lo_u32 v26, s5, v16
	s_wait_alu 0xfffd
	v_add_co_ci_u32_e64 v21, null, 0, v15, vcc_lo
	v_mad_co_u64_u32 v[18:19], null, s4, v16, v[3:4]
	v_add_co_u32 v16, vcc_lo, v20, 2
	s_wait_alu 0xfffd
	v_add_co_ci_u32_e64 v27, null, 0, v15, vcc_lo
	v_mul_lo_u32 v28, s4, v21
	v_add_co_u32 v29, vcc_lo, v20, 3
	s_wait_alu 0xfffd
	v_add_co_ci_u32_e64 v31, null, 0, v15, vcc_lo
	v_mul_lo_u32 v30, s5, v16
	v_mad_co_u64_u32 v[20:21], null, s4, v16, v[3:4]
	v_mul_lo_u32 v27, s4, v27
	v_add3_u32 v28, v26, v19, v28
	v_mul_lo_u32 v19, s5, v29
	v_mad_co_u64_u32 v[15:16], null, s4, v29, v[3:4]
	v_mul_lo_u32 v31, s4, v31
	s_delay_alu instid0(VALU_DEP_4)
	v_mul_lo_u32 v33, v28, s8
	v_add3_u32 v24, v24, v2, v25
	v_add3_u32 v26, v30, v21, v27
	v_mul_lo_u32 v21, v18, s9
	v_mad_co_u64_u32 v[29:30], null, v18, s8, 0
	v_mul_lo_u32 v25, v20, s9
	v_add3_u32 v16, v19, v16, v31
	v_mul_lo_u32 v2, v26, s8
	v_mad_co_u64_u32 v[31:32], null, v20, s8, 0
	v_lshlrev_b64_e32 v[23:24], 1, v[23:24]
	v_add3_u32 v30, v30, v21, v33
	v_mul_lo_u32 v19, v16, s8
	v_mul_lo_u32 v21, v15, s9
	v_mad_co_u64_u32 v[33:34], null, v15, s8, 0
	v_add3_u32 v32, v32, v25, v2
	v_lshlrev_b64_e32 v[29:30], 1, v[29:30]
	v_add_co_u32 v23, vcc_lo, s2, v23
	s_wait_alu 0xfffd
	v_add_co_ci_u32_e64 v24, null, s3, v24, vcc_lo
	v_add3_u32 v34, v34, v21, v19
	v_lshlrev_b64_e32 v[31:32], 1, v[31:32]
	v_add_co_u32 v29, vcc_lo, s2, v29
	s_wait_alu 0xfffd
	v_add_co_ci_u32_e64 v30, null, s3, v30, vcc_lo
	v_lshlrev_b64_e32 v[33:34], 1, v[33:34]
	s_delay_alu instid0(VALU_DEP_4) | instskip(SKIP_3) | instid1(VALU_DEP_4)
	v_add_co_u32 v31, vcc_lo, s2, v31
	s_wait_alu 0xfffd
	v_add_co_ci_u32_e64 v32, null, s3, v32, vcc_lo
	v_mov_b32_e32 v2, 0
	v_add_co_u32 v33, vcc_lo, s2, v33
	s_wait_alu 0xfffd
	v_add_co_ci_u32_e64 v34, null, s3, v34, vcc_lo
	s_clause 0x3
	global_load_u16 v21, v[23:24], off
	global_load_u16 v19, v[29:30], off
	;; [unrolled: 1-line block ×6, first 2 shown]
	v_mov_b32_e32 v23, 0
	s_and_not1_b32 vcc_lo, exec_lo, s33
	s_wait_alu 0xfffe
	s_cbranch_vccnz .LBB30_9
; %bb.8:                                ;   in Loop: Header=BB30_3 Depth=1
	global_load_u16 v23, v[11:12], off
	s_wait_loadcnt 0x0
	v_lshlrev_b32_e32 v23, 16, v23
.LBB30_9:                               ;   in Loop: Header=BB30_3 Depth=1
	s_and_not1_b32 vcc_lo, exec_lo, s34
	s_wait_alu 0xfffe
	s_cbranch_vccnz .LBB30_11
; %bb.10:                               ;   in Loop: Header=BB30_3 Depth=1
	global_load_u16 v2, v[13:14], off
	s_wait_loadcnt 0x0
	v_lshlrev_b32_e32 v2, 16, v2
.LBB30_11:                              ;   in Loop: Header=BB30_3 Depth=1
	s_wait_loadcnt 0x0
	v_lshlrev_b32_e32 v29, 16, v29
                                        ; implicit-def: $vgpr30
	s_delay_alu instid0(VALU_DEP_1)
	v_cmp_ngt_f32_e64 s0, 0x3f200000, |v29|
	s_and_saveexec_b32 s29, s0
	s_wait_alu 0xfffe
	s_xor_b32 s0, exec_lo, s29
	s_cbranch_execz .LBB30_13
; %bb.12:                               ;   in Loop: Header=BB30_3 Depth=1
	v_add_f32_e64 v30, |v29|, |v29|
	s_delay_alu instid0(VALU_DEP_1) | instskip(SKIP_1) | instid1(VALU_DEP_2)
	v_mul_f32_e32 v31, 0x3fb8aa3b, v30
	v_cmp_ngt_f32_e32 vcc_lo, 0xc2ce8ed0, v30
	v_rndne_f32_e32 v32, v31
	v_fma_f32 v33, 0x3fb8aa3b, v30, -v31
	s_delay_alu instid0(VALU_DEP_2) | instskip(NEXT) | instid1(VALU_DEP_2)
	v_sub_f32_e32 v31, v31, v32
	v_fmac_f32_e32 v33, 0x32a5705f, v30
	v_cvt_i32_f32_e32 v32, v32
	s_delay_alu instid0(VALU_DEP_2) | instskip(NEXT) | instid1(VALU_DEP_1)
	v_add_f32_e32 v31, v31, v33
	v_exp_f32_e32 v31, v31
	s_delay_alu instid0(TRANS32_DEP_1) | instskip(SKIP_1) | instid1(VALU_DEP_1)
	v_ldexp_f32 v31, v31, v32
	s_wait_alu 0xfffd
	v_cndmask_b32_e32 v31, 0, v31, vcc_lo
	v_cmp_nlt_f32_e32 vcc_lo, 0x42b17218, v30
	s_wait_alu 0xfffd
	s_delay_alu instid0(VALU_DEP_2) | instskip(NEXT) | instid1(VALU_DEP_1)
	v_cndmask_b32_e32 v30, 0x7f800000, v31, vcc_lo
	v_add_f32_e32 v30, 1.0, v30
	s_delay_alu instid0(VALU_DEP_1) | instskip(NEXT) | instid1(TRANS32_DEP_1)
	v_rcp_f32_e32 v30, v30
	v_fma_f32 v30, v30, -2.0, 1.0
.LBB30_13:                              ;   in Loop: Header=BB30_3 Depth=1
	s_wait_alu 0xfffe
	s_and_not1_saveexec_b32 s0, s0
	s_cbranch_execz .LBB30_2
; %bb.14:                               ;   in Loop: Header=BB30_3 Depth=1
	v_mul_f32_e32 v30, v29, v29
	s_delay_alu instid0(VALU_DEP_1) | instskip(NEXT) | instid1(VALU_DEP_1)
	v_fmaak_f32 v31, s17, v30, 0x3ca908c9
	v_fmaak_f32 v31, v30, v31, 0xbd5c1c4e
	s_delay_alu instid0(VALU_DEP_1) | instskip(NEXT) | instid1(VALU_DEP_1)
	v_fmaak_f32 v31, v30, v31, 0x3e088382
	v_fmaak_f32 v31, v30, v31, 0xbeaaaa99
	s_delay_alu instid0(VALU_DEP_1) | instskip(NEXT) | instid1(VALU_DEP_1)
	v_mul_f32_e64 v31, |v29|, v31
	v_fma_f32 v30, v30, v31, |v29|
	s_branch .LBB30_2
.LBB30_15:
	s_endpgm
	.section	.rodata,"a",@progbits
	.p2align	6, 0x0
	.amdhsa_kernel _ZN2at6native12_GLOBAL__N_16kernel18lstm_cell_backwardIN3c108BFloat16EflLi1EEEvNS_4cuda6detail10TensorInfoIT_T1_EESB_SB_SB_SB_SB_SB_SA_SA_
		.amdhsa_group_segment_fixed_size 0
		.amdhsa_private_segment_fixed_size 0
		.amdhsa_kernarg_size 3184
		.amdhsa_user_sgpr_count 2
		.amdhsa_user_sgpr_dispatch_ptr 0
		.amdhsa_user_sgpr_queue_ptr 0
		.amdhsa_user_sgpr_kernarg_segment_ptr 1
		.amdhsa_user_sgpr_dispatch_id 0
		.amdhsa_user_sgpr_private_segment_size 0
		.amdhsa_wavefront_size32 1
		.amdhsa_uses_dynamic_stack 0
		.amdhsa_enable_private_segment 0
		.amdhsa_system_sgpr_workgroup_id_x 1
		.amdhsa_system_sgpr_workgroup_id_y 0
		.amdhsa_system_sgpr_workgroup_id_z 0
		.amdhsa_system_sgpr_workgroup_info 0
		.amdhsa_system_vgpr_workitem_id 0
		.amdhsa_next_free_vgpr 35
		.amdhsa_next_free_sgpr 47
		.amdhsa_reserve_vcc 1
		.amdhsa_float_round_mode_32 0
		.amdhsa_float_round_mode_16_64 0
		.amdhsa_float_denorm_mode_32 3
		.amdhsa_float_denorm_mode_16_64 3
		.amdhsa_fp16_overflow 0
		.amdhsa_workgroup_processor_mode 1
		.amdhsa_memory_ordered 1
		.amdhsa_forward_progress 1
		.amdhsa_inst_pref_size 26
		.amdhsa_round_robin_scheduling 0
		.amdhsa_exception_fp_ieee_invalid_op 0
		.amdhsa_exception_fp_denorm_src 0
		.amdhsa_exception_fp_ieee_div_zero 0
		.amdhsa_exception_fp_ieee_overflow 0
		.amdhsa_exception_fp_ieee_underflow 0
		.amdhsa_exception_fp_ieee_inexact 0
		.amdhsa_exception_int_div_zero 0
	.end_amdhsa_kernel
	.section	.text._ZN2at6native12_GLOBAL__N_16kernel18lstm_cell_backwardIN3c108BFloat16EflLi1EEEvNS_4cuda6detail10TensorInfoIT_T1_EESB_SB_SB_SB_SB_SB_SA_SA_,"axG",@progbits,_ZN2at6native12_GLOBAL__N_16kernel18lstm_cell_backwardIN3c108BFloat16EflLi1EEEvNS_4cuda6detail10TensorInfoIT_T1_EESB_SB_SB_SB_SB_SB_SA_SA_,comdat
.Lfunc_end30:
	.size	_ZN2at6native12_GLOBAL__N_16kernel18lstm_cell_backwardIN3c108BFloat16EflLi1EEEvNS_4cuda6detail10TensorInfoIT_T1_EESB_SB_SB_SB_SB_SB_SA_SA_, .Lfunc_end30-_ZN2at6native12_GLOBAL__N_16kernel18lstm_cell_backwardIN3c108BFloat16EflLi1EEEvNS_4cuda6detail10TensorInfoIT_T1_EESB_SB_SB_SB_SB_SB_SA_SA_
                                        ; -- End function
	.set _ZN2at6native12_GLOBAL__N_16kernel18lstm_cell_backwardIN3c108BFloat16EflLi1EEEvNS_4cuda6detail10TensorInfoIT_T1_EESB_SB_SB_SB_SB_SB_SA_SA_.num_vgpr, 35
	.set _ZN2at6native12_GLOBAL__N_16kernel18lstm_cell_backwardIN3c108BFloat16EflLi1EEEvNS_4cuda6detail10TensorInfoIT_T1_EESB_SB_SB_SB_SB_SB_SA_SA_.num_agpr, 0
	.set _ZN2at6native12_GLOBAL__N_16kernel18lstm_cell_backwardIN3c108BFloat16EflLi1EEEvNS_4cuda6detail10TensorInfoIT_T1_EESB_SB_SB_SB_SB_SB_SA_SA_.numbered_sgpr, 47
	.set _ZN2at6native12_GLOBAL__N_16kernel18lstm_cell_backwardIN3c108BFloat16EflLi1EEEvNS_4cuda6detail10TensorInfoIT_T1_EESB_SB_SB_SB_SB_SB_SA_SA_.num_named_barrier, 0
	.set _ZN2at6native12_GLOBAL__N_16kernel18lstm_cell_backwardIN3c108BFloat16EflLi1EEEvNS_4cuda6detail10TensorInfoIT_T1_EESB_SB_SB_SB_SB_SB_SA_SA_.private_seg_size, 0
	.set _ZN2at6native12_GLOBAL__N_16kernel18lstm_cell_backwardIN3c108BFloat16EflLi1EEEvNS_4cuda6detail10TensorInfoIT_T1_EESB_SB_SB_SB_SB_SB_SA_SA_.uses_vcc, 1
	.set _ZN2at6native12_GLOBAL__N_16kernel18lstm_cell_backwardIN3c108BFloat16EflLi1EEEvNS_4cuda6detail10TensorInfoIT_T1_EESB_SB_SB_SB_SB_SB_SA_SA_.uses_flat_scratch, 0
	.set _ZN2at6native12_GLOBAL__N_16kernel18lstm_cell_backwardIN3c108BFloat16EflLi1EEEvNS_4cuda6detail10TensorInfoIT_T1_EESB_SB_SB_SB_SB_SB_SA_SA_.has_dyn_sized_stack, 0
	.set _ZN2at6native12_GLOBAL__N_16kernel18lstm_cell_backwardIN3c108BFloat16EflLi1EEEvNS_4cuda6detail10TensorInfoIT_T1_EESB_SB_SB_SB_SB_SB_SA_SA_.has_recursion, 0
	.set _ZN2at6native12_GLOBAL__N_16kernel18lstm_cell_backwardIN3c108BFloat16EflLi1EEEvNS_4cuda6detail10TensorInfoIT_T1_EESB_SB_SB_SB_SB_SB_SA_SA_.has_indirect_call, 0
	.section	.AMDGPU.csdata,"",@progbits
; Kernel info:
; codeLenInByte = 3212
; TotalNumSgprs: 49
; NumVgprs: 35
; ScratchSize: 0
; MemoryBound: 0
; FloatMode: 240
; IeeeMode: 1
; LDSByteSize: 0 bytes/workgroup (compile time only)
; SGPRBlocks: 0
; VGPRBlocks: 4
; NumSGPRsForWavesPerEU: 49
; NumVGPRsForWavesPerEU: 35
; Occupancy: 16
; WaveLimiterHint : 1
; COMPUTE_PGM_RSRC2:SCRATCH_EN: 0
; COMPUTE_PGM_RSRC2:USER_SGPR: 2
; COMPUTE_PGM_RSRC2:TRAP_HANDLER: 0
; COMPUTE_PGM_RSRC2:TGID_X_EN: 1
; COMPUTE_PGM_RSRC2:TGID_Y_EN: 0
; COMPUTE_PGM_RSRC2:TGID_Z_EN: 0
; COMPUTE_PGM_RSRC2:TIDIG_COMP_CNT: 0
	.section	.text._ZN2at6native12_GLOBAL__N_16kernel18lstm_cell_backwardIN3c108BFloat16EflLi2EEEvNS_4cuda6detail10TensorInfoIT_T1_EESB_SB_SB_SB_SB_SB_SA_SA_,"axG",@progbits,_ZN2at6native12_GLOBAL__N_16kernel18lstm_cell_backwardIN3c108BFloat16EflLi2EEEvNS_4cuda6detail10TensorInfoIT_T1_EESB_SB_SB_SB_SB_SB_SA_SA_,comdat
	.globl	_ZN2at6native12_GLOBAL__N_16kernel18lstm_cell_backwardIN3c108BFloat16EflLi2EEEvNS_4cuda6detail10TensorInfoIT_T1_EESB_SB_SB_SB_SB_SB_SA_SA_ ; -- Begin function _ZN2at6native12_GLOBAL__N_16kernel18lstm_cell_backwardIN3c108BFloat16EflLi2EEEvNS_4cuda6detail10TensorInfoIT_T1_EESB_SB_SB_SB_SB_SB_SA_SA_
	.p2align	8
	.type	_ZN2at6native12_GLOBAL__N_16kernel18lstm_cell_backwardIN3c108BFloat16EflLi2EEEvNS_4cuda6detail10TensorInfoIT_T1_EESB_SB_SB_SB_SB_SB_SA_SA_,@function
_ZN2at6native12_GLOBAL__N_16kernel18lstm_cell_backwardIN3c108BFloat16EflLi2EEEvNS_4cuda6detail10TensorInfoIT_T1_EESB_SB_SB_SB_SB_SB_SA_SA_: ; @_ZN2at6native12_GLOBAL__N_16kernel18lstm_cell_backwardIN3c108BFloat16EflLi2EEEvNS_4cuda6detail10TensorInfoIT_T1_EESB_SB_SB_SB_SB_SB_SA_SA_
; %bb.0:
	s_clause 0x1
	s_load_b32 s2, s[0:1], 0xb7c
	s_load_b128 s[4:7], s[0:1], 0xb60
	v_mov_b32_e32 v1, 0
	s_wait_kmcnt 0x0
	s_and_b32 s64, s2, 0xffff
	s_mov_b32 s2, exec_lo
	s_delay_alu instid0(VALU_DEP_1) | instskip(SKIP_1) | instid1(VALU_DEP_1)
	v_mad_co_u64_u32 v[3:4], null, ttmp9, s64, v[0:1]
	v_mov_b32_e32 v4, v1
	v_cmpx_gt_i64_e64 s[6:7], v[3:4]
	s_cbranch_execz .LBB31_68
; %bb.1:
	s_clause 0x1
	s_load_b64 s[2:3], s[0:1], 0x0
	s_load_b64 s[34:35], s[0:1], 0x10
	v_cvt_f32_u32_e32 v0, s4
	s_add_nc_u64 s[20:21], s[0:1], 0xb70
	s_clause 0x8
	s_load_b128 s[8:11], s[0:1], 0xd0
	s_load_b64 s[40:41], s[0:1], 0x1a0
	s_load_b64 s[42:43], s[0:1], 0x680
	;; [unrolled: 1-line block ×3, first 2 shown]
	s_load_b128 s[12:15], s[0:1], 0x270
	s_load_b128 s[16:19], s[0:1], 0x750
	s_load_b64 s[46:47], s[0:1], 0x820
	s_load_b64 s[48:49], s[0:1], 0x340
	;; [unrolled: 1-line block ×3, first 2 shown]
	s_load_b32 s65, s[20:21], 0x0
	s_clause 0x9
	s_load_b128 s[20:23], s[0:1], 0x410
	s_load_b64 s[52:53], s[0:1], 0x4e0
	s_load_b64 s[54:55], s[0:1], 0x4f0
	s_load_b128 s[24:27], s[0:1], 0x5b0
	s_load_b64 s[56:57], s[0:1], 0x690
	s_load_b64 s[58:59], s[0:1], 0x9c0
	;; [unrolled: 1-line block ×4, first 2 shown]
	s_load_b128 s[28:31], s[0:1], 0x8f0
	s_load_b128 s[36:39], s[0:1], 0xa90
	s_mov_b32 s1, 0
	v_rcp_iflag_f32_e32 v0, v0
	s_mov_b32 s82, 0xbbbac73d
	s_mov_b32 s83, 0
	s_wait_kmcnt 0x0
	s_cmp_lg_u64 s[42:43], 0
	s_cselect_b32 s33, -1, 0
	s_cmp_lg_u64 s[46:47], 0
	s_cselect_b32 s80, -1, 0
	s_delay_alu instid0(TRANS32_DEP_1)
	v_mul_f32_e32 v0, 0x4f7ffffe, v0
	s_mul_i32 s81, s65, s64
	s_mul_u64 s[64:65], s[4:5], 3
	s_sub_nc_u64 s[66:67], 0, s[50:51]
	v_cvt_f32_u32_e32 v2, s34
	v_cvt_u32_f32_e32 v0, v0
	s_sub_nc_u64 s[68:69], 0, s[54:55]
	s_sub_nc_u64 s[70:71], 0, s[60:61]
	;; [unrolled: 1-line block ×3, first 2 shown]
	v_rcp_iflag_f32_e32 v2, v2
	s_sub_nc_u64 s[74:75], 0, s[62:63]
	s_delay_alu instid0(TRANS32_DEP_1) | instskip(NEXT) | instid1(VALU_DEP_1)
	v_mul_f32_e32 v2, 0x4f7ffffe, v2
	v_cvt_u32_f32_e32 v25, v2
	s_branch .LBB31_3
.LBB31_2:                               ;   in Loop: Header=BB31_3 Depth=1
	s_wait_alu 0xfffe
	s_or_b32 exec_lo, exec_lo, s0
	v_mul_lo_u32 v38, v20, s44
	v_mul_lo_u32 v39, v19, s45
	v_mad_co_u64_u32 v[35:36], null, v19, s44, 0
	v_mad_co_u64_u32 v[33:34], null, s70, v21, v[3:4]
	v_mul_lo_u32 v31, s70, v22
	v_mul_lo_u32 v37, s71, v21
	;; [unrolled: 1-line block ×4, first 2 shown]
	v_add3_u32 v36, v36, v39, v38
	v_sub_co_u32 v11, vcc_lo, v11, v35
	v_mul_lo_u32 v41, v33, s39
	v_mul_lo_u32 v38, v18, s44
	v_add3_u32 v31, v37, v34, v31
	v_mul_lo_u32 v37, v22, s36
	v_mad_co_u64_u32 v[21:22], null, v21, s36, 0
	s_wait_alu 0xfffd
	v_sub_co_ci_u32_e64 v12, null, v12, v36, vcc_lo
	v_mul_lo_u32 v31, v31, s38
	v_mad_co_u64_u32 v[33:34], null, v33, s38, 0
	v_add_co_u32 v35, vcc_lo, v3, v11
	v_add3_u32 v22, v22, v40, v37
	s_wait_alu 0xfffd
	v_add_co_ci_u32_e64 v36, null, v4, v12, vcc_lo
	s_delay_alu instid0(VALU_DEP_3) | instskip(SKIP_2) | instid1(VALU_DEP_4)
	v_mul_lo_u32 v37, v35, s15
	v_add3_u32 v34, v34, v41, v31
	v_lshlrev_b64_e32 v[11:12], 1, v[21:22]
	v_mul_lo_u32 v31, v36, s14
	v_mad_co_u64_u32 v[21:22], null, v35, s14, 0
	v_mul_lo_u32 v39, v17, s45
	v_mad_co_u64_u32 v[35:36], null, v17, s44, 0
	v_add_co_u32 v40, vcc_lo, s58, v11
	s_wait_alu 0xfffd
	v_add_co_ci_u32_e64 v41, null, s59, v12, vcc_lo
	v_mul_lo_u32 v43, v19, s13
	v_mad_co_u64_u32 v[11:12], null, v19, s12, 0
	v_lshlrev_b64_e32 v[19:20], 1, v[33:34]
	v_add3_u32 v33, v36, v39, v38
	v_sub_co_u32 v9, vcc_lo, v9, v35
	v_add3_u32 v22, v22, v37, v31
	v_mul_lo_u32 v38, v16, s44
	s_wait_alu 0xfffd
	v_sub_co_ci_u32_e64 v10, null, v10, v33, vcc_lo
	v_add3_u32 v12, v12, v43, v42
	v_add_co_u32 v31, vcc_lo, v3, v9
	s_wait_alu 0xfffd
	s_delay_alu instid0(VALU_DEP_3) | instskip(NEXT) | instid1(VALU_DEP_3)
	v_add_co_ci_u32_e64 v33, null, v4, v10, vcc_lo
	v_lshlrev_b64_e32 v[11:12], 1, v[11:12]
	v_add_co_u32 v9, vcc_lo, v40, v19
	s_delay_alu instid0(VALU_DEP_3)
	v_mul_lo_u32 v35, v33, s14
	v_mul_lo_u32 v39, v15, s45
	v_mad_co_u64_u32 v[33:34], null, v15, s44, 0
	s_wait_alu 0xfffd
	v_add_co_ci_u32_e64 v10, null, v41, v20, vcc_lo
	v_lshlrev_b64_e32 v[19:20], 1, v[21:22]
	v_mul_lo_u32 v36, v31, s15
	v_mad_co_u64_u32 v[21:22], null, v31, s14, 0
	v_mul_lo_u32 v31, v18, s12
	v_mul_lo_u32 v37, v17, s13
	v_mad_co_u64_u32 v[17:18], null, v17, s12, 0
	v_add_co_u32 v11, vcc_lo, s40, v11
	s_wait_alu 0xfffd
	v_add_co_ci_u32_e64 v12, null, s41, v12, vcc_lo
	v_add3_u32 v22, v22, v36, v35
	s_delay_alu instid0(VALU_DEP_3)
	v_add_co_u32 v11, vcc_lo, v11, v19
	v_add3_u32 v19, v34, v39, v38
	v_add3_u32 v18, v18, v37, v31
	s_wait_alu 0xfffd
	v_add_co_ci_u32_e64 v12, null, v12, v20, vcc_lo
	v_sub_co_u32 v20, vcc_lo, v7, v33
	s_wait_alu 0xfffd
	v_sub_co_ci_u32_e64 v19, null, v8, v19, vcc_lo
	v_mul_lo_u32 v31, v16, s12
	v_mul_lo_u32 v33, v15, s13
	v_mad_co_u64_u32 v[7:8], null, v15, s12, 0
	v_lshlrev_b64_e32 v[17:18], 1, v[17:18]
	v_add_co_u32 v20, vcc_lo, v3, v20
	s_wait_alu 0xfffd
	v_add_co_ci_u32_e64 v19, null, v4, v19, vcc_lo
	v_lshlrev_b64_e32 v[15:16], 1, v[21:22]
	s_delay_alu instid0(VALU_DEP_4)
	v_add_co_u32 v34, vcc_lo, s40, v17
	v_add3_u32 v8, v8, v33, v31
	s_wait_alu 0xfffd
	v_add_co_ci_u32_e64 v35, null, s41, v18, vcc_lo
	v_mul_lo_u32 v21, v19, s14
	v_mul_lo_u32 v22, v20, s15
	v_mad_co_u64_u32 v[17:18], null, v20, s14, 0
	v_mul_lo_u32 v31, v14, s44
	v_mul_lo_u32 v33, v13, s45
	v_mad_co_u64_u32 v[19:20], null, v13, s44, 0
	v_lshlrev_b64_e32 v[7:8], 1, v[7:8]
	v_add_co_u32 v15, vcc_lo, v34, v15
	s_wait_alu 0xfffd
	v_add_co_ci_u32_e64 v16, null, v35, v16, vcc_lo
	v_add3_u32 v18, v18, v22, v21
	v_add3_u32 v20, v20, v33, v31
	v_add_co_u32 v21, vcc_lo, s40, v7
	s_wait_alu 0xfffd
	v_add_co_ci_u32_e64 v22, null, s41, v8, vcc_lo
	v_sub_co_u32 v5, vcc_lo, v5, v19
	s_wait_alu 0xfffd
	v_sub_co_ci_u32_e64 v6, null, v6, v20, vcc_lo
	v_lshlrev_b64_e32 v[7:8], 1, v[17:18]
	s_delay_alu instid0(VALU_DEP_3)
	v_add_co_u32 v19, vcc_lo, v3, v5
	v_bfi_b32 v17, 0x7fffffff, v24, v23
	s_wait_alu 0xfffd
	v_add_co_ci_u32_e64 v20, null, v4, v6, vcc_lo
	v_mul_lo_u32 v23, v14, s12
	v_mul_lo_u32 v24, v13, s13
	v_mad_co_u64_u32 v[5:6], null, v13, s12, 0
	v_lshlrev_b32_e32 v26, 16, v26
	v_lshlrev_b32_e32 v28, 16, v28
	v_mul_lo_u32 v20, v20, s14
	v_mul_lo_u32 v31, v19, s15
	v_add_co_u32 v7, vcc_lo, v21, v7
	v_add3_u32 v6, v6, v24, v23
	v_dual_sub_f32 v23, 1.0, v26 :: v_dual_lshlrev_b32 v18, 16, v29
	v_fma_f32 v29, -v17, v17, 1.0
	v_lshlrev_b32_e32 v21, 16, v30
	s_delay_alu instid0(VALU_DEP_4) | instskip(SKIP_3) | instid1(VALU_DEP_1)
	v_lshlrev_b64_e32 v[5:6], 1, v[5:6]
	s_wait_alu 0xfffd
	v_add_co_ci_u32_e64 v8, null, v22, v8, vcc_lo
	v_mul_f32_e32 v14, v32, v18
	v_fmac_f32_e32 v2, v14, v29
	v_mad_co_u64_u32 v[13:14], null, v19, s14, 0
	s_delay_alu instid0(VALU_DEP_2) | instskip(NEXT) | instid1(VALU_DEP_2)
	v_mul_f32_e32 v19, v2, v28
	v_add3_u32 v14, v14, v31, v20
	s_delay_alu instid0(VALU_DEP_2)
	v_mul_f32_e32 v19, v23, v19
	v_add_co_u32 v23, vcc_lo, s40, v5
	s_wait_alu 0xfffd
	v_add_co_ci_u32_e64 v24, null, s41, v6, vcc_lo
	v_lshlrev_b64_e32 v[5:6], 1, v[13:14]
	v_dual_mul_f32 v13, v32, v17 :: v_dual_lshlrev_b32 v22, 16, v27
	v_dual_mul_f32 v19, v19, v26 :: v_dual_mul_f32 v20, v2, v21
	v_mul_f32_e32 v17, v2, v26
	s_delay_alu instid0(VALU_DEP_4) | instskip(NEXT) | instid1(VALU_DEP_4)
	v_add_co_u32 v5, vcc_lo, v23, v5
	v_sub_f32_e32 v21, 1.0, v22
	s_delay_alu instid0(VALU_DEP_4)
	v_bfe_u32 v14, v19, 16, 1
	s_wait_alu 0xfffd
	v_add_co_ci_u32_e64 v6, null, v24, v6, vcc_lo
	v_cmp_o_f32_e32 vcc_lo, v19, v19
	v_mul_f32_e32 v20, v21, v20
	v_fma_f32 v21, -v28, v28, 1.0
	v_add3_u32 v14, v19, v14, 0x7fff
	v_mul_f32_e32 v2, v2, v22
	s_delay_alu instid0(VALU_DEP_3) | instskip(NEXT) | instid1(VALU_DEP_3)
	v_dual_mul_f32 v20, v20, v22 :: v_dual_mul_f32 v17, v21, v17
	v_lshrrev_b32_e32 v14, 16, v14
	s_delay_alu instid0(VALU_DEP_2) | instskip(NEXT) | instid1(VALU_DEP_3)
	v_bfe_u32 v23, v20, 16, 1
	v_bfe_u32 v21, v17, 16, 1
	s_wait_alu 0xfffd
	s_delay_alu instid0(VALU_DEP_3)
	v_cndmask_b32_e32 v14, 0x7fc0, v14, vcc_lo
	v_cmp_o_f32_e32 vcc_lo, v20, v20
	v_add3_u32 v19, v20, v23, 0x7fff
	global_store_b16 v[5:6], v14, off
	v_add3_u32 v6, v17, v21, 0x7fff
	v_lshrrev_b32_e32 v5, 16, v19
	v_sub_f32_e32 v26, 1.0, v18
	s_delay_alu instid0(VALU_DEP_3) | instskip(SKIP_1) | instid1(VALU_DEP_3)
	v_lshrrev_b32_e32 v6, 16, v6
	s_wait_alu 0xfffd
	v_cndmask_b32_e32 v5, 0x7fc0, v5, vcc_lo
	v_add_co_u32 v3, vcc_lo, v3, s81
	s_wait_alu 0xfffd
	v_add_co_ci_u32_e64 v4, null, 0, v4, vcc_lo
	v_cmp_o_f32_e32 vcc_lo, v17, v17
	s_wait_alu 0xfffd
	v_dual_mul_f32 v13, v26, v13 :: v_dual_cndmask_b32 v6, 0x7fc0, v6
	s_delay_alu instid0(VALU_DEP_1)
	v_mul_f32_e32 v13, v13, v18
	v_bfe_u32 v18, v2, 16, 1
	v_cmp_le_i64_e32 vcc_lo, s[6:7], v[3:4]
	s_clause 0x1
	global_store_b16 v[7:8], v5, off
	global_store_b16 v[15:16], v6, off
	v_bfe_u32 v14, v13, 16, 1
	v_add3_u32 v18, v2, v18, 0x7fff
	v_cmp_o_f32_e64 s0, v13, v13
	s_or_b32 s83, vcc_lo, s83
	v_add3_u32 v14, v13, v14, 0x7fff
	v_lshrrev_b32_e32 v17, 16, v18
	s_delay_alu instid0(VALU_DEP_2) | instskip(NEXT) | instid1(VALU_DEP_1)
	v_lshrrev_b32_e32 v14, 16, v14
	v_cndmask_b32_e64 v13, 0x7fc0, v14, s0
	v_cmp_o_f32_e64 s0, v2, v2
	s_wait_alu 0xf1ff
	s_delay_alu instid0(VALU_DEP_1)
	v_cndmask_b32_e64 v2, 0x7fc0, v17, s0
	global_store_b16 v[11:12], v13, off
	global_store_b16 v[9:10], v2, off
	s_wait_alu 0xfffe
	s_and_not1_b32 exec_lo, exec_lo, s83
	s_cbranch_execz .LBB31_68
.LBB31_3:                               ; =>This Inner Loop Header: Depth=1
	v_or_b32_e32 v2, s5, v4
                                        ; implicit-def: $vgpr7_vgpr8
	s_mov_b32 s0, exec_lo
	s_delay_alu instid0(VALU_DEP_1)
	v_cmpx_ne_u64_e32 0, v[1:2]
	s_wait_alu 0xfffe
	s_xor_b32 s84, exec_lo, s0
	s_cbranch_execz .LBB31_5
; %bb.4:                                ;   in Loop: Header=BB31_3 Depth=1
	s_ashr_i32 s76, s5, 31
	v_ashrrev_i32_e32 v2, 31, v4
	s_wait_alu 0xfffe
	s_mov_b32 s77, s76
	s_wait_alu 0xfffe
	s_add_nc_u64 s[78:79], s[4:5], s[76:77]
	v_add_co_u32 v5, vcc_lo, v3, v2
	s_wait_alu 0xfffe
	s_xor_b64 s[78:79], s[78:79], s[76:77]
	s_wait_alu 0xfffd
	v_add_co_ci_u32_e64 v6, null, v4, v2, vcc_lo
	s_wait_alu 0xfffe
	s_cvt_f32_u32 s0, s78
	s_cvt_f32_u32 s77, s79
	s_sub_nc_u64 s[88:89], 0, s[78:79]
	v_xor_b32_e32 v11, v5, v2
	v_xor_b32_e32 v12, v6, v2
	s_wait_alu 0xfffe
	s_fmamk_f32 s0, s77, 0x4f800000, s0
	v_xor_b32_e32 v2, s76, v2
	s_wait_alu 0xfffe
	s_delay_alu instid0(SALU_CYCLE_1) | instskip(NEXT) | instid1(TRANS32_DEP_1)
	v_s_rcp_f32 s0, s0
	s_mul_f32 s0, s0, 0x5f7ffffc
	s_wait_alu 0xfffe
	s_delay_alu instid0(SALU_CYCLE_2) | instskip(SKIP_1) | instid1(SALU_CYCLE_2)
	s_mul_f32 s77, s0, 0x2f800000
	s_wait_alu 0xfffe
	s_trunc_f32 s77, s77
	s_wait_alu 0xfffe
	s_delay_alu instid0(SALU_CYCLE_2) | instskip(SKIP_2) | instid1(SALU_CYCLE_1)
	s_fmamk_f32 s0, s77, 0xcf800000, s0
	s_cvt_u32_f32 s87, s77
	s_wait_alu 0xfffe
	s_cvt_u32_f32 s86, s0
	s_delay_alu instid0(SALU_CYCLE_3) | instskip(NEXT) | instid1(SALU_CYCLE_1)
	s_mul_u64 s[90:91], s[88:89], s[86:87]
	s_mul_hi_u32 s93, s86, s91
	s_mul_i32 s92, s86, s91
	s_mul_hi_u32 s0, s86, s90
	s_mul_i32 s85, s87, s90
	s_wait_alu 0xfffe
	s_add_nc_u64 s[92:93], s[0:1], s[92:93]
	s_mul_hi_u32 s77, s87, s90
	s_mul_hi_u32 s94, s87, s91
	s_add_co_u32 s0, s92, s85
	s_wait_alu 0xfffe
	s_add_co_ci_u32 s0, s93, s77
	s_mul_i32 s90, s87, s91
	s_add_co_ci_u32 s91, s94, 0
	s_wait_alu 0xfffe
	s_add_nc_u64 s[90:91], s[0:1], s[90:91]
	s_delay_alu instid0(SALU_CYCLE_1) | instskip(SKIP_4) | instid1(SALU_CYCLE_1)
	s_add_co_u32 s86, s86, s90
	s_cselect_b32 s0, -1, 0
	s_wait_alu 0xfffe
	s_cmp_lg_u32 s0, 0
	s_add_co_ci_u32 s87, s87, s91
	s_mul_u64 s[88:89], s[88:89], s[86:87]
	s_delay_alu instid0(SALU_CYCLE_1)
	s_mul_hi_u32 s91, s86, s89
	s_mul_i32 s90, s86, s89
	s_mul_hi_u32 s0, s86, s88
	s_mul_i32 s85, s87, s88
	s_wait_alu 0xfffe
	s_add_nc_u64 s[90:91], s[0:1], s[90:91]
	s_mul_hi_u32 s77, s87, s88
	s_mul_hi_u32 s92, s87, s89
	s_add_co_u32 s0, s90, s85
	s_wait_alu 0xfffe
	s_add_co_ci_u32 s0, s91, s77
	s_mul_i32 s88, s87, s89
	s_add_co_ci_u32 s89, s92, 0
	s_wait_alu 0xfffe
	s_add_nc_u64 s[88:89], s[0:1], s[88:89]
	s_delay_alu instid0(SALU_CYCLE_1)
	s_add_co_u32 s0, s86, s88
	s_cselect_b32 s77, -1, 0
	s_wait_alu 0xfffe
	v_mul_hi_u32 v13, v11, s0
	s_cmp_lg_u32 s77, 0
	v_mad_co_u64_u32 v[7:8], null, v12, s0, 0
	s_add_co_ci_u32 s77, s87, s89
	s_wait_alu 0xfffe
	v_mad_co_u64_u32 v[5:6], null, v11, s77, 0
	v_mad_co_u64_u32 v[9:10], null, v12, s77, 0
	s_delay_alu instid0(VALU_DEP_2) | instskip(SKIP_1) | instid1(VALU_DEP_3)
	v_add_co_u32 v5, vcc_lo, v13, v5
	s_wait_alu 0xfffd
	v_add_co_ci_u32_e64 v6, null, 0, v6, vcc_lo
	s_delay_alu instid0(VALU_DEP_2) | instskip(SKIP_1) | instid1(VALU_DEP_2)
	v_add_co_u32 v5, vcc_lo, v5, v7
	s_wait_alu 0xfffd
	v_add_co_ci_u32_e32 v5, vcc_lo, v6, v8, vcc_lo
	s_wait_alu 0xfffd
	v_add_co_ci_u32_e32 v6, vcc_lo, 0, v10, vcc_lo
	s_delay_alu instid0(VALU_DEP_2) | instskip(SKIP_1) | instid1(VALU_DEP_2)
	v_add_co_u32 v7, vcc_lo, v5, v9
	s_wait_alu 0xfffd
	v_add_co_ci_u32_e64 v8, null, 0, v6, vcc_lo
	s_delay_alu instid0(VALU_DEP_2) | instskip(SKIP_1) | instid1(VALU_DEP_3)
	v_mul_lo_u32 v9, s79, v7
	v_mad_co_u64_u32 v[5:6], null, s78, v7, 0
	v_mul_lo_u32 v10, s78, v8
	s_delay_alu instid0(VALU_DEP_2) | instskip(NEXT) | instid1(VALU_DEP_2)
	v_sub_co_u32 v5, vcc_lo, v11, v5
	v_add3_u32 v6, v6, v10, v9
	v_add_co_u32 v10, s0, v7, 2
	s_wait_alu 0xf1ff
	v_add_co_ci_u32_e64 v11, null, 0, v8, s0
	s_delay_alu instid0(VALU_DEP_3) | instskip(SKIP_3) | instid1(VALU_DEP_3)
	v_sub_nc_u32_e32 v9, v12, v6
	v_sub_co_u32 v13, s0, v5, s78
	s_wait_alu 0xfffd
	v_sub_co_ci_u32_e64 v6, null, v12, v6, vcc_lo
	v_subrev_co_ci_u32_e64 v9, null, s79, v9, vcc_lo
	s_delay_alu instid0(VALU_DEP_3) | instskip(SKIP_1) | instid1(VALU_DEP_2)
	v_cmp_le_u32_e32 vcc_lo, s78, v13
	s_wait_alu 0xf1ff
	v_subrev_co_ci_u32_e64 v9, null, 0, v9, s0
	s_wait_alu 0xfffd
	v_cndmask_b32_e64 v12, 0, -1, vcc_lo
	s_delay_alu instid0(VALU_DEP_2)
	v_cmp_le_u32_e32 vcc_lo, s79, v9
	s_wait_alu 0xfffd
	v_cndmask_b32_e64 v13, 0, -1, vcc_lo
	v_cmp_le_u32_e32 vcc_lo, s78, v5
	s_wait_alu 0xfffd
	v_cndmask_b32_e64 v5, 0, -1, vcc_lo
	;; [unrolled: 3-line block ×3, first 2 shown]
	v_cmp_eq_u32_e32 vcc_lo, s79, v9
	s_wait_alu 0xfffd
	v_cndmask_b32_e32 v9, v13, v12, vcc_lo
	v_add_co_u32 v12, vcc_lo, v7, 1
	s_wait_alu 0xfffd
	v_add_co_ci_u32_e64 v13, null, 0, v8, vcc_lo
	v_cmp_eq_u32_e32 vcc_lo, s79, v6
	s_wait_alu 0xfffd
	v_cndmask_b32_e32 v5, v14, v5, vcc_lo
	v_cmp_ne_u32_e32 vcc_lo, 0, v9
	s_wait_alu 0xfffd
	v_cndmask_b32_e32 v6, v13, v11, vcc_lo
	s_delay_alu instid0(VALU_DEP_3) | instskip(SKIP_2) | instid1(VALU_DEP_2)
	v_cmp_ne_u32_e64 s0, 0, v5
	v_cndmask_b32_e32 v5, v12, v10, vcc_lo
	s_wait_alu 0xf1ff
	v_cndmask_b32_e64 v6, v8, v6, s0
	s_delay_alu instid0(VALU_DEP_2) | instskip(NEXT) | instid1(VALU_DEP_2)
	v_cndmask_b32_e64 v5, v7, v5, s0
	v_xor_b32_e32 v6, v6, v2
	s_delay_alu instid0(VALU_DEP_2) | instskip(NEXT) | instid1(VALU_DEP_1)
	v_xor_b32_e32 v5, v5, v2
	v_sub_co_u32 v7, vcc_lo, v5, v2
	s_wait_alu 0xfffd
	s_delay_alu instid0(VALU_DEP_3)
	v_sub_co_ci_u32_e64 v8, null, v6, v2, vcc_lo
.LBB31_5:                               ;   in Loop: Header=BB31_3 Depth=1
	s_and_not1_saveexec_b32 s0, s84
	s_cbranch_execz .LBB31_7
; %bb.6:                                ;   in Loop: Header=BB31_3 Depth=1
	s_sub_co_i32 s76, 0, s4
	v_mov_b32_e32 v8, v1
	s_wait_alu 0xfffe
	v_mul_lo_u32 v2, s76, v0
	s_delay_alu instid0(VALU_DEP_1) | instskip(NEXT) | instid1(VALU_DEP_1)
	v_mul_hi_u32 v2, v0, v2
	v_add_nc_u32_e32 v2, v0, v2
	s_delay_alu instid0(VALU_DEP_1) | instskip(NEXT) | instid1(VALU_DEP_1)
	v_mul_hi_u32 v2, v3, v2
	v_mul_lo_u32 v5, v2, s4
	v_add_nc_u32_e32 v6, 1, v2
	s_delay_alu instid0(VALU_DEP_2) | instskip(NEXT) | instid1(VALU_DEP_1)
	v_sub_nc_u32_e32 v5, v3, v5
	v_subrev_nc_u32_e32 v7, s4, v5
	v_cmp_le_u32_e32 vcc_lo, s4, v5
	s_wait_alu 0xfffd
	s_delay_alu instid0(VALU_DEP_2) | instskip(NEXT) | instid1(VALU_DEP_1)
	v_dual_cndmask_b32 v5, v5, v7 :: v_dual_cndmask_b32 v2, v2, v6
	v_cmp_le_u32_e32 vcc_lo, s4, v5
	s_delay_alu instid0(VALU_DEP_2) | instskip(SKIP_1) | instid1(VALU_DEP_1)
	v_add_nc_u32_e32 v6, 1, v2
	s_wait_alu 0xfffd
	v_cndmask_b32_e32 v7, v2, v6, vcc_lo
.LBB31_7:                               ;   in Loop: Header=BB31_3 Depth=1
	s_wait_alu 0xfffe
	s_or_b32 exec_lo, exec_lo, s0
	s_delay_alu instid0(VALU_DEP_1)
	v_mul_lo_u32 v2, s65, v7
	v_mul_lo_u32 v9, s64, v8
	v_mad_co_u64_u32 v[5:6], null, s64, v7, 0
	s_mov_b32 s0, exec_lo
	v_add3_u32 v6, v6, v9, v2
	v_add_co_u32 v16, vcc_lo, v3, v5
                                        ; implicit-def: $vgpr9_vgpr10
	s_wait_alu 0xfffd
	s_delay_alu instid0(VALU_DEP_2) | instskip(NEXT) | instid1(VALU_DEP_1)
	v_add_co_ci_u32_e64 v18, null, v4, v6, vcc_lo
	v_or_b32_e32 v2, s35, v18
	v_ashrrev_i32_e32 v15, 31, v18
	s_delay_alu instid0(VALU_DEP_2)
	v_cmpx_ne_u64_e32 0, v[1:2]
	s_wait_alu 0xfffe
	s_xor_b32 s84, exec_lo, s0
	s_cbranch_execz .LBB31_9
; %bb.8:                                ;   in Loop: Header=BB31_3 Depth=1
	s_ashr_i32 s76, s35, 31
	v_add_co_u32 v2, vcc_lo, v16, v15
	s_wait_alu 0xfffe
	s_mov_b32 s77, s76
	s_wait_alu 0xfffd
	v_add_co_ci_u32_e64 v9, null, v18, v15, vcc_lo
	s_wait_alu 0xfffe
	s_add_nc_u64 s[78:79], s[34:35], s[76:77]
	v_xor_b32_e32 v2, v2, v15
	s_wait_alu 0xfffe
	s_xor_b64 s[78:79], s[78:79], s[76:77]
	v_xor_b32_e32 v17, v9, v15
	s_wait_alu 0xfffe
	s_cvt_f32_u32 s0, s78
	s_cvt_f32_u32 s77, s79
	s_sub_nc_u64 s[88:89], 0, s[78:79]
	s_wait_alu 0xfffe
	s_delay_alu instid0(SALU_CYCLE_1) | instskip(SKIP_1) | instid1(SALU_CYCLE_2)
	s_fmamk_f32 s0, s77, 0x4f800000, s0
	s_wait_alu 0xfffe
	v_s_rcp_f32 s0, s0
	s_delay_alu instid0(TRANS32_DEP_1) | instskip(SKIP_1) | instid1(SALU_CYCLE_2)
	s_mul_f32 s0, s0, 0x5f7ffffc
	s_wait_alu 0xfffe
	s_mul_f32 s77, s0, 0x2f800000
	s_wait_alu 0xfffe
	s_delay_alu instid0(SALU_CYCLE_2) | instskip(SKIP_1) | instid1(SALU_CYCLE_2)
	s_trunc_f32 s77, s77
	s_wait_alu 0xfffe
	s_fmamk_f32 s0, s77, 0xcf800000, s0
	s_cvt_u32_f32 s87, s77
	s_wait_alu 0xfffe
	s_delay_alu instid0(SALU_CYCLE_1) | instskip(NEXT) | instid1(SALU_CYCLE_3)
	s_cvt_u32_f32 s86, s0
	s_mul_u64 s[90:91], s[88:89], s[86:87]
	s_delay_alu instid0(SALU_CYCLE_1)
	s_mul_hi_u32 s93, s86, s91
	s_mul_i32 s92, s86, s91
	s_mul_hi_u32 s0, s86, s90
	s_mul_i32 s85, s87, s90
	s_wait_alu 0xfffe
	s_add_nc_u64 s[92:93], s[0:1], s[92:93]
	s_mul_hi_u32 s77, s87, s90
	s_mul_hi_u32 s94, s87, s91
	s_add_co_u32 s0, s92, s85
	s_wait_alu 0xfffe
	s_add_co_ci_u32 s0, s93, s77
	s_mul_i32 s90, s87, s91
	s_add_co_ci_u32 s91, s94, 0
	s_wait_alu 0xfffe
	s_add_nc_u64 s[90:91], s[0:1], s[90:91]
	s_delay_alu instid0(SALU_CYCLE_1) | instskip(SKIP_4) | instid1(SALU_CYCLE_1)
	s_add_co_u32 s86, s86, s90
	s_cselect_b32 s0, -1, 0
	s_wait_alu 0xfffe
	s_cmp_lg_u32 s0, 0
	s_add_co_ci_u32 s87, s87, s91
	s_mul_u64 s[88:89], s[88:89], s[86:87]
	s_delay_alu instid0(SALU_CYCLE_1)
	s_mul_hi_u32 s91, s86, s89
	s_mul_i32 s90, s86, s89
	s_mul_hi_u32 s0, s86, s88
	s_mul_i32 s85, s87, s88
	s_wait_alu 0xfffe
	s_add_nc_u64 s[90:91], s[0:1], s[90:91]
	s_mul_hi_u32 s77, s87, s88
	s_mul_hi_u32 s92, s87, s89
	s_add_co_u32 s0, s90, s85
	s_wait_alu 0xfffe
	s_add_co_ci_u32 s0, s91, s77
	s_mul_i32 s88, s87, s89
	s_add_co_ci_u32 s89, s92, 0
	s_wait_alu 0xfffe
	s_add_nc_u64 s[88:89], s[0:1], s[88:89]
	s_delay_alu instid0(SALU_CYCLE_1)
	s_add_co_u32 s0, s86, s88
	s_cselect_b32 s77, -1, 0
	s_wait_alu 0xfffe
	v_mul_hi_u32 v19, v2, s0
	s_cmp_lg_u32 s77, 0
	v_mad_co_u64_u32 v[11:12], null, v17, s0, 0
	s_add_co_ci_u32 s77, s87, s89
	s_wait_alu 0xfffe
	v_mad_co_u64_u32 v[9:10], null, v2, s77, 0
	v_mad_co_u64_u32 v[13:14], null, v17, s77, 0
	s_delay_alu instid0(VALU_DEP_2) | instskip(SKIP_1) | instid1(VALU_DEP_3)
	v_add_co_u32 v9, vcc_lo, v19, v9
	s_wait_alu 0xfffd
	v_add_co_ci_u32_e64 v10, null, 0, v10, vcc_lo
	s_delay_alu instid0(VALU_DEP_2) | instskip(SKIP_1) | instid1(VALU_DEP_2)
	v_add_co_u32 v9, vcc_lo, v9, v11
	s_wait_alu 0xfffd
	v_add_co_ci_u32_e32 v9, vcc_lo, v10, v12, vcc_lo
	s_wait_alu 0xfffd
	v_add_co_ci_u32_e32 v10, vcc_lo, 0, v14, vcc_lo
	s_delay_alu instid0(VALU_DEP_2) | instskip(SKIP_1) | instid1(VALU_DEP_2)
	v_add_co_u32 v11, vcc_lo, v9, v13
	s_wait_alu 0xfffd
	v_add_co_ci_u32_e64 v12, null, 0, v10, vcc_lo
	s_delay_alu instid0(VALU_DEP_2) | instskip(SKIP_1) | instid1(VALU_DEP_3)
	v_mul_lo_u32 v13, s79, v11
	v_mad_co_u64_u32 v[9:10], null, s78, v11, 0
	v_mul_lo_u32 v14, s78, v12
	s_delay_alu instid0(VALU_DEP_2) | instskip(NEXT) | instid1(VALU_DEP_2)
	v_sub_co_u32 v2, vcc_lo, v2, v9
	v_add3_u32 v10, v10, v14, v13
	s_delay_alu instid0(VALU_DEP_1) | instskip(SKIP_2) | instid1(VALU_DEP_2)
	v_sub_nc_u32_e32 v13, v17, v10
	s_wait_alu 0xfffd
	v_sub_co_ci_u32_e64 v10, null, v17, v10, vcc_lo
	v_subrev_co_ci_u32_e64 v9, null, s79, v13, vcc_lo
	v_add_co_u32 v13, s0, v11, 2
	s_wait_alu 0xf1ff
	v_add_co_ci_u32_e64 v14, null, 0, v12, s0
	v_sub_co_u32 v19, s0, v2, s78
	s_wait_alu 0xf1ff
	v_subrev_co_ci_u32_e64 v9, null, 0, v9, s0
	s_delay_alu instid0(VALU_DEP_2) | instskip(SKIP_2) | instid1(VALU_DEP_3)
	v_cmp_le_u32_e32 vcc_lo, s78, v19
	s_wait_alu 0xfffd
	v_cndmask_b32_e64 v17, 0, -1, vcc_lo
	v_cmp_le_u32_e32 vcc_lo, s79, v9
	s_wait_alu 0xfffd
	v_cndmask_b32_e64 v19, 0, -1, vcc_lo
	;; [unrolled: 3-line block ×4, first 2 shown]
	v_cmp_eq_u32_e32 vcc_lo, s79, v9
	s_wait_alu 0xfffd
	v_cndmask_b32_e32 v9, v19, v17, vcc_lo
	v_add_co_u32 v17, vcc_lo, v11, 1
	s_wait_alu 0xfffd
	v_add_co_ci_u32_e64 v19, null, 0, v12, vcc_lo
	v_cmp_eq_u32_e32 vcc_lo, s79, v10
	v_xor_b32_e32 v10, s76, v15
	s_wait_alu 0xfffd
	v_cndmask_b32_e32 v2, v20, v2, vcc_lo
	v_cmp_ne_u32_e32 vcc_lo, 0, v9
	s_delay_alu instid0(VALU_DEP_2) | instskip(SKIP_3) | instid1(VALU_DEP_1)
	v_cmp_ne_u32_e64 s0, 0, v2
	s_wait_alu 0xfffd
	v_dual_cndmask_b32 v9, v19, v14 :: v_dual_cndmask_b32 v2, v17, v13
	s_wait_alu 0xf1ff
	v_cndmask_b32_e64 v9, v12, v9, s0
	s_delay_alu instid0(VALU_DEP_2) | instskip(NEXT) | instid1(VALU_DEP_2)
	v_cndmask_b32_e64 v2, v11, v2, s0
	v_xor_b32_e32 v11, v9, v10
	s_delay_alu instid0(VALU_DEP_2) | instskip(NEXT) | instid1(VALU_DEP_1)
	v_xor_b32_e32 v2, v2, v10
	v_sub_co_u32 v9, vcc_lo, v2, v10
	s_wait_alu 0xfffd
	s_delay_alu instid0(VALU_DEP_3)
	v_sub_co_ci_u32_e64 v10, null, v11, v10, vcc_lo
.LBB31_9:                               ;   in Loop: Header=BB31_3 Depth=1
	s_and_not1_saveexec_b32 s0, s84
	s_cbranch_execz .LBB31_11
; %bb.10:                               ;   in Loop: Header=BB31_3 Depth=1
	s_sub_co_i32 s76, 0, s34
	s_wait_alu 0xfffe
	v_mul_lo_u32 v2, s76, v25
	s_delay_alu instid0(VALU_DEP_1) | instskip(NEXT) | instid1(VALU_DEP_1)
	v_mul_hi_u32 v2, v25, v2
	v_add_nc_u32_e32 v2, v25, v2
	s_delay_alu instid0(VALU_DEP_1) | instskip(NEXT) | instid1(VALU_DEP_1)
	v_mul_hi_u32 v2, v16, v2
	v_mul_lo_u32 v9, v2, s34
	s_delay_alu instid0(VALU_DEP_1) | instskip(NEXT) | instid1(VALU_DEP_1)
	v_sub_nc_u32_e32 v9, v16, v9
	v_subrev_nc_u32_e32 v11, s34, v9
	v_cmp_le_u32_e32 vcc_lo, s34, v9
	s_wait_alu 0xfffd
	s_delay_alu instid0(VALU_DEP_2) | instskip(NEXT) | instid1(VALU_DEP_1)
	v_dual_cndmask_b32 v9, v9, v11 :: v_dual_add_nc_u32 v10, 1, v2
	v_cndmask_b32_e32 v2, v2, v10, vcc_lo
	s_delay_alu instid0(VALU_DEP_2) | instskip(NEXT) | instid1(VALU_DEP_2)
	v_cmp_le_u32_e32 vcc_lo, s34, v9
	v_add_nc_u32_e32 v10, 1, v2
	s_wait_alu 0xfffd
	s_delay_alu instid0(VALU_DEP_1)
	v_dual_cndmask_b32 v9, v2, v10 :: v_dual_mov_b32 v10, v1
.LBB31_11:                              ;   in Loop: Header=BB31_3 Depth=1
	s_wait_alu 0xfffe
	s_or_b32 exec_lo, exec_lo, s0
	s_delay_alu instid0(VALU_DEP_1) | instskip(NEXT) | instid1(VALU_DEP_2)
	v_mul_lo_u32 v2, v10, s34
	v_mul_lo_u32 v13, v9, s35
	v_mad_co_u64_u32 v[11:12], null, v9, s34, 0
	v_mul_lo_u32 v14, v9, s9
	s_mov_b32 s0, exec_lo
	s_delay_alu instid0(VALU_DEP_2) | instskip(SKIP_1) | instid1(VALU_DEP_4)
	v_add3_u32 v2, v12, v13, v2
	v_mul_lo_u32 v13, v10, s8
	v_sub_co_u32 v10, vcc_lo, v5, v11
	s_wait_alu 0xfffd
	s_delay_alu instid0(VALU_DEP_3) | instskip(NEXT) | instid1(VALU_DEP_2)
	v_sub_co_ci_u32_e64 v2, null, v6, v2, vcc_lo
	v_add_co_u32 v11, vcc_lo, v3, v10
	v_mad_co_u64_u32 v[9:10], null, v9, s8, 0
	s_wait_alu 0xfffd
	s_delay_alu instid0(VALU_DEP_3) | instskip(NEXT) | instid1(VALU_DEP_3)
	v_add_co_ci_u32_e64 v2, null, v4, v2, vcc_lo
	v_mul_lo_u32 v17, v11, s11
	v_mad_co_u64_u32 v[11:12], null, v11, s10, 0
	s_delay_alu instid0(VALU_DEP_3) | instskip(SKIP_1) | instid1(VALU_DEP_1)
	v_mul_lo_u32 v2, v2, s10
	v_add3_u32 v10, v10, v14, v13
	v_lshlrev_b64_e32 v[9:10], 1, v[9:10]
	s_delay_alu instid0(VALU_DEP_3) | instskip(NEXT) | instid1(VALU_DEP_2)
	v_add3_u32 v12, v12, v17, v2
	v_add_co_u32 v2, vcc_lo, s2, v9
	s_delay_alu instid0(VALU_DEP_2) | instskip(SKIP_1) | instid1(VALU_DEP_4)
	v_lshlrev_b64_e32 v[11:12], 1, v[11:12]
	s_wait_alu 0xfffd
	v_add_co_ci_u32_e64 v10, null, s3, v10, vcc_lo
	s_delay_alu instid0(VALU_DEP_2) | instskip(SKIP_1) | instid1(VALU_DEP_2)
	v_add_co_u32 v9, vcc_lo, v2, v11
	s_wait_alu 0xfffd
	v_add_co_ci_u32_e64 v10, null, v10, v12, vcc_lo
	v_mad_co_u64_u32 v[11:12], null, v7, 3, 0
	global_load_u16 v26, v[9:10], off
	v_mov_b32_e32 v2, v12
	s_delay_alu instid0(VALU_DEP_1) | instskip(SKIP_2) | instid1(VALU_DEP_3)
	v_mad_co_u64_u32 v[12:13], null, v8, 3, v[2:3]
	v_mul_lo_u32 v2, s5, v11
	v_mad_co_u64_u32 v[7:8], null, s4, v11, s[4:5]
	v_mul_lo_u32 v9, s4, v12
	s_delay_alu instid0(VALU_DEP_2) | instskip(NEXT) | instid1(VALU_DEP_2)
	v_add_co_u32 v20, vcc_lo, v3, v7
	v_add3_u32 v8, v2, v8, v9
                                        ; implicit-def: $vgpr9_vgpr10
	s_wait_alu 0xfffd
	s_delay_alu instid0(VALU_DEP_1) | instskip(NEXT) | instid1(VALU_DEP_1)
	v_add_co_ci_u32_e64 v21, null, v4, v8, vcc_lo
	v_or_b32_e32 v2, s35, v21
	v_ashrrev_i32_e32 v17, 31, v21
	s_delay_alu instid0(VALU_DEP_2)
	v_cmpx_ne_u64_e32 0, v[1:2]
	s_wait_alu 0xfffe
	s_xor_b32 s84, exec_lo, s0
	s_cbranch_execz .LBB31_13
; %bb.12:                               ;   in Loop: Header=BB31_3 Depth=1
	s_ashr_i32 s76, s35, 31
	v_add_co_u32 v2, vcc_lo, v20, v17
	s_wait_alu 0xfffe
	s_mov_b32 s77, s76
	s_wait_alu 0xfffd
	v_add_co_ci_u32_e64 v9, null, v21, v17, vcc_lo
	s_wait_alu 0xfffe
	s_add_nc_u64 s[78:79], s[34:35], s[76:77]
	v_xor_b32_e32 v2, v2, v17
	s_wait_alu 0xfffe
	s_xor_b64 s[78:79], s[78:79], s[76:77]
	v_xor_b32_e32 v19, v9, v17
	s_wait_alu 0xfffe
	s_cvt_f32_u32 s0, s78
	s_cvt_f32_u32 s77, s79
	s_sub_nc_u64 s[88:89], 0, s[78:79]
	s_wait_alu 0xfffe
	s_delay_alu instid0(SALU_CYCLE_1) | instskip(SKIP_1) | instid1(SALU_CYCLE_2)
	s_fmamk_f32 s0, s77, 0x4f800000, s0
	s_wait_alu 0xfffe
	v_s_rcp_f32 s0, s0
	s_delay_alu instid0(TRANS32_DEP_1) | instskip(SKIP_1) | instid1(SALU_CYCLE_2)
	s_mul_f32 s0, s0, 0x5f7ffffc
	s_wait_alu 0xfffe
	s_mul_f32 s77, s0, 0x2f800000
	s_wait_alu 0xfffe
	s_delay_alu instid0(SALU_CYCLE_2) | instskip(SKIP_1) | instid1(SALU_CYCLE_2)
	s_trunc_f32 s77, s77
	s_wait_alu 0xfffe
	s_fmamk_f32 s0, s77, 0xcf800000, s0
	s_cvt_u32_f32 s87, s77
	s_wait_alu 0xfffe
	s_delay_alu instid0(SALU_CYCLE_1) | instskip(NEXT) | instid1(SALU_CYCLE_3)
	s_cvt_u32_f32 s86, s0
	s_mul_u64 s[90:91], s[88:89], s[86:87]
	s_delay_alu instid0(SALU_CYCLE_1)
	s_mul_hi_u32 s93, s86, s91
	s_mul_i32 s92, s86, s91
	s_mul_hi_u32 s0, s86, s90
	s_mul_i32 s85, s87, s90
	s_wait_alu 0xfffe
	s_add_nc_u64 s[92:93], s[0:1], s[92:93]
	s_mul_hi_u32 s77, s87, s90
	s_mul_hi_u32 s94, s87, s91
	s_add_co_u32 s0, s92, s85
	s_wait_alu 0xfffe
	s_add_co_ci_u32 s0, s93, s77
	s_mul_i32 s90, s87, s91
	s_add_co_ci_u32 s91, s94, 0
	s_wait_alu 0xfffe
	s_add_nc_u64 s[90:91], s[0:1], s[90:91]
	s_delay_alu instid0(SALU_CYCLE_1) | instskip(SKIP_4) | instid1(SALU_CYCLE_1)
	s_add_co_u32 s86, s86, s90
	s_cselect_b32 s0, -1, 0
	s_wait_alu 0xfffe
	s_cmp_lg_u32 s0, 0
	s_add_co_ci_u32 s87, s87, s91
	s_mul_u64 s[88:89], s[88:89], s[86:87]
	s_delay_alu instid0(SALU_CYCLE_1)
	s_mul_hi_u32 s91, s86, s89
	s_mul_i32 s90, s86, s89
	s_mul_hi_u32 s0, s86, s88
	s_mul_i32 s85, s87, s88
	s_wait_alu 0xfffe
	s_add_nc_u64 s[90:91], s[0:1], s[90:91]
	s_mul_hi_u32 s77, s87, s88
	s_mul_hi_u32 s92, s87, s89
	s_add_co_u32 s0, s90, s85
	s_wait_alu 0xfffe
	s_add_co_ci_u32 s0, s91, s77
	s_mul_i32 s88, s87, s89
	s_add_co_ci_u32 s89, s92, 0
	s_wait_alu 0xfffe
	s_add_nc_u64 s[88:89], s[0:1], s[88:89]
	s_delay_alu instid0(SALU_CYCLE_1)
	s_add_co_u32 s0, s86, s88
	s_cselect_b32 s77, -1, 0
	s_wait_alu 0xfffe
	v_mul_hi_u32 v24, v2, s0
	s_cmp_lg_u32 s77, 0
	v_mad_co_u64_u32 v[13:14], null, v19, s0, 0
	s_add_co_ci_u32 s77, s87, s89
	s_wait_alu 0xfffe
	v_mad_co_u64_u32 v[9:10], null, v2, s77, 0
	v_mad_co_u64_u32 v[22:23], null, v19, s77, 0
	s_delay_alu instid0(VALU_DEP_2) | instskip(SKIP_1) | instid1(VALU_DEP_3)
	v_add_co_u32 v9, vcc_lo, v24, v9
	s_wait_alu 0xfffd
	v_add_co_ci_u32_e64 v10, null, 0, v10, vcc_lo
	s_delay_alu instid0(VALU_DEP_2) | instskip(SKIP_1) | instid1(VALU_DEP_2)
	v_add_co_u32 v9, vcc_lo, v9, v13
	s_wait_alu 0xfffd
	v_add_co_ci_u32_e32 v9, vcc_lo, v10, v14, vcc_lo
	s_wait_alu 0xfffd
	v_add_co_ci_u32_e32 v10, vcc_lo, 0, v23, vcc_lo
	s_delay_alu instid0(VALU_DEP_2) | instskip(SKIP_1) | instid1(VALU_DEP_2)
	v_add_co_u32 v13, vcc_lo, v9, v22
	s_wait_alu 0xfffd
	v_add_co_ci_u32_e64 v14, null, 0, v10, vcc_lo
	s_delay_alu instid0(VALU_DEP_2) | instskip(SKIP_1) | instid1(VALU_DEP_3)
	v_mul_lo_u32 v22, s79, v13
	v_mad_co_u64_u32 v[9:10], null, s78, v13, 0
	v_mul_lo_u32 v23, s78, v14
	s_delay_alu instid0(VALU_DEP_2) | instskip(NEXT) | instid1(VALU_DEP_2)
	v_sub_co_u32 v2, vcc_lo, v2, v9
	v_add3_u32 v10, v10, v23, v22
	s_delay_alu instid0(VALU_DEP_1) | instskip(SKIP_2) | instid1(VALU_DEP_2)
	v_sub_nc_u32_e32 v22, v19, v10
	s_wait_alu 0xfffd
	v_sub_co_ci_u32_e64 v10, null, v19, v10, vcc_lo
	v_subrev_co_ci_u32_e64 v9, null, s79, v22, vcc_lo
	v_add_co_u32 v22, s0, v13, 2
	s_wait_alu 0xf1ff
	v_add_co_ci_u32_e64 v23, null, 0, v14, s0
	v_sub_co_u32 v24, s0, v2, s78
	s_wait_alu 0xf1ff
	v_subrev_co_ci_u32_e64 v9, null, 0, v9, s0
	s_delay_alu instid0(VALU_DEP_2) | instskip(SKIP_2) | instid1(VALU_DEP_3)
	v_cmp_le_u32_e32 vcc_lo, s78, v24
	s_wait_alu 0xfffd
	v_cndmask_b32_e64 v19, 0, -1, vcc_lo
	v_cmp_le_u32_e32 vcc_lo, s79, v9
	s_wait_alu 0xfffd
	v_cndmask_b32_e64 v24, 0, -1, vcc_lo
	;; [unrolled: 3-line block ×4, first 2 shown]
	v_cmp_eq_u32_e32 vcc_lo, s79, v9
	s_wait_alu 0xfffd
	v_cndmask_b32_e32 v9, v24, v19, vcc_lo
	v_add_co_u32 v19, vcc_lo, v13, 1
	s_wait_alu 0xfffd
	v_add_co_ci_u32_e64 v24, null, 0, v14, vcc_lo
	v_cmp_eq_u32_e32 vcc_lo, s79, v10
	v_xor_b32_e32 v10, s76, v17
	s_wait_alu 0xfffd
	v_cndmask_b32_e32 v2, v27, v2, vcc_lo
	v_cmp_ne_u32_e32 vcc_lo, 0, v9
	s_delay_alu instid0(VALU_DEP_2) | instskip(SKIP_3) | instid1(VALU_DEP_1)
	v_cmp_ne_u32_e64 s0, 0, v2
	s_wait_alu 0xfffd
	v_dual_cndmask_b32 v9, v24, v23 :: v_dual_cndmask_b32 v2, v19, v22
	s_wait_alu 0xf1ff
	v_cndmask_b32_e64 v9, v14, v9, s0
	s_delay_alu instid0(VALU_DEP_2) | instskip(NEXT) | instid1(VALU_DEP_2)
	v_cndmask_b32_e64 v2, v13, v2, s0
	v_xor_b32_e32 v13, v9, v10
	s_delay_alu instid0(VALU_DEP_2) | instskip(NEXT) | instid1(VALU_DEP_1)
	v_xor_b32_e32 v2, v2, v10
	v_sub_co_u32 v9, vcc_lo, v2, v10
	s_wait_alu 0xfffd
	s_delay_alu instid0(VALU_DEP_3)
	v_sub_co_ci_u32_e64 v10, null, v13, v10, vcc_lo
.LBB31_13:                              ;   in Loop: Header=BB31_3 Depth=1
	s_and_not1_saveexec_b32 s0, s84
	s_cbranch_execz .LBB31_15
; %bb.14:                               ;   in Loop: Header=BB31_3 Depth=1
	s_sub_co_i32 s76, 0, s34
	s_wait_alu 0xfffe
	v_mul_lo_u32 v2, s76, v25
	s_delay_alu instid0(VALU_DEP_1) | instskip(NEXT) | instid1(VALU_DEP_1)
	v_mul_hi_u32 v2, v25, v2
	v_add_nc_u32_e32 v2, v25, v2
	s_delay_alu instid0(VALU_DEP_1) | instskip(NEXT) | instid1(VALU_DEP_1)
	v_mul_hi_u32 v2, v20, v2
	v_mul_lo_u32 v9, v2, s34
	s_delay_alu instid0(VALU_DEP_1) | instskip(NEXT) | instid1(VALU_DEP_1)
	v_sub_nc_u32_e32 v9, v20, v9
	v_subrev_nc_u32_e32 v13, s34, v9
	v_cmp_le_u32_e32 vcc_lo, s34, v9
	s_wait_alu 0xfffd
	s_delay_alu instid0(VALU_DEP_2) | instskip(NEXT) | instid1(VALU_DEP_1)
	v_dual_cndmask_b32 v9, v9, v13 :: v_dual_add_nc_u32 v10, 1, v2
	v_cndmask_b32_e32 v2, v2, v10, vcc_lo
	s_delay_alu instid0(VALU_DEP_2) | instskip(NEXT) | instid1(VALU_DEP_2)
	v_cmp_le_u32_e32 vcc_lo, s34, v9
	v_add_nc_u32_e32 v10, 1, v2
	s_wait_alu 0xfffd
	s_delay_alu instid0(VALU_DEP_1)
	v_dual_cndmask_b32 v9, v2, v10 :: v_dual_mov_b32 v10, v1
.LBB31_15:                              ;   in Loop: Header=BB31_3 Depth=1
	s_wait_alu 0xfffe
	s_or_b32 exec_lo, exec_lo, s0
	s_delay_alu instid0(VALU_DEP_1) | instskip(NEXT) | instid1(VALU_DEP_2)
	v_mul_lo_u32 v2, v10, s34
	v_mul_lo_u32 v19, v9, s35
	v_mad_co_u64_u32 v[13:14], null, v9, s34, 0
	v_mul_lo_u32 v22, v9, s9
	s_mov_b32 s0, exec_lo
	s_delay_alu instid0(VALU_DEP_2) | instskip(SKIP_1) | instid1(VALU_DEP_4)
	v_add3_u32 v2, v14, v19, v2
	v_mul_lo_u32 v19, v10, s8
	v_sub_co_u32 v10, vcc_lo, v7, v13
	s_wait_alu 0xfffd
	s_delay_alu instid0(VALU_DEP_3) | instskip(NEXT) | instid1(VALU_DEP_2)
	v_sub_co_ci_u32_e64 v2, null, v8, v2, vcc_lo
	v_add_co_u32 v13, vcc_lo, v3, v10
	v_mad_co_u64_u32 v[9:10], null, v9, s8, 0
	s_wait_alu 0xfffd
	s_delay_alu instid0(VALU_DEP_3) | instskip(NEXT) | instid1(VALU_DEP_3)
	v_add_co_ci_u32_e64 v2, null, v4, v2, vcc_lo
	v_mul_lo_u32 v23, v13, s11
	v_mad_co_u64_u32 v[13:14], null, v13, s10, 0
	s_delay_alu instid0(VALU_DEP_3) | instskip(SKIP_1) | instid1(VALU_DEP_1)
	v_mul_lo_u32 v2, v2, s10
	v_add3_u32 v10, v10, v22, v19
	v_lshlrev_b64_e32 v[9:10], 1, v[9:10]
	s_delay_alu instid0(VALU_DEP_3) | instskip(NEXT) | instid1(VALU_DEP_2)
	v_add3_u32 v14, v14, v23, v2
	v_add_co_u32 v2, vcc_lo, s2, v9
	s_delay_alu instid0(VALU_DEP_2) | instskip(SKIP_1) | instid1(VALU_DEP_4)
	v_lshlrev_b64_e32 v[13:14], 1, v[13:14]
	s_wait_alu 0xfffd
	v_add_co_ci_u32_e64 v10, null, s3, v10, vcc_lo
	s_delay_alu instid0(VALU_DEP_2) | instskip(SKIP_1) | instid1(VALU_DEP_2)
	v_add_co_u32 v9, vcc_lo, v2, v13
	s_wait_alu 0xfffd
	v_add_co_ci_u32_e64 v10, null, v10, v14, vcc_lo
	v_add_co_u32 v2, vcc_lo, v11, 2
	global_load_u16 v27, v[9:10], off
	s_wait_alu 0xfffd
	v_add_co_ci_u32_e64 v9, null, 0, v12, vcc_lo
	v_mul_lo_u32 v13, s5, v2
	s_delay_alu instid0(VALU_DEP_2) | instskip(SKIP_1) | instid1(VALU_DEP_1)
	v_mul_lo_u32 v14, s4, v9
	v_mad_co_u64_u32 v[9:10], null, s4, v2, 0
	v_add3_u32 v10, v10, v14, v13
	s_delay_alu instid0(VALU_DEP_2) | instskip(SKIP_1) | instid1(VALU_DEP_2)
	v_add_co_u32 v23, vcc_lo, v3, v9
                                        ; implicit-def: $vgpr13_vgpr14
	s_wait_alu 0xfffd
	v_add_co_ci_u32_e64 v24, null, v4, v10, vcc_lo
	s_delay_alu instid0(VALU_DEP_1) | instskip(SKIP_1) | instid1(VALU_DEP_2)
	v_or_b32_e32 v2, s35, v24
	v_ashrrev_i32_e32 v19, 31, v24
	v_cmpx_ne_u64_e32 0, v[1:2]
	s_wait_alu 0xfffe
	s_xor_b32 s84, exec_lo, s0
	s_cbranch_execz .LBB31_17
; %bb.16:                               ;   in Loop: Header=BB31_3 Depth=1
	s_ashr_i32 s76, s35, 31
	v_add_co_u32 v2, vcc_lo, v23, v19
	s_wait_alu 0xfffe
	s_mov_b32 s77, s76
	s_wait_alu 0xfffd
	v_add_co_ci_u32_e64 v13, null, v24, v19, vcc_lo
	s_wait_alu 0xfffe
	s_add_nc_u64 s[78:79], s[34:35], s[76:77]
	v_xor_b32_e32 v2, v2, v19
	s_wait_alu 0xfffe
	s_xor_b64 s[78:79], s[78:79], s[76:77]
	v_xor_b32_e32 v22, v13, v19
	s_wait_alu 0xfffe
	s_cvt_f32_u32 s0, s78
	s_cvt_f32_u32 s77, s79
	s_sub_nc_u64 s[88:89], 0, s[78:79]
	s_wait_alu 0xfffe
	s_delay_alu instid0(SALU_CYCLE_1) | instskip(SKIP_1) | instid1(SALU_CYCLE_2)
	s_fmamk_f32 s0, s77, 0x4f800000, s0
	s_wait_alu 0xfffe
	v_s_rcp_f32 s0, s0
	s_delay_alu instid0(TRANS32_DEP_1) | instskip(SKIP_1) | instid1(SALU_CYCLE_2)
	s_mul_f32 s0, s0, 0x5f7ffffc
	s_wait_alu 0xfffe
	s_mul_f32 s77, s0, 0x2f800000
	s_wait_alu 0xfffe
	s_delay_alu instid0(SALU_CYCLE_2) | instskip(SKIP_1) | instid1(SALU_CYCLE_2)
	s_trunc_f32 s77, s77
	s_wait_alu 0xfffe
	s_fmamk_f32 s0, s77, 0xcf800000, s0
	s_cvt_u32_f32 s87, s77
	s_wait_alu 0xfffe
	s_delay_alu instid0(SALU_CYCLE_1) | instskip(NEXT) | instid1(SALU_CYCLE_3)
	s_cvt_u32_f32 s86, s0
	s_mul_u64 s[90:91], s[88:89], s[86:87]
	s_delay_alu instid0(SALU_CYCLE_1)
	s_mul_hi_u32 s93, s86, s91
	s_mul_i32 s92, s86, s91
	s_mul_hi_u32 s0, s86, s90
	s_mul_i32 s85, s87, s90
	s_wait_alu 0xfffe
	s_add_nc_u64 s[92:93], s[0:1], s[92:93]
	s_mul_hi_u32 s77, s87, s90
	s_mul_hi_u32 s94, s87, s91
	s_add_co_u32 s0, s92, s85
	s_wait_alu 0xfffe
	s_add_co_ci_u32 s0, s93, s77
	s_mul_i32 s90, s87, s91
	s_add_co_ci_u32 s91, s94, 0
	s_wait_alu 0xfffe
	s_add_nc_u64 s[90:91], s[0:1], s[90:91]
	s_delay_alu instid0(SALU_CYCLE_1) | instskip(SKIP_4) | instid1(SALU_CYCLE_1)
	s_add_co_u32 s86, s86, s90
	s_cselect_b32 s0, -1, 0
	s_wait_alu 0xfffe
	s_cmp_lg_u32 s0, 0
	s_add_co_ci_u32 s87, s87, s91
	s_mul_u64 s[88:89], s[88:89], s[86:87]
	s_delay_alu instid0(SALU_CYCLE_1)
	s_mul_hi_u32 s91, s86, s89
	s_mul_i32 s90, s86, s89
	s_mul_hi_u32 s0, s86, s88
	s_mul_i32 s85, s87, s88
	s_wait_alu 0xfffe
	s_add_nc_u64 s[90:91], s[0:1], s[90:91]
	s_mul_hi_u32 s77, s87, s88
	s_mul_hi_u32 s92, s87, s89
	s_add_co_u32 s0, s90, s85
	s_wait_alu 0xfffe
	s_add_co_ci_u32 s0, s91, s77
	s_mul_i32 s88, s87, s89
	s_add_co_ci_u32 s89, s92, 0
	s_wait_alu 0xfffe
	s_add_nc_u64 s[88:89], s[0:1], s[88:89]
	s_delay_alu instid0(SALU_CYCLE_1)
	s_add_co_u32 s0, s86, s88
	s_cselect_b32 s77, -1, 0
	s_wait_alu 0xfffe
	v_mul_hi_u32 v32, v2, s0
	s_cmp_lg_u32 s77, 0
	v_mad_co_u64_u32 v[28:29], null, v22, s0, 0
	s_add_co_ci_u32 s77, s87, s89
	s_wait_alu 0xfffe
	v_mad_co_u64_u32 v[13:14], null, v2, s77, 0
	v_mad_co_u64_u32 v[30:31], null, v22, s77, 0
	s_delay_alu instid0(VALU_DEP_2) | instskip(SKIP_1) | instid1(VALU_DEP_3)
	v_add_co_u32 v13, vcc_lo, v32, v13
	s_wait_alu 0xfffd
	v_add_co_ci_u32_e64 v14, null, 0, v14, vcc_lo
	s_delay_alu instid0(VALU_DEP_2) | instskip(SKIP_1) | instid1(VALU_DEP_2)
	v_add_co_u32 v13, vcc_lo, v13, v28
	s_wait_alu 0xfffd
	v_add_co_ci_u32_e32 v13, vcc_lo, v14, v29, vcc_lo
	s_wait_alu 0xfffd
	v_add_co_ci_u32_e32 v14, vcc_lo, 0, v31, vcc_lo
	s_delay_alu instid0(VALU_DEP_2) | instskip(SKIP_1) | instid1(VALU_DEP_2)
	v_add_co_u32 v28, vcc_lo, v13, v30
	s_wait_alu 0xfffd
	v_add_co_ci_u32_e64 v29, null, 0, v14, vcc_lo
	s_delay_alu instid0(VALU_DEP_2) | instskip(SKIP_1) | instid1(VALU_DEP_3)
	v_mul_lo_u32 v30, s79, v28
	v_mad_co_u64_u32 v[13:14], null, s78, v28, 0
	v_mul_lo_u32 v31, s78, v29
	s_delay_alu instid0(VALU_DEP_2) | instskip(NEXT) | instid1(VALU_DEP_2)
	v_sub_co_u32 v2, vcc_lo, v2, v13
	v_add3_u32 v14, v14, v31, v30
	s_delay_alu instid0(VALU_DEP_1) | instskip(SKIP_2) | instid1(VALU_DEP_2)
	v_sub_nc_u32_e32 v30, v22, v14
	s_wait_alu 0xfffd
	v_sub_co_ci_u32_e64 v14, null, v22, v14, vcc_lo
	v_subrev_co_ci_u32_e64 v13, null, s79, v30, vcc_lo
	v_add_co_u32 v30, s0, v28, 2
	s_wait_alu 0xf1ff
	v_add_co_ci_u32_e64 v31, null, 0, v29, s0
	v_sub_co_u32 v32, s0, v2, s78
	s_wait_alu 0xf1ff
	v_subrev_co_ci_u32_e64 v13, null, 0, v13, s0
	s_delay_alu instid0(VALU_DEP_2) | instskip(SKIP_2) | instid1(VALU_DEP_3)
	v_cmp_le_u32_e32 vcc_lo, s78, v32
	s_wait_alu 0xfffd
	v_cndmask_b32_e64 v22, 0, -1, vcc_lo
	v_cmp_le_u32_e32 vcc_lo, s79, v13
	s_wait_alu 0xfffd
	v_cndmask_b32_e64 v32, 0, -1, vcc_lo
	;; [unrolled: 3-line block ×4, first 2 shown]
	v_cmp_eq_u32_e32 vcc_lo, s79, v13
	s_wait_alu 0xfffd
	v_cndmask_b32_e32 v13, v32, v22, vcc_lo
	v_add_co_u32 v22, vcc_lo, v28, 1
	s_wait_alu 0xfffd
	v_add_co_ci_u32_e64 v32, null, 0, v29, vcc_lo
	v_cmp_eq_u32_e32 vcc_lo, s79, v14
	v_xor_b32_e32 v14, s76, v19
	s_wait_alu 0xfffd
	v_cndmask_b32_e32 v2, v33, v2, vcc_lo
	v_cmp_ne_u32_e32 vcc_lo, 0, v13
	s_wait_alu 0xfffd
	v_cndmask_b32_e32 v13, v32, v31, vcc_lo
	s_delay_alu instid0(VALU_DEP_3) | instskip(SKIP_2) | instid1(VALU_DEP_2)
	v_cmp_ne_u32_e64 s0, 0, v2
	v_cndmask_b32_e32 v2, v22, v30, vcc_lo
	s_wait_alu 0xf1ff
	v_cndmask_b32_e64 v13, v29, v13, s0
	s_delay_alu instid0(VALU_DEP_2) | instskip(NEXT) | instid1(VALU_DEP_2)
	v_cndmask_b32_e64 v2, v28, v2, s0
	v_xor_b32_e32 v22, v13, v14
	s_delay_alu instid0(VALU_DEP_2) | instskip(NEXT) | instid1(VALU_DEP_1)
	v_xor_b32_e32 v2, v2, v14
	v_sub_co_u32 v13, vcc_lo, v2, v14
	s_wait_alu 0xfffd
	s_delay_alu instid0(VALU_DEP_3)
	v_sub_co_ci_u32_e64 v14, null, v22, v14, vcc_lo
.LBB31_17:                              ;   in Loop: Header=BB31_3 Depth=1
	s_and_not1_saveexec_b32 s0, s84
	s_cbranch_execz .LBB31_19
; %bb.18:                               ;   in Loop: Header=BB31_3 Depth=1
	s_sub_co_i32 s76, 0, s34
	s_wait_alu 0xfffe
	v_mul_lo_u32 v2, s76, v25
	s_delay_alu instid0(VALU_DEP_1) | instskip(NEXT) | instid1(VALU_DEP_1)
	v_mul_hi_u32 v2, v25, v2
	v_add_nc_u32_e32 v2, v25, v2
	s_delay_alu instid0(VALU_DEP_1) | instskip(NEXT) | instid1(VALU_DEP_1)
	v_mul_hi_u32 v2, v23, v2
	v_mul_lo_u32 v13, v2, s34
	v_add_nc_u32_e32 v14, 1, v2
	s_delay_alu instid0(VALU_DEP_2) | instskip(NEXT) | instid1(VALU_DEP_1)
	v_sub_nc_u32_e32 v13, v23, v13
	v_subrev_nc_u32_e32 v22, s34, v13
	v_cmp_le_u32_e32 vcc_lo, s34, v13
	s_wait_alu 0xfffd
	s_delay_alu instid0(VALU_DEP_2) | instskip(SKIP_1) | instid1(VALU_DEP_2)
	v_cndmask_b32_e32 v13, v13, v22, vcc_lo
	v_cndmask_b32_e32 v2, v2, v14, vcc_lo
	v_cmp_le_u32_e32 vcc_lo, s34, v13
	s_delay_alu instid0(VALU_DEP_2) | instskip(SKIP_1) | instid1(VALU_DEP_1)
	v_add_nc_u32_e32 v14, 1, v2
	s_wait_alu 0xfffd
	v_dual_cndmask_b32 v13, v2, v14 :: v_dual_mov_b32 v14, v1
.LBB31_19:                              ;   in Loop: Header=BB31_3 Depth=1
	s_wait_alu 0xfffe
	s_or_b32 exec_lo, exec_lo, s0
	s_delay_alu instid0(VALU_DEP_1) | instskip(NEXT) | instid1(VALU_DEP_2)
	v_mul_lo_u32 v2, v14, s34
	v_mul_lo_u32 v22, v13, s35
	v_mad_co_u64_u32 v[28:29], null, v13, s34, 0
	v_mul_lo_u32 v30, v13, s9
	s_mov_b32 s0, exec_lo
	s_delay_alu instid0(VALU_DEP_2) | instskip(SKIP_1) | instid1(VALU_DEP_4)
	v_add3_u32 v2, v29, v22, v2
	v_mul_lo_u32 v22, v14, s8
	v_sub_co_u32 v14, vcc_lo, v9, v28
	s_wait_alu 0xfffd
	s_delay_alu instid0(VALU_DEP_3) | instskip(NEXT) | instid1(VALU_DEP_2)
	v_sub_co_ci_u32_e64 v2, null, v10, v2, vcc_lo
	v_add_co_u32 v28, vcc_lo, v3, v14
	v_mad_co_u64_u32 v[13:14], null, v13, s8, 0
	s_wait_alu 0xfffd
	s_delay_alu instid0(VALU_DEP_3) | instskip(NEXT) | instid1(VALU_DEP_3)
	v_add_co_ci_u32_e64 v2, null, v4, v2, vcc_lo
	v_mul_lo_u32 v31, v28, s11
	v_mad_co_u64_u32 v[28:29], null, v28, s10, 0
	s_delay_alu instid0(VALU_DEP_3) | instskip(SKIP_1) | instid1(VALU_DEP_1)
	v_mul_lo_u32 v2, v2, s10
	v_add3_u32 v14, v14, v30, v22
	v_lshlrev_b64_e32 v[13:14], 1, v[13:14]
	s_delay_alu instid0(VALU_DEP_3) | instskip(NEXT) | instid1(VALU_DEP_2)
	v_add3_u32 v29, v29, v31, v2
	v_add_co_u32 v2, vcc_lo, s2, v13
	s_delay_alu instid0(VALU_DEP_2) | instskip(SKIP_1) | instid1(VALU_DEP_4)
	v_lshlrev_b64_e32 v[28:29], 1, v[28:29]
	s_wait_alu 0xfffd
	v_add_co_ci_u32_e64 v14, null, s3, v14, vcc_lo
	s_delay_alu instid0(VALU_DEP_2) | instskip(SKIP_1) | instid1(VALU_DEP_2)
	v_add_co_u32 v13, vcc_lo, v2, v28
	s_wait_alu 0xfffd
	v_add_co_ci_u32_e64 v14, null, v14, v29, vcc_lo
	v_add_co_u32 v2, vcc_lo, v11, 3
	s_wait_alu 0xfffd
	v_add_co_ci_u32_e64 v11, null, 0, v12, vcc_lo
	global_load_u16 v28, v[13:14], off
	v_mul_lo_u32 v13, s5, v2
	v_mul_lo_u32 v14, s4, v11
	v_mad_co_u64_u32 v[11:12], null, s4, v2, 0
	s_delay_alu instid0(VALU_DEP_1) | instskip(NEXT) | instid1(VALU_DEP_2)
	v_add3_u32 v12, v12, v14, v13
	v_add_co_u32 v30, vcc_lo, v3, v11
                                        ; implicit-def: $vgpr13_vgpr14
	s_wait_alu 0xfffd
	s_delay_alu instid0(VALU_DEP_2) | instskip(NEXT) | instid1(VALU_DEP_1)
	v_add_co_ci_u32_e64 v31, null, v4, v12, vcc_lo
	v_or_b32_e32 v2, s35, v31
	v_ashrrev_i32_e32 v22, 31, v31
	s_delay_alu instid0(VALU_DEP_2)
	v_cmpx_ne_u64_e32 0, v[1:2]
	s_wait_alu 0xfffe
	s_xor_b32 s84, exec_lo, s0
	s_cbranch_execz .LBB31_21
; %bb.20:                               ;   in Loop: Header=BB31_3 Depth=1
	s_ashr_i32 s76, s35, 31
	v_add_co_u32 v2, vcc_lo, v30, v22
	s_wait_alu 0xfffe
	s_mov_b32 s77, s76
	s_wait_alu 0xfffd
	v_add_co_ci_u32_e64 v13, null, v31, v22, vcc_lo
	s_wait_alu 0xfffe
	s_add_nc_u64 s[78:79], s[34:35], s[76:77]
	v_xor_b32_e32 v2, v2, v22
	s_wait_alu 0xfffe
	s_xor_b64 s[78:79], s[78:79], s[76:77]
	v_xor_b32_e32 v29, v13, v22
	s_wait_alu 0xfffe
	s_cvt_f32_u32 s0, s78
	s_cvt_f32_u32 s77, s79
	s_sub_nc_u64 s[88:89], 0, s[78:79]
	s_wait_alu 0xfffe
	s_delay_alu instid0(SALU_CYCLE_1) | instskip(SKIP_1) | instid1(SALU_CYCLE_2)
	s_fmamk_f32 s0, s77, 0x4f800000, s0
	s_wait_alu 0xfffe
	v_s_rcp_f32 s0, s0
	s_delay_alu instid0(TRANS32_DEP_1) | instskip(SKIP_1) | instid1(SALU_CYCLE_2)
	s_mul_f32 s0, s0, 0x5f7ffffc
	s_wait_alu 0xfffe
	s_mul_f32 s77, s0, 0x2f800000
	s_wait_alu 0xfffe
	s_delay_alu instid0(SALU_CYCLE_2) | instskip(SKIP_1) | instid1(SALU_CYCLE_2)
	s_trunc_f32 s77, s77
	s_wait_alu 0xfffe
	s_fmamk_f32 s0, s77, 0xcf800000, s0
	s_cvt_u32_f32 s87, s77
	s_wait_alu 0xfffe
	s_delay_alu instid0(SALU_CYCLE_1) | instskip(NEXT) | instid1(SALU_CYCLE_3)
	s_cvt_u32_f32 s86, s0
	s_mul_u64 s[90:91], s[88:89], s[86:87]
	s_delay_alu instid0(SALU_CYCLE_1)
	s_mul_hi_u32 s93, s86, s91
	s_mul_i32 s92, s86, s91
	s_mul_hi_u32 s0, s86, s90
	s_mul_i32 s85, s87, s90
	s_wait_alu 0xfffe
	s_add_nc_u64 s[92:93], s[0:1], s[92:93]
	s_mul_hi_u32 s77, s87, s90
	s_mul_hi_u32 s94, s87, s91
	s_add_co_u32 s0, s92, s85
	s_wait_alu 0xfffe
	s_add_co_ci_u32 s0, s93, s77
	s_mul_i32 s90, s87, s91
	s_add_co_ci_u32 s91, s94, 0
	s_wait_alu 0xfffe
	s_add_nc_u64 s[90:91], s[0:1], s[90:91]
	s_delay_alu instid0(SALU_CYCLE_1) | instskip(SKIP_4) | instid1(SALU_CYCLE_1)
	s_add_co_u32 s86, s86, s90
	s_cselect_b32 s0, -1, 0
	s_wait_alu 0xfffe
	s_cmp_lg_u32 s0, 0
	s_add_co_ci_u32 s87, s87, s91
	s_mul_u64 s[88:89], s[88:89], s[86:87]
	s_delay_alu instid0(SALU_CYCLE_1)
	s_mul_hi_u32 s91, s86, s89
	s_mul_i32 s90, s86, s89
	s_mul_hi_u32 s0, s86, s88
	s_mul_i32 s85, s87, s88
	s_wait_alu 0xfffe
	s_add_nc_u64 s[90:91], s[0:1], s[90:91]
	s_mul_hi_u32 s77, s87, s88
	s_mul_hi_u32 s92, s87, s89
	s_add_co_u32 s0, s90, s85
	s_wait_alu 0xfffe
	s_add_co_ci_u32 s0, s91, s77
	s_mul_i32 s88, s87, s89
	s_add_co_ci_u32 s89, s92, 0
	s_wait_alu 0xfffe
	s_add_nc_u64 s[88:89], s[0:1], s[88:89]
	s_delay_alu instid0(SALU_CYCLE_1)
	s_add_co_u32 s0, s86, s88
	s_cselect_b32 s77, -1, 0
	s_wait_alu 0xfffe
	v_mul_hi_u32 v36, v2, s0
	s_cmp_lg_u32 s77, 0
	v_mad_co_u64_u32 v[32:33], null, v29, s0, 0
	s_add_co_ci_u32 s77, s87, s89
	s_wait_alu 0xfffe
	v_mad_co_u64_u32 v[13:14], null, v2, s77, 0
	v_mad_co_u64_u32 v[34:35], null, v29, s77, 0
	s_delay_alu instid0(VALU_DEP_2) | instskip(SKIP_1) | instid1(VALU_DEP_3)
	v_add_co_u32 v13, vcc_lo, v36, v13
	s_wait_alu 0xfffd
	v_add_co_ci_u32_e64 v14, null, 0, v14, vcc_lo
	s_delay_alu instid0(VALU_DEP_2) | instskip(SKIP_1) | instid1(VALU_DEP_2)
	v_add_co_u32 v13, vcc_lo, v13, v32
	s_wait_alu 0xfffd
	v_add_co_ci_u32_e32 v13, vcc_lo, v14, v33, vcc_lo
	s_wait_alu 0xfffd
	v_add_co_ci_u32_e32 v14, vcc_lo, 0, v35, vcc_lo
	s_delay_alu instid0(VALU_DEP_2) | instskip(SKIP_1) | instid1(VALU_DEP_2)
	v_add_co_u32 v32, vcc_lo, v13, v34
	s_wait_alu 0xfffd
	v_add_co_ci_u32_e64 v33, null, 0, v14, vcc_lo
	s_delay_alu instid0(VALU_DEP_2) | instskip(SKIP_1) | instid1(VALU_DEP_3)
	v_mul_lo_u32 v34, s79, v32
	v_mad_co_u64_u32 v[13:14], null, s78, v32, 0
	v_mul_lo_u32 v35, s78, v33
	s_delay_alu instid0(VALU_DEP_2) | instskip(NEXT) | instid1(VALU_DEP_2)
	v_sub_co_u32 v2, vcc_lo, v2, v13
	v_add3_u32 v14, v14, v35, v34
	s_delay_alu instid0(VALU_DEP_1) | instskip(SKIP_2) | instid1(VALU_DEP_2)
	v_sub_nc_u32_e32 v34, v29, v14
	s_wait_alu 0xfffd
	v_sub_co_ci_u32_e64 v14, null, v29, v14, vcc_lo
	v_subrev_co_ci_u32_e64 v13, null, s79, v34, vcc_lo
	v_add_co_u32 v34, s0, v32, 2
	s_wait_alu 0xf1ff
	v_add_co_ci_u32_e64 v35, null, 0, v33, s0
	v_sub_co_u32 v36, s0, v2, s78
	s_wait_alu 0xf1ff
	v_subrev_co_ci_u32_e64 v13, null, 0, v13, s0
	s_delay_alu instid0(VALU_DEP_2) | instskip(SKIP_2) | instid1(VALU_DEP_3)
	v_cmp_le_u32_e32 vcc_lo, s78, v36
	s_wait_alu 0xfffd
	v_cndmask_b32_e64 v29, 0, -1, vcc_lo
	v_cmp_le_u32_e32 vcc_lo, s79, v13
	s_wait_alu 0xfffd
	v_cndmask_b32_e64 v36, 0, -1, vcc_lo
	v_cmp_le_u32_e32 vcc_lo, s78, v2
	s_wait_alu 0xfffd
	v_cndmask_b32_e64 v2, 0, -1, vcc_lo
	v_cmp_le_u32_e32 vcc_lo, s79, v14
	s_wait_alu 0xfffd
	v_cndmask_b32_e64 v37, 0, -1, vcc_lo
	v_cmp_eq_u32_e32 vcc_lo, s79, v13
	s_wait_alu 0xfffd
	v_cndmask_b32_e32 v13, v36, v29, vcc_lo
	v_add_co_u32 v29, vcc_lo, v32, 1
	s_wait_alu 0xfffd
	v_add_co_ci_u32_e64 v36, null, 0, v33, vcc_lo
	v_cmp_eq_u32_e32 vcc_lo, s79, v14
	v_xor_b32_e32 v14, s76, v22
	s_wait_alu 0xfffd
	v_cndmask_b32_e32 v2, v37, v2, vcc_lo
	v_cmp_ne_u32_e32 vcc_lo, 0, v13
	s_delay_alu instid0(VALU_DEP_2) | instskip(SKIP_3) | instid1(VALU_DEP_1)
	v_cmp_ne_u32_e64 s0, 0, v2
	s_wait_alu 0xfffd
	v_dual_cndmask_b32 v13, v36, v35 :: v_dual_cndmask_b32 v2, v29, v34
	s_wait_alu 0xf1ff
	v_cndmask_b32_e64 v13, v33, v13, s0
	s_delay_alu instid0(VALU_DEP_2) | instskip(NEXT) | instid1(VALU_DEP_2)
	v_cndmask_b32_e64 v2, v32, v2, s0
	v_xor_b32_e32 v29, v13, v14
	s_delay_alu instid0(VALU_DEP_2) | instskip(NEXT) | instid1(VALU_DEP_1)
	v_xor_b32_e32 v2, v2, v14
	v_sub_co_u32 v13, vcc_lo, v2, v14
	s_wait_alu 0xfffd
	s_delay_alu instid0(VALU_DEP_3)
	v_sub_co_ci_u32_e64 v14, null, v29, v14, vcc_lo
.LBB31_21:                              ;   in Loop: Header=BB31_3 Depth=1
	s_and_not1_saveexec_b32 s0, s84
	s_cbranch_execz .LBB31_23
; %bb.22:                               ;   in Loop: Header=BB31_3 Depth=1
	s_sub_co_i32 s76, 0, s34
	s_wait_alu 0xfffe
	v_mul_lo_u32 v2, s76, v25
	s_delay_alu instid0(VALU_DEP_1) | instskip(NEXT) | instid1(VALU_DEP_1)
	v_mul_hi_u32 v2, v25, v2
	v_add_nc_u32_e32 v2, v25, v2
	s_delay_alu instid0(VALU_DEP_1) | instskip(NEXT) | instid1(VALU_DEP_1)
	v_mul_hi_u32 v2, v30, v2
	v_mul_lo_u32 v13, v2, s34
	s_delay_alu instid0(VALU_DEP_1) | instskip(NEXT) | instid1(VALU_DEP_1)
	v_sub_nc_u32_e32 v13, v30, v13
	v_subrev_nc_u32_e32 v29, s34, v13
	v_cmp_le_u32_e32 vcc_lo, s34, v13
	s_wait_alu 0xfffd
	s_delay_alu instid0(VALU_DEP_2) | instskip(NEXT) | instid1(VALU_DEP_1)
	v_dual_cndmask_b32 v13, v13, v29 :: v_dual_add_nc_u32 v14, 1, v2
	v_cndmask_b32_e32 v2, v2, v14, vcc_lo
	s_delay_alu instid0(VALU_DEP_2) | instskip(NEXT) | instid1(VALU_DEP_2)
	v_cmp_le_u32_e32 vcc_lo, s34, v13
	v_add_nc_u32_e32 v14, 1, v2
	s_wait_alu 0xfffd
	s_delay_alu instid0(VALU_DEP_1)
	v_dual_cndmask_b32 v13, v2, v14 :: v_dual_mov_b32 v14, v1
.LBB31_23:                              ;   in Loop: Header=BB31_3 Depth=1
	s_wait_alu 0xfffe
	s_or_b32 exec_lo, exec_lo, s0
	s_delay_alu instid0(VALU_DEP_1) | instskip(NEXT) | instid1(VALU_DEP_2)
	v_mul_lo_u32 v2, v14, s34
	v_mul_lo_u32 v29, v13, s35
	v_mad_co_u64_u32 v[32:33], null, v13, s34, 0
	v_mul_lo_u32 v34, v13, s9
	s_mov_b32 s0, exec_lo
	s_delay_alu instid0(VALU_DEP_2) | instskip(SKIP_1) | instid1(VALU_DEP_4)
	v_add3_u32 v2, v33, v29, v2
	v_mul_lo_u32 v29, v14, s8
	v_sub_co_u32 v14, vcc_lo, v11, v32
	s_wait_alu 0xfffd
	s_delay_alu instid0(VALU_DEP_3) | instskip(NEXT) | instid1(VALU_DEP_2)
	v_sub_co_ci_u32_e64 v2, null, v12, v2, vcc_lo
	v_add_co_u32 v32, vcc_lo, v3, v14
	v_mad_co_u64_u32 v[13:14], null, v13, s8, 0
	s_wait_alu 0xfffd
	s_delay_alu instid0(VALU_DEP_3) | instskip(NEXT) | instid1(VALU_DEP_3)
	v_add_co_ci_u32_e64 v2, null, v4, v2, vcc_lo
	v_mul_lo_u32 v35, v32, s11
	v_mad_co_u64_u32 v[32:33], null, v32, s10, 0
	s_delay_alu instid0(VALU_DEP_3) | instskip(SKIP_1) | instid1(VALU_DEP_1)
	v_mul_lo_u32 v2, v2, s10
	v_add3_u32 v14, v14, v34, v29
	v_lshlrev_b64_e32 v[13:14], 1, v[13:14]
	s_delay_alu instid0(VALU_DEP_3) | instskip(NEXT) | instid1(VALU_DEP_2)
	v_add3_u32 v33, v33, v35, v2
	v_add_co_u32 v2, vcc_lo, s2, v13
	s_delay_alu instid0(VALU_DEP_2) | instskip(SKIP_1) | instid1(VALU_DEP_4)
	v_lshlrev_b64_e32 v[32:33], 1, v[32:33]
	s_wait_alu 0xfffd
	v_add_co_ci_u32_e64 v14, null, s3, v14, vcc_lo
	s_delay_alu instid0(VALU_DEP_2) | instskip(SKIP_1) | instid1(VALU_DEP_2)
	v_add_co_u32 v13, vcc_lo, v2, v32
	s_wait_alu 0xfffd
	v_add_co_ci_u32_e64 v14, null, v14, v33, vcc_lo
	v_or_b32_e32 v2, s45, v18
	global_load_u16 v29, v[13:14], off
                                        ; implicit-def: $vgpr13_vgpr14
	v_cmpx_ne_u64_e32 0, v[1:2]
	s_wait_alu 0xfffe
	s_xor_b32 s84, exec_lo, s0
	s_cbranch_execz .LBB31_25
; %bb.24:                               ;   in Loop: Header=BB31_3 Depth=1
	s_ashr_i32 s76, s45, 31
	v_add_co_u32 v2, vcc_lo, v16, v15
	s_wait_alu 0xfffe
	s_mov_b32 s77, s76
	s_wait_alu 0xfffd
	v_add_co_ci_u32_e64 v13, null, v18, v15, vcc_lo
	s_wait_alu 0xfffe
	s_add_nc_u64 s[78:79], s[44:45], s[76:77]
	v_xor_b32_e32 v2, v2, v15
	s_wait_alu 0xfffe
	s_xor_b64 s[78:79], s[78:79], s[76:77]
	v_xor_b32_e32 v16, v13, v15
	s_wait_alu 0xfffe
	s_cvt_f32_u32 s0, s78
	s_cvt_f32_u32 s77, s79
	s_sub_nc_u64 s[88:89], 0, s[78:79]
	s_wait_alu 0xfffe
	s_delay_alu instid0(SALU_CYCLE_1) | instskip(SKIP_1) | instid1(SALU_CYCLE_2)
	s_fmamk_f32 s0, s77, 0x4f800000, s0
	s_wait_alu 0xfffe
	v_s_rcp_f32 s0, s0
	s_delay_alu instid0(TRANS32_DEP_1) | instskip(SKIP_1) | instid1(SALU_CYCLE_2)
	s_mul_f32 s0, s0, 0x5f7ffffc
	s_wait_alu 0xfffe
	s_mul_f32 s77, s0, 0x2f800000
	s_wait_alu 0xfffe
	s_delay_alu instid0(SALU_CYCLE_2) | instskip(SKIP_1) | instid1(SALU_CYCLE_2)
	s_trunc_f32 s77, s77
	s_wait_alu 0xfffe
	s_fmamk_f32 s0, s77, 0xcf800000, s0
	s_cvt_u32_f32 s87, s77
	s_wait_alu 0xfffe
	s_delay_alu instid0(SALU_CYCLE_1) | instskip(NEXT) | instid1(SALU_CYCLE_3)
	s_cvt_u32_f32 s86, s0
	s_mul_u64 s[90:91], s[88:89], s[86:87]
	s_delay_alu instid0(SALU_CYCLE_1)
	s_mul_hi_u32 s93, s86, s91
	s_mul_i32 s92, s86, s91
	s_mul_hi_u32 s0, s86, s90
	s_mul_i32 s85, s87, s90
	s_wait_alu 0xfffe
	s_add_nc_u64 s[92:93], s[0:1], s[92:93]
	s_mul_hi_u32 s77, s87, s90
	s_mul_hi_u32 s94, s87, s91
	s_add_co_u32 s0, s92, s85
	s_wait_alu 0xfffe
	s_add_co_ci_u32 s0, s93, s77
	s_mul_i32 s90, s87, s91
	s_add_co_ci_u32 s91, s94, 0
	s_wait_alu 0xfffe
	s_add_nc_u64 s[90:91], s[0:1], s[90:91]
	s_delay_alu instid0(SALU_CYCLE_1) | instskip(SKIP_4) | instid1(SALU_CYCLE_1)
	s_add_co_u32 s86, s86, s90
	s_cselect_b32 s0, -1, 0
	s_wait_alu 0xfffe
	s_cmp_lg_u32 s0, 0
	s_add_co_ci_u32 s87, s87, s91
	s_mul_u64 s[88:89], s[88:89], s[86:87]
	s_delay_alu instid0(SALU_CYCLE_1)
	s_mul_hi_u32 s91, s86, s89
	s_mul_i32 s90, s86, s89
	s_mul_hi_u32 s0, s86, s88
	s_mul_i32 s85, s87, s88
	s_wait_alu 0xfffe
	s_add_nc_u64 s[90:91], s[0:1], s[90:91]
	s_mul_hi_u32 s77, s87, s88
	s_mul_hi_u32 s92, s87, s89
	s_add_co_u32 s0, s90, s85
	s_wait_alu 0xfffe
	s_add_co_ci_u32 s0, s91, s77
	s_mul_i32 s88, s87, s89
	s_add_co_ci_u32 s89, s92, 0
	s_wait_alu 0xfffe
	s_add_nc_u64 s[88:89], s[0:1], s[88:89]
	s_delay_alu instid0(SALU_CYCLE_1)
	s_add_co_u32 s0, s86, s88
	s_cselect_b32 s77, -1, 0
	s_wait_alu 0xfffe
	v_mul_hi_u32 v18, v2, s0
	s_cmp_lg_u32 s77, 0
	v_mad_co_u64_u32 v[32:33], null, v16, s0, 0
	s_add_co_ci_u32 s77, s87, s89
	s_wait_alu 0xfffe
	v_mad_co_u64_u32 v[13:14], null, v2, s77, 0
	v_mad_co_u64_u32 v[34:35], null, v16, s77, 0
	s_delay_alu instid0(VALU_DEP_2) | instskip(SKIP_1) | instid1(VALU_DEP_3)
	v_add_co_u32 v13, vcc_lo, v18, v13
	s_wait_alu 0xfffd
	v_add_co_ci_u32_e64 v14, null, 0, v14, vcc_lo
	s_delay_alu instid0(VALU_DEP_2) | instskip(SKIP_1) | instid1(VALU_DEP_2)
	v_add_co_u32 v13, vcc_lo, v13, v32
	s_wait_alu 0xfffd
	v_add_co_ci_u32_e32 v13, vcc_lo, v14, v33, vcc_lo
	s_wait_alu 0xfffd
	v_add_co_ci_u32_e32 v14, vcc_lo, 0, v35, vcc_lo
	s_delay_alu instid0(VALU_DEP_2) | instskip(SKIP_1) | instid1(VALU_DEP_2)
	v_add_co_u32 v18, vcc_lo, v13, v34
	s_wait_alu 0xfffd
	v_add_co_ci_u32_e64 v32, null, 0, v14, vcc_lo
	s_delay_alu instid0(VALU_DEP_2) | instskip(SKIP_1) | instid1(VALU_DEP_3)
	v_mul_lo_u32 v33, s79, v18
	v_mad_co_u64_u32 v[13:14], null, s78, v18, 0
	v_mul_lo_u32 v34, s78, v32
	s_delay_alu instid0(VALU_DEP_2) | instskip(NEXT) | instid1(VALU_DEP_2)
	v_sub_co_u32 v2, vcc_lo, v2, v13
	v_add3_u32 v14, v14, v34, v33
	s_delay_alu instid0(VALU_DEP_1) | instskip(SKIP_2) | instid1(VALU_DEP_2)
	v_sub_nc_u32_e32 v33, v16, v14
	s_wait_alu 0xfffd
	v_sub_co_ci_u32_e64 v14, null, v16, v14, vcc_lo
	v_subrev_co_ci_u32_e64 v13, null, s79, v33, vcc_lo
	v_add_co_u32 v33, s0, v18, 2
	s_wait_alu 0xf1ff
	v_add_co_ci_u32_e64 v34, null, 0, v32, s0
	v_sub_co_u32 v35, s0, v2, s78
	s_wait_alu 0xf1ff
	v_subrev_co_ci_u32_e64 v13, null, 0, v13, s0
	s_delay_alu instid0(VALU_DEP_2) | instskip(SKIP_2) | instid1(VALU_DEP_3)
	v_cmp_le_u32_e32 vcc_lo, s78, v35
	s_wait_alu 0xfffd
	v_cndmask_b32_e64 v16, 0, -1, vcc_lo
	v_cmp_le_u32_e32 vcc_lo, s79, v13
	s_wait_alu 0xfffd
	v_cndmask_b32_e64 v35, 0, -1, vcc_lo
	;; [unrolled: 3-line block ×4, first 2 shown]
	v_cmp_eq_u32_e32 vcc_lo, s79, v13
	s_wait_alu 0xfffd
	v_cndmask_b32_e32 v13, v35, v16, vcc_lo
	v_add_co_u32 v16, vcc_lo, v18, 1
	s_wait_alu 0xfffd
	v_add_co_ci_u32_e64 v35, null, 0, v32, vcc_lo
	v_cmp_eq_u32_e32 vcc_lo, s79, v14
	v_xor_b32_e32 v14, s76, v15
	s_wait_alu 0xfffd
	v_cndmask_b32_e32 v2, v36, v2, vcc_lo
	v_cmp_ne_u32_e32 vcc_lo, 0, v13
	s_delay_alu instid0(VALU_DEP_2) | instskip(SKIP_3) | instid1(VALU_DEP_1)
	v_cmp_ne_u32_e64 s0, 0, v2
	s_wait_alu 0xfffd
	v_dual_cndmask_b32 v13, v35, v34 :: v_dual_cndmask_b32 v2, v16, v33
                                        ; implicit-def: $vgpr16
	s_wait_alu 0xf1ff
	v_cndmask_b32_e64 v13, v32, v13, s0
	s_delay_alu instid0(VALU_DEP_2) | instskip(NEXT) | instid1(VALU_DEP_2)
	v_cndmask_b32_e64 v2, v18, v2, s0
	v_xor_b32_e32 v15, v13, v14
	s_delay_alu instid0(VALU_DEP_2) | instskip(NEXT) | instid1(VALU_DEP_1)
	v_xor_b32_e32 v2, v2, v14
	v_sub_co_u32 v13, vcc_lo, v2, v14
	s_wait_alu 0xfffd
	s_delay_alu instid0(VALU_DEP_3)
	v_sub_co_ci_u32_e64 v14, null, v15, v14, vcc_lo
.LBB31_25:                              ;   in Loop: Header=BB31_3 Depth=1
	s_or_saveexec_b32 s0, s84
	v_cvt_f32_u32_e32 v32, s44
	s_wait_alu 0xfffe
	s_xor_b32 exec_lo, exec_lo, s0
	s_cbranch_execz .LBB31_27
; %bb.26:                               ;   in Loop: Header=BB31_3 Depth=1
	s_delay_alu instid0(VALU_DEP_1) | instskip(SKIP_1) | instid1(TRANS32_DEP_1)
	v_rcp_iflag_f32_e32 v2, v32
	s_sub_co_i32 s76, 0, s44
	v_mul_f32_e32 v2, 0x4f7ffffe, v2
	s_delay_alu instid0(VALU_DEP_1) | instskip(SKIP_1) | instid1(VALU_DEP_1)
	v_cvt_u32_f32_e32 v2, v2
	s_wait_alu 0xfffe
	v_mul_lo_u32 v13, s76, v2
	s_delay_alu instid0(VALU_DEP_1) | instskip(NEXT) | instid1(VALU_DEP_1)
	v_mul_hi_u32 v13, v2, v13
	v_add_nc_u32_e32 v2, v2, v13
	s_delay_alu instid0(VALU_DEP_1) | instskip(NEXT) | instid1(VALU_DEP_1)
	v_mul_hi_u32 v2, v16, v2
	v_mul_lo_u32 v13, v2, s44
	v_add_nc_u32_e32 v14, 1, v2
	s_delay_alu instid0(VALU_DEP_2) | instskip(NEXT) | instid1(VALU_DEP_1)
	v_sub_nc_u32_e32 v13, v16, v13
	v_subrev_nc_u32_e32 v15, s44, v13
	v_cmp_le_u32_e32 vcc_lo, s44, v13
	s_wait_alu 0xfffd
	s_delay_alu instid0(VALU_DEP_2) | instskip(NEXT) | instid1(VALU_DEP_1)
	v_dual_cndmask_b32 v13, v13, v15 :: v_dual_cndmask_b32 v2, v2, v14
	v_cmp_le_u32_e32 vcc_lo, s44, v13
	s_delay_alu instid0(VALU_DEP_2) | instskip(SKIP_1) | instid1(VALU_DEP_1)
	v_add_nc_u32_e32 v14, 1, v2
	s_wait_alu 0xfffd
	v_dual_cndmask_b32 v13, v2, v14 :: v_dual_mov_b32 v14, v1
.LBB31_27:                              ;   in Loop: Header=BB31_3 Depth=1
	s_or_b32 exec_lo, exec_lo, s0
	v_or_b32_e32 v2, s45, v21
                                        ; implicit-def: $vgpr15_vgpr16
	s_mov_b32 s0, exec_lo
	s_delay_alu instid0(VALU_DEP_1)
	v_cmpx_ne_u64_e32 0, v[1:2]
	s_wait_alu 0xfffe
	s_xor_b32 s84, exec_lo, s0
	s_cbranch_execz .LBB31_29
; %bb.28:                               ;   in Loop: Header=BB31_3 Depth=1
	s_ashr_i32 s76, s45, 31
	v_add_co_u32 v2, vcc_lo, v20, v17
	s_wait_alu 0xfffe
	s_mov_b32 s77, s76
	s_wait_alu 0xfffd
	v_add_co_ci_u32_e64 v15, null, v21, v17, vcc_lo
	s_wait_alu 0xfffe
	s_add_nc_u64 s[78:79], s[44:45], s[76:77]
	v_xor_b32_e32 v2, v2, v17
	s_wait_alu 0xfffe
	s_xor_b64 s[78:79], s[78:79], s[76:77]
	v_xor_b32_e32 v18, v15, v17
	s_wait_alu 0xfffe
	s_cvt_f32_u32 s0, s78
	s_cvt_f32_u32 s77, s79
	s_sub_nc_u64 s[88:89], 0, s[78:79]
	s_wait_alu 0xfffe
	s_delay_alu instid0(SALU_CYCLE_1) | instskip(SKIP_1) | instid1(SALU_CYCLE_2)
	s_fmamk_f32 s0, s77, 0x4f800000, s0
	s_wait_alu 0xfffe
	v_s_rcp_f32 s0, s0
	s_delay_alu instid0(TRANS32_DEP_1) | instskip(SKIP_1) | instid1(SALU_CYCLE_2)
	s_mul_f32 s0, s0, 0x5f7ffffc
	s_wait_alu 0xfffe
	s_mul_f32 s77, s0, 0x2f800000
	s_wait_alu 0xfffe
	s_delay_alu instid0(SALU_CYCLE_2) | instskip(SKIP_1) | instid1(SALU_CYCLE_2)
	s_trunc_f32 s77, s77
	s_wait_alu 0xfffe
	s_fmamk_f32 s0, s77, 0xcf800000, s0
	s_cvt_u32_f32 s87, s77
	s_wait_alu 0xfffe
	s_delay_alu instid0(SALU_CYCLE_1) | instskip(NEXT) | instid1(SALU_CYCLE_3)
	s_cvt_u32_f32 s86, s0
	s_mul_u64 s[90:91], s[88:89], s[86:87]
	s_delay_alu instid0(SALU_CYCLE_1)
	s_mul_hi_u32 s93, s86, s91
	s_mul_i32 s92, s86, s91
	s_mul_hi_u32 s0, s86, s90
	s_mul_i32 s85, s87, s90
	s_wait_alu 0xfffe
	s_add_nc_u64 s[92:93], s[0:1], s[92:93]
	s_mul_hi_u32 s77, s87, s90
	s_mul_hi_u32 s94, s87, s91
	s_add_co_u32 s0, s92, s85
	s_wait_alu 0xfffe
	s_add_co_ci_u32 s0, s93, s77
	s_mul_i32 s90, s87, s91
	s_add_co_ci_u32 s91, s94, 0
	s_wait_alu 0xfffe
	s_add_nc_u64 s[90:91], s[0:1], s[90:91]
	s_delay_alu instid0(SALU_CYCLE_1) | instskip(SKIP_4) | instid1(SALU_CYCLE_1)
	s_add_co_u32 s86, s86, s90
	s_cselect_b32 s0, -1, 0
	s_wait_alu 0xfffe
	s_cmp_lg_u32 s0, 0
	s_add_co_ci_u32 s87, s87, s91
	s_mul_u64 s[88:89], s[88:89], s[86:87]
	s_delay_alu instid0(SALU_CYCLE_1)
	s_mul_hi_u32 s91, s86, s89
	s_mul_i32 s90, s86, s89
	s_mul_hi_u32 s0, s86, s88
	s_mul_i32 s85, s87, s88
	s_wait_alu 0xfffe
	s_add_nc_u64 s[90:91], s[0:1], s[90:91]
	s_mul_hi_u32 s77, s87, s88
	s_mul_hi_u32 s92, s87, s89
	s_add_co_u32 s0, s90, s85
	s_wait_alu 0xfffe
	s_add_co_ci_u32 s0, s91, s77
	s_mul_i32 s88, s87, s89
	s_add_co_ci_u32 s89, s92, 0
	s_wait_alu 0xfffe
	s_add_nc_u64 s[88:89], s[0:1], s[88:89]
	s_delay_alu instid0(SALU_CYCLE_1)
	s_add_co_u32 s0, s86, s88
	s_cselect_b32 s77, -1, 0
	s_wait_alu 0xfffe
	v_mul_hi_u32 v35, v2, s0
	s_cmp_lg_u32 s77, 0
	v_mad_co_u64_u32 v[20:21], null, v18, s0, 0
	s_add_co_ci_u32 s77, s87, s89
	s_wait_alu 0xfffe
	v_mad_co_u64_u32 v[15:16], null, v2, s77, 0
	v_mad_co_u64_u32 v[33:34], null, v18, s77, 0
	s_delay_alu instid0(VALU_DEP_2) | instskip(SKIP_1) | instid1(VALU_DEP_3)
	v_add_co_u32 v15, vcc_lo, v35, v15
	s_wait_alu 0xfffd
	v_add_co_ci_u32_e64 v16, null, 0, v16, vcc_lo
	s_delay_alu instid0(VALU_DEP_2) | instskip(SKIP_1) | instid1(VALU_DEP_2)
	v_add_co_u32 v15, vcc_lo, v15, v20
	s_wait_alu 0xfffd
	v_add_co_ci_u32_e32 v15, vcc_lo, v16, v21, vcc_lo
	s_wait_alu 0xfffd
	v_add_co_ci_u32_e32 v16, vcc_lo, 0, v34, vcc_lo
	s_delay_alu instid0(VALU_DEP_2) | instskip(SKIP_1) | instid1(VALU_DEP_2)
	v_add_co_u32 v20, vcc_lo, v15, v33
	s_wait_alu 0xfffd
	v_add_co_ci_u32_e64 v21, null, 0, v16, vcc_lo
	s_delay_alu instid0(VALU_DEP_2) | instskip(SKIP_1) | instid1(VALU_DEP_3)
	v_mul_lo_u32 v33, s79, v20
	v_mad_co_u64_u32 v[15:16], null, s78, v20, 0
	v_mul_lo_u32 v34, s78, v21
	s_delay_alu instid0(VALU_DEP_2) | instskip(NEXT) | instid1(VALU_DEP_2)
	v_sub_co_u32 v2, vcc_lo, v2, v15
	v_add3_u32 v16, v16, v34, v33
	s_delay_alu instid0(VALU_DEP_1) | instskip(SKIP_2) | instid1(VALU_DEP_2)
	v_sub_nc_u32_e32 v33, v18, v16
	s_wait_alu 0xfffd
	v_sub_co_ci_u32_e64 v16, null, v18, v16, vcc_lo
	v_subrev_co_ci_u32_e64 v15, null, s79, v33, vcc_lo
	v_add_co_u32 v33, s0, v20, 2
	s_wait_alu 0xf1ff
	v_add_co_ci_u32_e64 v34, null, 0, v21, s0
	v_sub_co_u32 v35, s0, v2, s78
	s_wait_alu 0xf1ff
	v_subrev_co_ci_u32_e64 v15, null, 0, v15, s0
	s_delay_alu instid0(VALU_DEP_2) | instskip(SKIP_2) | instid1(VALU_DEP_3)
	v_cmp_le_u32_e32 vcc_lo, s78, v35
	s_wait_alu 0xfffd
	v_cndmask_b32_e64 v18, 0, -1, vcc_lo
	v_cmp_le_u32_e32 vcc_lo, s79, v15
	s_wait_alu 0xfffd
	v_cndmask_b32_e64 v35, 0, -1, vcc_lo
	;; [unrolled: 3-line block ×4, first 2 shown]
	v_cmp_eq_u32_e32 vcc_lo, s79, v15
	s_wait_alu 0xfffd
	v_cndmask_b32_e32 v15, v35, v18, vcc_lo
	v_add_co_u32 v18, vcc_lo, v20, 1
	s_wait_alu 0xfffd
	v_add_co_ci_u32_e64 v35, null, 0, v21, vcc_lo
	v_cmp_eq_u32_e32 vcc_lo, s79, v16
	v_xor_b32_e32 v16, s76, v17
	s_wait_alu 0xfffd
	v_cndmask_b32_e32 v2, v36, v2, vcc_lo
	v_cmp_ne_u32_e32 vcc_lo, 0, v15
	s_delay_alu instid0(VALU_DEP_2) | instskip(SKIP_3) | instid1(VALU_DEP_1)
	v_cmp_ne_u32_e64 s0, 0, v2
	s_wait_alu 0xfffd
	v_dual_cndmask_b32 v2, v18, v33 :: v_dual_cndmask_b32 v15, v35, v34
	s_wait_alu 0xf1ff
	v_cndmask_b32_e64 v2, v20, v2, s0
	s_delay_alu instid0(VALU_DEP_2) | instskip(NEXT) | instid1(VALU_DEP_2)
	v_cndmask_b32_e64 v15, v21, v15, s0
                                        ; implicit-def: $vgpr20
	v_xor_b32_e32 v2, v2, v16
	s_delay_alu instid0(VALU_DEP_2) | instskip(NEXT) | instid1(VALU_DEP_2)
	v_xor_b32_e32 v17, v15, v16
	v_sub_co_u32 v15, vcc_lo, v2, v16
	s_wait_alu 0xfffd
	s_delay_alu instid0(VALU_DEP_2)
	v_sub_co_ci_u32_e64 v16, null, v17, v16, vcc_lo
.LBB31_29:                              ;   in Loop: Header=BB31_3 Depth=1
	s_and_not1_saveexec_b32 s0, s84
	s_cbranch_execz .LBB31_31
; %bb.30:                               ;   in Loop: Header=BB31_3 Depth=1
	v_rcp_iflag_f32_e32 v2, v32
	s_sub_co_i32 s76, 0, s44
	s_delay_alu instid0(TRANS32_DEP_1) | instskip(NEXT) | instid1(VALU_DEP_1)
	v_mul_f32_e32 v2, 0x4f7ffffe, v2
	v_cvt_u32_f32_e32 v2, v2
	s_wait_alu 0xfffe
	s_delay_alu instid0(VALU_DEP_1) | instskip(NEXT) | instid1(VALU_DEP_1)
	v_mul_lo_u32 v15, s76, v2
	v_mul_hi_u32 v15, v2, v15
	s_delay_alu instid0(VALU_DEP_1) | instskip(NEXT) | instid1(VALU_DEP_1)
	v_add_nc_u32_e32 v2, v2, v15
	v_mul_hi_u32 v2, v20, v2
	s_delay_alu instid0(VALU_DEP_1) | instskip(SKIP_1) | instid1(VALU_DEP_2)
	v_mul_lo_u32 v15, v2, s44
	v_add_nc_u32_e32 v16, 1, v2
	v_sub_nc_u32_e32 v15, v20, v15
	s_delay_alu instid0(VALU_DEP_1) | instskip(SKIP_2) | instid1(VALU_DEP_2)
	v_subrev_nc_u32_e32 v17, s44, v15
	v_cmp_le_u32_e32 vcc_lo, s44, v15
	s_wait_alu 0xfffd
	v_dual_cndmask_b32 v15, v15, v17 :: v_dual_cndmask_b32 v2, v2, v16
	s_delay_alu instid0(VALU_DEP_1) | instskip(NEXT) | instid1(VALU_DEP_2)
	v_cmp_le_u32_e32 vcc_lo, s44, v15
	v_add_nc_u32_e32 v16, 1, v2
	s_wait_alu 0xfffd
	s_delay_alu instid0(VALU_DEP_1)
	v_dual_cndmask_b32 v15, v2, v16 :: v_dual_mov_b32 v16, v1
.LBB31_31:                              ;   in Loop: Header=BB31_3 Depth=1
	s_wait_alu 0xfffe
	s_or_b32 exec_lo, exec_lo, s0
	v_or_b32_e32 v2, s45, v24
                                        ; implicit-def: $vgpr17_vgpr18
	s_mov_b32 s0, exec_lo
	s_delay_alu instid0(VALU_DEP_1)
	v_cmpx_ne_u64_e32 0, v[1:2]
	s_wait_alu 0xfffe
	s_xor_b32 s84, exec_lo, s0
	s_cbranch_execz .LBB31_33
; %bb.32:                               ;   in Loop: Header=BB31_3 Depth=1
	s_ashr_i32 s76, s45, 31
	v_add_co_u32 v2, vcc_lo, v23, v19
	s_wait_alu 0xfffe
	s_mov_b32 s77, s76
	s_wait_alu 0xfffd
	v_add_co_ci_u32_e64 v17, null, v24, v19, vcc_lo
	s_wait_alu 0xfffe
	s_add_nc_u64 s[78:79], s[44:45], s[76:77]
	v_xor_b32_e32 v2, v2, v19
	s_wait_alu 0xfffe
	s_xor_b64 s[78:79], s[78:79], s[76:77]
	v_xor_b32_e32 v33, v17, v19
	s_wait_alu 0xfffe
	s_cvt_f32_u32 s0, s78
	s_cvt_f32_u32 s77, s79
	s_sub_nc_u64 s[88:89], 0, s[78:79]
	s_wait_alu 0xfffe
	s_delay_alu instid0(SALU_CYCLE_1) | instskip(SKIP_1) | instid1(SALU_CYCLE_2)
	s_fmamk_f32 s0, s77, 0x4f800000, s0
	s_wait_alu 0xfffe
	v_s_rcp_f32 s0, s0
	s_delay_alu instid0(TRANS32_DEP_1) | instskip(SKIP_1) | instid1(SALU_CYCLE_2)
	s_mul_f32 s0, s0, 0x5f7ffffc
	s_wait_alu 0xfffe
	s_mul_f32 s77, s0, 0x2f800000
	s_wait_alu 0xfffe
	s_delay_alu instid0(SALU_CYCLE_2) | instskip(SKIP_1) | instid1(SALU_CYCLE_2)
	s_trunc_f32 s77, s77
	s_wait_alu 0xfffe
	s_fmamk_f32 s0, s77, 0xcf800000, s0
	s_cvt_u32_f32 s87, s77
	s_wait_alu 0xfffe
	s_delay_alu instid0(SALU_CYCLE_1) | instskip(NEXT) | instid1(SALU_CYCLE_3)
	s_cvt_u32_f32 s86, s0
	s_mul_u64 s[90:91], s[88:89], s[86:87]
	s_delay_alu instid0(SALU_CYCLE_1)
	s_mul_hi_u32 s93, s86, s91
	s_mul_i32 s92, s86, s91
	s_mul_hi_u32 s0, s86, s90
	s_mul_i32 s85, s87, s90
	s_wait_alu 0xfffe
	s_add_nc_u64 s[92:93], s[0:1], s[92:93]
	s_mul_hi_u32 s77, s87, s90
	s_mul_hi_u32 s94, s87, s91
	s_add_co_u32 s0, s92, s85
	s_wait_alu 0xfffe
	s_add_co_ci_u32 s0, s93, s77
	s_mul_i32 s90, s87, s91
	s_add_co_ci_u32 s91, s94, 0
	s_wait_alu 0xfffe
	s_add_nc_u64 s[90:91], s[0:1], s[90:91]
	s_delay_alu instid0(SALU_CYCLE_1) | instskip(SKIP_4) | instid1(SALU_CYCLE_1)
	s_add_co_u32 s86, s86, s90
	s_cselect_b32 s0, -1, 0
	s_wait_alu 0xfffe
	s_cmp_lg_u32 s0, 0
	s_add_co_ci_u32 s87, s87, s91
	s_mul_u64 s[88:89], s[88:89], s[86:87]
	s_delay_alu instid0(SALU_CYCLE_1)
	s_mul_hi_u32 s91, s86, s89
	s_mul_i32 s90, s86, s89
	s_mul_hi_u32 s0, s86, s88
	s_mul_i32 s85, s87, s88
	s_wait_alu 0xfffe
	s_add_nc_u64 s[90:91], s[0:1], s[90:91]
	s_mul_hi_u32 s77, s87, s88
	s_mul_hi_u32 s92, s87, s89
	s_add_co_u32 s0, s90, s85
	s_wait_alu 0xfffe
	s_add_co_ci_u32 s0, s91, s77
	s_mul_i32 s88, s87, s89
	s_add_co_ci_u32 s89, s92, 0
	s_wait_alu 0xfffe
	s_add_nc_u64 s[88:89], s[0:1], s[88:89]
	s_delay_alu instid0(SALU_CYCLE_1)
	s_add_co_u32 s0, s86, s88
	s_cselect_b32 s77, -1, 0
	s_wait_alu 0xfffe
	v_mul_hi_u32 v34, v2, s0
	s_cmp_lg_u32 s77, 0
	v_mad_co_u64_u32 v[20:21], null, v33, s0, 0
	s_add_co_ci_u32 s77, s87, s89
	s_wait_alu 0xfffe
	v_mad_co_u64_u32 v[17:18], null, v2, s77, 0
	v_mad_co_u64_u32 v[23:24], null, v33, s77, 0
	s_delay_alu instid0(VALU_DEP_2) | instskip(SKIP_1) | instid1(VALU_DEP_3)
	v_add_co_u32 v17, vcc_lo, v34, v17
	s_wait_alu 0xfffd
	v_add_co_ci_u32_e64 v18, null, 0, v18, vcc_lo
	s_delay_alu instid0(VALU_DEP_2) | instskip(SKIP_1) | instid1(VALU_DEP_2)
	v_add_co_u32 v17, vcc_lo, v17, v20
	s_wait_alu 0xfffd
	v_add_co_ci_u32_e32 v17, vcc_lo, v18, v21, vcc_lo
	s_wait_alu 0xfffd
	v_add_co_ci_u32_e32 v18, vcc_lo, 0, v24, vcc_lo
	s_delay_alu instid0(VALU_DEP_2) | instskip(SKIP_1) | instid1(VALU_DEP_2)
	v_add_co_u32 v20, vcc_lo, v17, v23
	s_wait_alu 0xfffd
	v_add_co_ci_u32_e64 v21, null, 0, v18, vcc_lo
	s_delay_alu instid0(VALU_DEP_2) | instskip(SKIP_1) | instid1(VALU_DEP_3)
	v_mul_lo_u32 v23, s79, v20
	v_mad_co_u64_u32 v[17:18], null, s78, v20, 0
	v_mul_lo_u32 v24, s78, v21
	s_delay_alu instid0(VALU_DEP_2) | instskip(NEXT) | instid1(VALU_DEP_2)
	v_sub_co_u32 v2, vcc_lo, v2, v17
	v_add3_u32 v18, v18, v24, v23
	s_delay_alu instid0(VALU_DEP_1) | instskip(SKIP_2) | instid1(VALU_DEP_2)
	v_sub_nc_u32_e32 v23, v33, v18
	s_wait_alu 0xfffd
	v_sub_co_ci_u32_e64 v18, null, v33, v18, vcc_lo
	v_subrev_co_ci_u32_e64 v17, null, s79, v23, vcc_lo
	v_add_co_u32 v23, s0, v20, 2
	s_wait_alu 0xf1ff
	v_add_co_ci_u32_e64 v24, null, 0, v21, s0
	v_sub_co_u32 v34, s0, v2, s78
	s_wait_alu 0xf1ff
	v_subrev_co_ci_u32_e64 v17, null, 0, v17, s0
	s_delay_alu instid0(VALU_DEP_2) | instskip(SKIP_2) | instid1(VALU_DEP_3)
	v_cmp_le_u32_e32 vcc_lo, s78, v34
	s_wait_alu 0xfffd
	v_cndmask_b32_e64 v33, 0, -1, vcc_lo
	v_cmp_le_u32_e32 vcc_lo, s79, v17
	s_wait_alu 0xfffd
	v_cndmask_b32_e64 v34, 0, -1, vcc_lo
	;; [unrolled: 3-line block ×4, first 2 shown]
	v_cmp_eq_u32_e32 vcc_lo, s79, v17
	s_wait_alu 0xfffd
	v_cndmask_b32_e32 v17, v34, v33, vcc_lo
	v_add_co_u32 v33, vcc_lo, v20, 1
	s_wait_alu 0xfffd
	v_add_co_ci_u32_e64 v34, null, 0, v21, vcc_lo
	v_cmp_eq_u32_e32 vcc_lo, s79, v18
	v_xor_b32_e32 v18, s76, v19
	s_wait_alu 0xfffd
	v_cndmask_b32_e32 v2, v35, v2, vcc_lo
	v_cmp_ne_u32_e32 vcc_lo, 0, v17
	s_delay_alu instid0(VALU_DEP_2) | instskip(SKIP_3) | instid1(VALU_DEP_1)
	v_cmp_ne_u32_e64 s0, 0, v2
	s_wait_alu 0xfffd
	v_dual_cndmask_b32 v17, v34, v24 :: v_dual_cndmask_b32 v2, v33, v23
                                        ; implicit-def: $vgpr23
	s_wait_alu 0xf1ff
	v_cndmask_b32_e64 v17, v21, v17, s0
	s_delay_alu instid0(VALU_DEP_2) | instskip(NEXT) | instid1(VALU_DEP_2)
	v_cndmask_b32_e64 v2, v20, v2, s0
	v_xor_b32_e32 v19, v17, v18
	s_delay_alu instid0(VALU_DEP_2) | instskip(NEXT) | instid1(VALU_DEP_1)
	v_xor_b32_e32 v2, v2, v18
	v_sub_co_u32 v17, vcc_lo, v2, v18
	s_wait_alu 0xfffd
	s_delay_alu instid0(VALU_DEP_3)
	v_sub_co_ci_u32_e64 v18, null, v19, v18, vcc_lo
.LBB31_33:                              ;   in Loop: Header=BB31_3 Depth=1
	s_and_not1_saveexec_b32 s0, s84
	s_cbranch_execz .LBB31_35
; %bb.34:                               ;   in Loop: Header=BB31_3 Depth=1
	v_rcp_iflag_f32_e32 v2, v32
	s_sub_co_i32 s76, 0, s44
	s_delay_alu instid0(TRANS32_DEP_1) | instskip(NEXT) | instid1(VALU_DEP_1)
	v_mul_f32_e32 v2, 0x4f7ffffe, v2
	v_cvt_u32_f32_e32 v2, v2
	s_wait_alu 0xfffe
	s_delay_alu instid0(VALU_DEP_1) | instskip(NEXT) | instid1(VALU_DEP_1)
	v_mul_lo_u32 v17, s76, v2
	v_mul_hi_u32 v17, v2, v17
	s_delay_alu instid0(VALU_DEP_1) | instskip(NEXT) | instid1(VALU_DEP_1)
	v_add_nc_u32_e32 v2, v2, v17
	v_mul_hi_u32 v2, v23, v2
	s_delay_alu instid0(VALU_DEP_1) | instskip(SKIP_1) | instid1(VALU_DEP_2)
	v_mul_lo_u32 v17, v2, s44
	v_add_nc_u32_e32 v18, 1, v2
	v_sub_nc_u32_e32 v17, v23, v17
	s_delay_alu instid0(VALU_DEP_1) | instskip(SKIP_2) | instid1(VALU_DEP_2)
	v_subrev_nc_u32_e32 v19, s44, v17
	v_cmp_le_u32_e32 vcc_lo, s44, v17
	s_wait_alu 0xfffd
	v_dual_cndmask_b32 v17, v17, v19 :: v_dual_cndmask_b32 v2, v2, v18
	s_delay_alu instid0(VALU_DEP_1) | instskip(NEXT) | instid1(VALU_DEP_2)
	v_cmp_le_u32_e32 vcc_lo, s44, v17
	v_add_nc_u32_e32 v18, 1, v2
	s_wait_alu 0xfffd
	s_delay_alu instid0(VALU_DEP_1)
	v_dual_cndmask_b32 v17, v2, v18 :: v_dual_mov_b32 v18, v1
.LBB31_35:                              ;   in Loop: Header=BB31_3 Depth=1
	s_wait_alu 0xfffe
	s_or_b32 exec_lo, exec_lo, s0
	v_or_b32_e32 v2, s45, v31
                                        ; implicit-def: $vgpr19_vgpr20
	s_mov_b32 s0, exec_lo
	s_delay_alu instid0(VALU_DEP_1)
	v_cmpx_ne_u64_e32 0, v[1:2]
	s_wait_alu 0xfffe
	s_xor_b32 s84, exec_lo, s0
	s_cbranch_execz .LBB31_37
; %bb.36:                               ;   in Loop: Header=BB31_3 Depth=1
	s_ashr_i32 s76, s45, 31
	v_add_co_u32 v2, vcc_lo, v30, v22
	s_wait_alu 0xfffe
	s_mov_b32 s77, s76
	s_wait_alu 0xfffd
	v_add_co_ci_u32_e64 v19, null, v31, v22, vcc_lo
	s_wait_alu 0xfffe
	s_add_nc_u64 s[78:79], s[44:45], s[76:77]
	v_xor_b32_e32 v2, v2, v22
	s_wait_alu 0xfffe
	s_xor_b64 s[78:79], s[78:79], s[76:77]
	v_xor_b32_e32 v21, v19, v22
	s_wait_alu 0xfffe
	s_cvt_f32_u32 s0, s78
	s_cvt_f32_u32 s77, s79
	s_sub_nc_u64 s[88:89], 0, s[78:79]
	s_wait_alu 0xfffe
	s_delay_alu instid0(SALU_CYCLE_1) | instskip(SKIP_1) | instid1(SALU_CYCLE_2)
	s_fmamk_f32 s0, s77, 0x4f800000, s0
	s_wait_alu 0xfffe
	v_s_rcp_f32 s0, s0
	s_delay_alu instid0(TRANS32_DEP_1) | instskip(SKIP_1) | instid1(SALU_CYCLE_2)
	s_mul_f32 s0, s0, 0x5f7ffffc
	s_wait_alu 0xfffe
	s_mul_f32 s77, s0, 0x2f800000
	s_wait_alu 0xfffe
	s_delay_alu instid0(SALU_CYCLE_2) | instskip(SKIP_1) | instid1(SALU_CYCLE_2)
	s_trunc_f32 s77, s77
	s_wait_alu 0xfffe
	s_fmamk_f32 s0, s77, 0xcf800000, s0
	s_cvt_u32_f32 s87, s77
	s_wait_alu 0xfffe
	s_delay_alu instid0(SALU_CYCLE_1) | instskip(NEXT) | instid1(SALU_CYCLE_3)
	s_cvt_u32_f32 s86, s0
	s_mul_u64 s[90:91], s[88:89], s[86:87]
	s_delay_alu instid0(SALU_CYCLE_1)
	s_mul_hi_u32 s93, s86, s91
	s_mul_i32 s92, s86, s91
	s_mul_hi_u32 s0, s86, s90
	s_mul_i32 s85, s87, s90
	s_wait_alu 0xfffe
	s_add_nc_u64 s[92:93], s[0:1], s[92:93]
	s_mul_hi_u32 s77, s87, s90
	s_mul_hi_u32 s94, s87, s91
	s_add_co_u32 s0, s92, s85
	s_wait_alu 0xfffe
	s_add_co_ci_u32 s0, s93, s77
	s_mul_i32 s90, s87, s91
	s_add_co_ci_u32 s91, s94, 0
	s_wait_alu 0xfffe
	s_add_nc_u64 s[90:91], s[0:1], s[90:91]
	s_delay_alu instid0(SALU_CYCLE_1) | instskip(SKIP_4) | instid1(SALU_CYCLE_1)
	s_add_co_u32 s86, s86, s90
	s_cselect_b32 s0, -1, 0
	s_wait_alu 0xfffe
	s_cmp_lg_u32 s0, 0
	s_add_co_ci_u32 s87, s87, s91
	s_mul_u64 s[88:89], s[88:89], s[86:87]
	s_delay_alu instid0(SALU_CYCLE_1)
	s_mul_hi_u32 s91, s86, s89
	s_mul_i32 s90, s86, s89
	s_mul_hi_u32 s0, s86, s88
	s_mul_i32 s85, s87, s88
	s_wait_alu 0xfffe
	s_add_nc_u64 s[90:91], s[0:1], s[90:91]
	s_mul_hi_u32 s77, s87, s88
	s_mul_hi_u32 s92, s87, s89
	s_add_co_u32 s0, s90, s85
	s_wait_alu 0xfffe
	s_add_co_ci_u32 s0, s91, s77
	s_mul_i32 s88, s87, s89
	s_add_co_ci_u32 s89, s92, 0
	s_wait_alu 0xfffe
	s_add_nc_u64 s[88:89], s[0:1], s[88:89]
	s_delay_alu instid0(SALU_CYCLE_1)
	s_add_co_u32 s0, s86, s88
	s_cselect_b32 s77, -1, 0
	s_wait_alu 0xfffe
	v_mul_hi_u32 v32, v2, s0
	s_cmp_lg_u32 s77, 0
	v_mad_co_u64_u32 v[23:24], null, v21, s0, 0
	s_add_co_ci_u32 s77, s87, s89
	s_wait_alu 0xfffe
	v_mad_co_u64_u32 v[19:20], null, v2, s77, 0
	v_mad_co_u64_u32 v[30:31], null, v21, s77, 0
	s_delay_alu instid0(VALU_DEP_2) | instskip(SKIP_1) | instid1(VALU_DEP_3)
	v_add_co_u32 v19, vcc_lo, v32, v19
	s_wait_alu 0xfffd
	v_add_co_ci_u32_e64 v20, null, 0, v20, vcc_lo
	s_delay_alu instid0(VALU_DEP_2) | instskip(SKIP_1) | instid1(VALU_DEP_2)
	v_add_co_u32 v19, vcc_lo, v19, v23
	s_wait_alu 0xfffd
	v_add_co_ci_u32_e32 v19, vcc_lo, v20, v24, vcc_lo
	s_wait_alu 0xfffd
	v_add_co_ci_u32_e32 v20, vcc_lo, 0, v31, vcc_lo
	s_delay_alu instid0(VALU_DEP_2) | instskip(SKIP_1) | instid1(VALU_DEP_2)
	v_add_co_u32 v23, vcc_lo, v19, v30
	s_wait_alu 0xfffd
	v_add_co_ci_u32_e64 v24, null, 0, v20, vcc_lo
	s_delay_alu instid0(VALU_DEP_2) | instskip(SKIP_1) | instid1(VALU_DEP_3)
	v_mul_lo_u32 v30, s79, v23
	v_mad_co_u64_u32 v[19:20], null, s78, v23, 0
	v_mul_lo_u32 v31, s78, v24
	s_delay_alu instid0(VALU_DEP_2) | instskip(NEXT) | instid1(VALU_DEP_2)
	v_sub_co_u32 v2, vcc_lo, v2, v19
	v_add3_u32 v20, v20, v31, v30
	s_delay_alu instid0(VALU_DEP_1) | instskip(SKIP_2) | instid1(VALU_DEP_2)
	v_sub_nc_u32_e32 v30, v21, v20
	s_wait_alu 0xfffd
	v_sub_co_ci_u32_e64 v20, null, v21, v20, vcc_lo
	v_subrev_co_ci_u32_e64 v19, null, s79, v30, vcc_lo
	v_add_co_u32 v30, s0, v23, 2
	s_wait_alu 0xf1ff
	v_add_co_ci_u32_e64 v31, null, 0, v24, s0
	v_sub_co_u32 v32, s0, v2, s78
	s_wait_alu 0xf1ff
	v_subrev_co_ci_u32_e64 v19, null, 0, v19, s0
	s_delay_alu instid0(VALU_DEP_2) | instskip(SKIP_2) | instid1(VALU_DEP_3)
	v_cmp_le_u32_e32 vcc_lo, s78, v32
	s_wait_alu 0xfffd
	v_cndmask_b32_e64 v21, 0, -1, vcc_lo
	v_cmp_le_u32_e32 vcc_lo, s79, v19
	s_wait_alu 0xfffd
	v_cndmask_b32_e64 v32, 0, -1, vcc_lo
	;; [unrolled: 3-line block ×4, first 2 shown]
	v_cmp_eq_u32_e32 vcc_lo, s79, v19
	s_wait_alu 0xfffd
	v_cndmask_b32_e32 v19, v32, v21, vcc_lo
	v_add_co_u32 v21, vcc_lo, v23, 1
	s_wait_alu 0xfffd
	v_add_co_ci_u32_e64 v32, null, 0, v24, vcc_lo
	v_cmp_eq_u32_e32 vcc_lo, s79, v20
	v_xor_b32_e32 v20, s76, v22
	s_wait_alu 0xfffd
	v_cndmask_b32_e32 v2, v33, v2, vcc_lo
	v_cmp_ne_u32_e32 vcc_lo, 0, v19
	s_delay_alu instid0(VALU_DEP_2) | instskip(SKIP_3) | instid1(VALU_DEP_1)
	v_cmp_ne_u32_e64 s0, 0, v2
	s_wait_alu 0xfffd
	v_dual_cndmask_b32 v19, v32, v31 :: v_dual_cndmask_b32 v2, v21, v30
                                        ; implicit-def: $vgpr32
                                        ; implicit-def: $vgpr30
	s_wait_alu 0xf1ff
	v_cndmask_b32_e64 v19, v24, v19, s0
	s_delay_alu instid0(VALU_DEP_2) | instskip(NEXT) | instid1(VALU_DEP_2)
	v_cndmask_b32_e64 v2, v23, v2, s0
	v_xor_b32_e32 v21, v19, v20
	s_delay_alu instid0(VALU_DEP_2) | instskip(NEXT) | instid1(VALU_DEP_1)
	v_xor_b32_e32 v2, v2, v20
	v_sub_co_u32 v19, vcc_lo, v2, v20
	s_wait_alu 0xfffd
	s_delay_alu instid0(VALU_DEP_3)
	v_sub_co_ci_u32_e64 v20, null, v21, v20, vcc_lo
.LBB31_37:                              ;   in Loop: Header=BB31_3 Depth=1
	s_and_not1_saveexec_b32 s0, s84
	s_cbranch_execz .LBB31_39
; %bb.38:                               ;   in Loop: Header=BB31_3 Depth=1
	v_rcp_iflag_f32_e32 v2, v32
	s_sub_co_i32 s76, 0, s44
	s_delay_alu instid0(TRANS32_DEP_1) | instskip(NEXT) | instid1(VALU_DEP_1)
	v_mul_f32_e32 v2, 0x4f7ffffe, v2
	v_cvt_u32_f32_e32 v2, v2
	s_wait_alu 0xfffe
	s_delay_alu instid0(VALU_DEP_1) | instskip(NEXT) | instid1(VALU_DEP_1)
	v_mul_lo_u32 v19, s76, v2
	v_mul_hi_u32 v19, v2, v19
	s_delay_alu instid0(VALU_DEP_1) | instskip(NEXT) | instid1(VALU_DEP_1)
	v_add_nc_u32_e32 v2, v2, v19
	v_mul_hi_u32 v2, v30, v2
	s_delay_alu instid0(VALU_DEP_1) | instskip(SKIP_1) | instid1(VALU_DEP_2)
	v_mul_lo_u32 v19, v2, s44
	v_add_nc_u32_e32 v20, 1, v2
	v_sub_nc_u32_e32 v19, v30, v19
	s_delay_alu instid0(VALU_DEP_1) | instskip(SKIP_2) | instid1(VALU_DEP_2)
	v_subrev_nc_u32_e32 v21, s44, v19
	v_cmp_le_u32_e32 vcc_lo, s44, v19
	s_wait_alu 0xfffd
	v_dual_cndmask_b32 v19, v19, v21 :: v_dual_cndmask_b32 v2, v2, v20
	s_delay_alu instid0(VALU_DEP_1) | instskip(NEXT) | instid1(VALU_DEP_2)
	v_cmp_le_u32_e32 vcc_lo, s44, v19
	v_add_nc_u32_e32 v20, 1, v2
	s_wait_alu 0xfffd
	s_delay_alu instid0(VALU_DEP_1)
	v_dual_cndmask_b32 v19, v2, v20 :: v_dual_mov_b32 v20, v1
.LBB31_39:                              ;   in Loop: Header=BB31_3 Depth=1
	s_wait_alu 0xfffe
	s_or_b32 exec_lo, exec_lo, s0
	v_or_b32_e32 v2, s51, v4
                                        ; implicit-def: $vgpr21_vgpr22
	s_mov_b32 s0, exec_lo
	s_delay_alu instid0(VALU_DEP_1)
	v_cmpx_ne_u64_e32 0, v[1:2]
	s_wait_alu 0xfffe
	s_xor_b32 s84, exec_lo, s0
	s_cbranch_execz .LBB31_41
; %bb.40:                               ;   in Loop: Header=BB31_3 Depth=1
	s_ashr_i32 s76, s51, 31
	v_ashrrev_i32_e32 v2, 31, v4
	s_wait_alu 0xfffe
	s_mov_b32 s77, s76
	s_wait_alu 0xfffe
	s_add_nc_u64 s[78:79], s[50:51], s[76:77]
	v_add_co_u32 v21, vcc_lo, v3, v2
	s_wait_alu 0xfffe
	s_xor_b64 s[78:79], s[78:79], s[76:77]
	s_wait_alu 0xfffd
	v_add_co_ci_u32_e64 v22, null, v4, v2, vcc_lo
	s_wait_alu 0xfffe
	s_cvt_f32_u32 s0, s78
	s_cvt_f32_u32 s77, s79
	s_sub_nc_u64 s[88:89], 0, s[78:79]
	v_xor_b32_e32 v32, v21, v2
	v_xor_b32_e32 v33, v22, v2
	s_wait_alu 0xfffe
	s_fmamk_f32 s0, s77, 0x4f800000, s0
	v_xor_b32_e32 v2, s76, v2
	s_wait_alu 0xfffe
	s_delay_alu instid0(SALU_CYCLE_1) | instskip(NEXT) | instid1(TRANS32_DEP_1)
	v_s_rcp_f32 s0, s0
	s_mul_f32 s0, s0, 0x5f7ffffc
	s_wait_alu 0xfffe
	s_delay_alu instid0(SALU_CYCLE_2) | instskip(SKIP_1) | instid1(SALU_CYCLE_2)
	s_mul_f32 s77, s0, 0x2f800000
	s_wait_alu 0xfffe
	s_trunc_f32 s77, s77
	s_wait_alu 0xfffe
	s_delay_alu instid0(SALU_CYCLE_2) | instskip(SKIP_2) | instid1(SALU_CYCLE_1)
	s_fmamk_f32 s0, s77, 0xcf800000, s0
	s_cvt_u32_f32 s87, s77
	s_wait_alu 0xfffe
	s_cvt_u32_f32 s86, s0
	s_delay_alu instid0(SALU_CYCLE_3) | instskip(NEXT) | instid1(SALU_CYCLE_1)
	s_mul_u64 s[90:91], s[88:89], s[86:87]
	s_mul_hi_u32 s93, s86, s91
	s_mul_i32 s92, s86, s91
	s_mul_hi_u32 s0, s86, s90
	s_mul_i32 s85, s87, s90
	s_wait_alu 0xfffe
	s_add_nc_u64 s[92:93], s[0:1], s[92:93]
	s_mul_hi_u32 s77, s87, s90
	s_mul_hi_u32 s94, s87, s91
	s_add_co_u32 s0, s92, s85
	s_wait_alu 0xfffe
	s_add_co_ci_u32 s0, s93, s77
	s_mul_i32 s90, s87, s91
	s_add_co_ci_u32 s91, s94, 0
	s_wait_alu 0xfffe
	s_add_nc_u64 s[90:91], s[0:1], s[90:91]
	s_delay_alu instid0(SALU_CYCLE_1) | instskip(SKIP_4) | instid1(SALU_CYCLE_1)
	s_add_co_u32 s86, s86, s90
	s_cselect_b32 s0, -1, 0
	s_wait_alu 0xfffe
	s_cmp_lg_u32 s0, 0
	s_add_co_ci_u32 s87, s87, s91
	s_mul_u64 s[88:89], s[88:89], s[86:87]
	s_delay_alu instid0(SALU_CYCLE_1)
	s_mul_hi_u32 s91, s86, s89
	s_mul_i32 s90, s86, s89
	s_mul_hi_u32 s0, s86, s88
	s_mul_i32 s85, s87, s88
	s_wait_alu 0xfffe
	s_add_nc_u64 s[90:91], s[0:1], s[90:91]
	s_mul_hi_u32 s77, s87, s88
	s_mul_hi_u32 s92, s87, s89
	s_add_co_u32 s0, s90, s85
	s_wait_alu 0xfffe
	s_add_co_ci_u32 s0, s91, s77
	s_mul_i32 s88, s87, s89
	s_add_co_ci_u32 s89, s92, 0
	s_wait_alu 0xfffe
	s_add_nc_u64 s[88:89], s[0:1], s[88:89]
	s_delay_alu instid0(SALU_CYCLE_1)
	s_add_co_u32 s0, s86, s88
	s_cselect_b32 s77, -1, 0
	s_wait_alu 0xfffe
	v_mul_hi_u32 v34, v32, s0
	s_cmp_lg_u32 s77, 0
	v_mad_co_u64_u32 v[23:24], null, v33, s0, 0
	s_add_co_ci_u32 s77, s87, s89
	s_wait_alu 0xfffe
	v_mad_co_u64_u32 v[21:22], null, v32, s77, 0
	v_mad_co_u64_u32 v[30:31], null, v33, s77, 0
	s_delay_alu instid0(VALU_DEP_2) | instskip(SKIP_1) | instid1(VALU_DEP_3)
	v_add_co_u32 v21, vcc_lo, v34, v21
	s_wait_alu 0xfffd
	v_add_co_ci_u32_e64 v22, null, 0, v22, vcc_lo
	s_delay_alu instid0(VALU_DEP_2) | instskip(SKIP_1) | instid1(VALU_DEP_2)
	v_add_co_u32 v21, vcc_lo, v21, v23
	s_wait_alu 0xfffd
	v_add_co_ci_u32_e32 v21, vcc_lo, v22, v24, vcc_lo
	s_wait_alu 0xfffd
	v_add_co_ci_u32_e32 v22, vcc_lo, 0, v31, vcc_lo
	s_delay_alu instid0(VALU_DEP_2) | instskip(SKIP_1) | instid1(VALU_DEP_2)
	v_add_co_u32 v23, vcc_lo, v21, v30
	s_wait_alu 0xfffd
	v_add_co_ci_u32_e64 v24, null, 0, v22, vcc_lo
	s_delay_alu instid0(VALU_DEP_2) | instskip(SKIP_1) | instid1(VALU_DEP_3)
	v_mul_lo_u32 v30, s79, v23
	v_mad_co_u64_u32 v[21:22], null, s78, v23, 0
	v_mul_lo_u32 v31, s78, v24
	s_delay_alu instid0(VALU_DEP_2) | instskip(NEXT) | instid1(VALU_DEP_2)
	v_sub_co_u32 v21, vcc_lo, v32, v21
	v_add3_u32 v22, v22, v31, v30
	v_add_co_u32 v31, s0, v23, 2
	s_wait_alu 0xf1ff
	v_add_co_ci_u32_e64 v32, null, 0, v24, s0
	s_delay_alu instid0(VALU_DEP_3) | instskip(SKIP_3) | instid1(VALU_DEP_3)
	v_sub_nc_u32_e32 v30, v33, v22
	v_sub_co_u32 v34, s0, v21, s78
	s_wait_alu 0xfffd
	v_sub_co_ci_u32_e64 v22, null, v33, v22, vcc_lo
	v_subrev_co_ci_u32_e64 v30, null, s79, v30, vcc_lo
	s_delay_alu instid0(VALU_DEP_3) | instskip(SKIP_1) | instid1(VALU_DEP_2)
	v_cmp_le_u32_e32 vcc_lo, s78, v34
	s_wait_alu 0xf1ff
	v_subrev_co_ci_u32_e64 v30, null, 0, v30, s0
	s_wait_alu 0xfffd
	v_cndmask_b32_e64 v33, 0, -1, vcc_lo
	s_delay_alu instid0(VALU_DEP_2)
	v_cmp_le_u32_e32 vcc_lo, s79, v30
	s_wait_alu 0xfffd
	v_cndmask_b32_e64 v34, 0, -1, vcc_lo
	v_cmp_le_u32_e32 vcc_lo, s78, v21
	s_wait_alu 0xfffd
	v_cndmask_b32_e64 v21, 0, -1, vcc_lo
	;; [unrolled: 3-line block ×3, first 2 shown]
	v_cmp_eq_u32_e32 vcc_lo, s79, v30
	s_wait_alu 0xfffd
	v_cndmask_b32_e32 v30, v34, v33, vcc_lo
	v_add_co_u32 v33, vcc_lo, v23, 1
	s_wait_alu 0xfffd
	v_add_co_ci_u32_e64 v34, null, 0, v24, vcc_lo
	v_cmp_eq_u32_e32 vcc_lo, s79, v22
	s_wait_alu 0xfffd
	v_cndmask_b32_e32 v21, v35, v21, vcc_lo
	v_cmp_ne_u32_e32 vcc_lo, 0, v30
	s_wait_alu 0xfffd
	v_cndmask_b32_e32 v22, v34, v32, vcc_lo
	s_delay_alu instid0(VALU_DEP_3) | instskip(SKIP_2) | instid1(VALU_DEP_2)
	v_cmp_ne_u32_e64 s0, 0, v21
	v_cndmask_b32_e32 v21, v33, v31, vcc_lo
	s_wait_alu 0xf1ff
	v_cndmask_b32_e64 v22, v24, v22, s0
	s_delay_alu instid0(VALU_DEP_2) | instskip(NEXT) | instid1(VALU_DEP_2)
	v_cndmask_b32_e64 v21, v23, v21, s0
	v_xor_b32_e32 v22, v22, v2
	s_delay_alu instid0(VALU_DEP_2) | instskip(NEXT) | instid1(VALU_DEP_1)
	v_xor_b32_e32 v21, v21, v2
	v_sub_co_u32 v21, vcc_lo, v21, v2
	s_wait_alu 0xfffd
	s_delay_alu instid0(VALU_DEP_3)
	v_sub_co_ci_u32_e64 v22, null, v22, v2, vcc_lo
.LBB31_41:                              ;   in Loop: Header=BB31_3 Depth=1
	s_and_not1_saveexec_b32 s0, s84
	s_cbranch_execz .LBB31_43
; %bb.42:                               ;   in Loop: Header=BB31_3 Depth=1
	v_cvt_f32_u32_e32 v2, s50
	s_sub_co_i32 s76, 0, s50
	s_delay_alu instid0(VALU_DEP_1) | instskip(NEXT) | instid1(TRANS32_DEP_1)
	v_rcp_iflag_f32_e32 v2, v2
	v_mul_f32_e32 v2, 0x4f7ffffe, v2
	s_delay_alu instid0(VALU_DEP_1) | instskip(SKIP_1) | instid1(VALU_DEP_1)
	v_cvt_u32_f32_e32 v2, v2
	s_wait_alu 0xfffe
	v_mul_lo_u32 v21, s76, v2
	s_delay_alu instid0(VALU_DEP_1) | instskip(NEXT) | instid1(VALU_DEP_1)
	v_mul_hi_u32 v21, v2, v21
	v_add_nc_u32_e32 v2, v2, v21
	s_delay_alu instid0(VALU_DEP_1) | instskip(NEXT) | instid1(VALU_DEP_1)
	v_mul_hi_u32 v2, v3, v2
	v_mul_lo_u32 v21, v2, s50
	v_add_nc_u32_e32 v22, 1, v2
	s_delay_alu instid0(VALU_DEP_2) | instskip(NEXT) | instid1(VALU_DEP_1)
	v_sub_nc_u32_e32 v21, v3, v21
	v_subrev_nc_u32_e32 v23, s50, v21
	v_cmp_le_u32_e32 vcc_lo, s50, v21
	s_wait_alu 0xfffd
	s_delay_alu instid0(VALU_DEP_2) | instskip(NEXT) | instid1(VALU_DEP_1)
	v_dual_cndmask_b32 v21, v21, v23 :: v_dual_cndmask_b32 v2, v2, v22
	v_cmp_le_u32_e32 vcc_lo, s50, v21
	s_delay_alu instid0(VALU_DEP_2) | instskip(SKIP_1) | instid1(VALU_DEP_1)
	v_add_nc_u32_e32 v22, 1, v2
	s_wait_alu 0xfffd
	v_dual_cndmask_b32 v21, v2, v22 :: v_dual_mov_b32 v22, v1
.LBB31_43:                              ;   in Loop: Header=BB31_3 Depth=1
	s_wait_alu 0xfffe
	s_or_b32 exec_lo, exec_lo, s0
	s_delay_alu instid0(VALU_DEP_1) | instskip(NEXT) | instid1(VALU_DEP_2)
	v_mad_co_u64_u32 v[23:24], null, s66, v21, v[3:4]
	v_mul_lo_u32 v2, s66, v22
	v_mul_lo_u32 v30, s67, v21
	;; [unrolled: 1-line block ×4, first 2 shown]
	v_mad_co_u64_u32 v[21:22], null, v21, s20, 0
	s_mov_b32 s0, exec_lo
	v_add3_u32 v2, v30, v24, v2
	v_mul_lo_u32 v30, v23, s23
	v_mad_co_u64_u32 v[23:24], null, v23, s22, 0
	v_add3_u32 v22, v22, v32, v31
	s_delay_alu instid0(VALU_DEP_4) | instskip(NEXT) | instid1(VALU_DEP_2)
	v_mul_lo_u32 v2, v2, s22
	v_lshlrev_b64_e32 v[21:22], 1, v[21:22]
	s_delay_alu instid0(VALU_DEP_2) | instskip(NEXT) | instid1(VALU_DEP_2)
	v_add3_u32 v24, v24, v30, v2
	v_add_co_u32 v2, vcc_lo, s48, v21
	s_wait_alu 0xfffd
	s_delay_alu instid0(VALU_DEP_3) | instskip(NEXT) | instid1(VALU_DEP_3)
	v_add_co_ci_u32_e64 v22, null, s49, v22, vcc_lo
	v_lshlrev_b64_e32 v[23:24], 1, v[23:24]
	s_delay_alu instid0(VALU_DEP_1) | instskip(SKIP_1) | instid1(VALU_DEP_2)
	v_add_co_u32 v21, vcc_lo, v2, v23
	s_wait_alu 0xfffd
	v_add_co_ci_u32_e64 v22, null, v22, v24, vcc_lo
	v_or_b32_e32 v2, s55, v4
	global_load_u16 v30, v[21:22], off
                                        ; implicit-def: $vgpr21_vgpr22
	v_cmpx_ne_u64_e32 0, v[1:2]
	s_wait_alu 0xfffe
	s_xor_b32 s84, exec_lo, s0
	s_cbranch_execz .LBB31_45
; %bb.44:                               ;   in Loop: Header=BB31_3 Depth=1
	s_ashr_i32 s76, s55, 31
	v_ashrrev_i32_e32 v2, 31, v4
	s_wait_alu 0xfffe
	s_mov_b32 s77, s76
	s_wait_alu 0xfffe
	s_add_nc_u64 s[78:79], s[54:55], s[76:77]
	v_add_co_u32 v21, vcc_lo, v3, v2
	s_wait_alu 0xfffe
	s_xor_b64 s[78:79], s[78:79], s[76:77]
	s_wait_alu 0xfffd
	v_add_co_ci_u32_e64 v22, null, v4, v2, vcc_lo
	s_wait_alu 0xfffe
	s_cvt_f32_u32 s0, s78
	s_cvt_f32_u32 s77, s79
	s_sub_nc_u64 s[88:89], 0, s[78:79]
	v_xor_b32_e32 v33, v21, v2
	v_xor_b32_e32 v34, v22, v2
	s_wait_alu 0xfffe
	s_fmamk_f32 s0, s77, 0x4f800000, s0
	v_xor_b32_e32 v2, s76, v2
	s_wait_alu 0xfffe
	s_delay_alu instid0(SALU_CYCLE_1) | instskip(NEXT) | instid1(TRANS32_DEP_1)
	v_s_rcp_f32 s0, s0
	s_mul_f32 s0, s0, 0x5f7ffffc
	s_wait_alu 0xfffe
	s_delay_alu instid0(SALU_CYCLE_2) | instskip(SKIP_1) | instid1(SALU_CYCLE_2)
	s_mul_f32 s77, s0, 0x2f800000
	s_wait_alu 0xfffe
	s_trunc_f32 s77, s77
	s_wait_alu 0xfffe
	s_delay_alu instid0(SALU_CYCLE_2) | instskip(SKIP_2) | instid1(SALU_CYCLE_1)
	s_fmamk_f32 s0, s77, 0xcf800000, s0
	s_cvt_u32_f32 s87, s77
	s_wait_alu 0xfffe
	s_cvt_u32_f32 s86, s0
	s_delay_alu instid0(SALU_CYCLE_3) | instskip(NEXT) | instid1(SALU_CYCLE_1)
	s_mul_u64 s[90:91], s[88:89], s[86:87]
	s_mul_hi_u32 s93, s86, s91
	s_mul_i32 s92, s86, s91
	s_mul_hi_u32 s0, s86, s90
	s_mul_i32 s85, s87, s90
	s_wait_alu 0xfffe
	s_add_nc_u64 s[92:93], s[0:1], s[92:93]
	s_mul_hi_u32 s77, s87, s90
	s_mul_hi_u32 s94, s87, s91
	s_add_co_u32 s0, s92, s85
	s_wait_alu 0xfffe
	s_add_co_ci_u32 s0, s93, s77
	s_mul_i32 s90, s87, s91
	s_add_co_ci_u32 s91, s94, 0
	s_wait_alu 0xfffe
	s_add_nc_u64 s[90:91], s[0:1], s[90:91]
	s_delay_alu instid0(SALU_CYCLE_1) | instskip(SKIP_4) | instid1(SALU_CYCLE_1)
	s_add_co_u32 s86, s86, s90
	s_cselect_b32 s0, -1, 0
	s_wait_alu 0xfffe
	s_cmp_lg_u32 s0, 0
	s_add_co_ci_u32 s87, s87, s91
	s_mul_u64 s[88:89], s[88:89], s[86:87]
	s_delay_alu instid0(SALU_CYCLE_1)
	s_mul_hi_u32 s91, s86, s89
	s_mul_i32 s90, s86, s89
	s_mul_hi_u32 s0, s86, s88
	s_mul_i32 s85, s87, s88
	s_wait_alu 0xfffe
	s_add_nc_u64 s[90:91], s[0:1], s[90:91]
	s_mul_hi_u32 s77, s87, s88
	s_mul_hi_u32 s92, s87, s89
	s_add_co_u32 s0, s90, s85
	s_wait_alu 0xfffe
	s_add_co_ci_u32 s0, s91, s77
	s_mul_i32 s88, s87, s89
	s_add_co_ci_u32 s89, s92, 0
	s_wait_alu 0xfffe
	s_add_nc_u64 s[88:89], s[0:1], s[88:89]
	s_delay_alu instid0(SALU_CYCLE_1)
	s_add_co_u32 s0, s86, s88
	s_cselect_b32 s77, -1, 0
	s_wait_alu 0xfffe
	v_mul_hi_u32 v35, v33, s0
	s_cmp_lg_u32 s77, 0
	v_mad_co_u64_u32 v[23:24], null, v34, s0, 0
	s_add_co_ci_u32 s77, s87, s89
	s_wait_alu 0xfffe
	v_mad_co_u64_u32 v[21:22], null, v33, s77, 0
	v_mad_co_u64_u32 v[31:32], null, v34, s77, 0
	s_delay_alu instid0(VALU_DEP_2) | instskip(SKIP_1) | instid1(VALU_DEP_3)
	v_add_co_u32 v21, vcc_lo, v35, v21
	s_wait_alu 0xfffd
	v_add_co_ci_u32_e64 v22, null, 0, v22, vcc_lo
	s_delay_alu instid0(VALU_DEP_2) | instskip(SKIP_1) | instid1(VALU_DEP_2)
	v_add_co_u32 v21, vcc_lo, v21, v23
	s_wait_alu 0xfffd
	v_add_co_ci_u32_e32 v21, vcc_lo, v22, v24, vcc_lo
	s_wait_alu 0xfffd
	v_add_co_ci_u32_e32 v22, vcc_lo, 0, v32, vcc_lo
	s_delay_alu instid0(VALU_DEP_2) | instskip(SKIP_1) | instid1(VALU_DEP_2)
	v_add_co_u32 v23, vcc_lo, v21, v31
	s_wait_alu 0xfffd
	v_add_co_ci_u32_e64 v24, null, 0, v22, vcc_lo
	s_delay_alu instid0(VALU_DEP_2) | instskip(SKIP_1) | instid1(VALU_DEP_3)
	v_mul_lo_u32 v31, s79, v23
	v_mad_co_u64_u32 v[21:22], null, s78, v23, 0
	v_mul_lo_u32 v32, s78, v24
	s_delay_alu instid0(VALU_DEP_2) | instskip(NEXT) | instid1(VALU_DEP_2)
	v_sub_co_u32 v21, vcc_lo, v33, v21
	v_add3_u32 v22, v22, v32, v31
	v_add_co_u32 v32, s0, v23, 2
	s_wait_alu 0xf1ff
	v_add_co_ci_u32_e64 v33, null, 0, v24, s0
	s_delay_alu instid0(VALU_DEP_3) | instskip(SKIP_3) | instid1(VALU_DEP_3)
	v_sub_nc_u32_e32 v31, v34, v22
	v_sub_co_u32 v35, s0, v21, s78
	s_wait_alu 0xfffd
	v_sub_co_ci_u32_e64 v22, null, v34, v22, vcc_lo
	v_subrev_co_ci_u32_e64 v31, null, s79, v31, vcc_lo
	s_delay_alu instid0(VALU_DEP_3) | instskip(SKIP_1) | instid1(VALU_DEP_2)
	v_cmp_le_u32_e32 vcc_lo, s78, v35
	s_wait_alu 0xf1ff
	v_subrev_co_ci_u32_e64 v31, null, 0, v31, s0
	s_wait_alu 0xfffd
	v_cndmask_b32_e64 v34, 0, -1, vcc_lo
	s_delay_alu instid0(VALU_DEP_2)
	v_cmp_le_u32_e32 vcc_lo, s79, v31
	s_wait_alu 0xfffd
	v_cndmask_b32_e64 v35, 0, -1, vcc_lo
	v_cmp_le_u32_e32 vcc_lo, s78, v21
	s_wait_alu 0xfffd
	v_cndmask_b32_e64 v21, 0, -1, vcc_lo
	;; [unrolled: 3-line block ×3, first 2 shown]
	v_cmp_eq_u32_e32 vcc_lo, s79, v31
	s_wait_alu 0xfffd
	v_cndmask_b32_e32 v31, v35, v34, vcc_lo
	v_add_co_u32 v34, vcc_lo, v23, 1
	s_wait_alu 0xfffd
	v_add_co_ci_u32_e64 v35, null, 0, v24, vcc_lo
	v_cmp_eq_u32_e32 vcc_lo, s79, v22
	s_wait_alu 0xfffd
	v_cndmask_b32_e32 v21, v36, v21, vcc_lo
	v_cmp_ne_u32_e32 vcc_lo, 0, v31
	s_delay_alu instid0(VALU_DEP_2) | instskip(SKIP_3) | instid1(VALU_DEP_1)
	v_cmp_ne_u32_e64 s0, 0, v21
	s_wait_alu 0xfffd
	v_dual_cndmask_b32 v22, v35, v33 :: v_dual_cndmask_b32 v21, v34, v32
	s_wait_alu 0xf1ff
	v_cndmask_b32_e64 v22, v24, v22, s0
	s_delay_alu instid0(VALU_DEP_2) | instskip(NEXT) | instid1(VALU_DEP_2)
	v_cndmask_b32_e64 v21, v23, v21, s0
	v_xor_b32_e32 v22, v22, v2
	s_delay_alu instid0(VALU_DEP_2) | instskip(NEXT) | instid1(VALU_DEP_1)
	v_xor_b32_e32 v21, v21, v2
	v_sub_co_u32 v21, vcc_lo, v21, v2
	s_wait_alu 0xfffd
	s_delay_alu instid0(VALU_DEP_3)
	v_sub_co_ci_u32_e64 v22, null, v22, v2, vcc_lo
.LBB31_45:                              ;   in Loop: Header=BB31_3 Depth=1
	s_and_not1_saveexec_b32 s0, s84
	s_cbranch_execz .LBB31_47
; %bb.46:                               ;   in Loop: Header=BB31_3 Depth=1
	v_cvt_f32_u32_e32 v2, s54
	s_sub_co_i32 s76, 0, s54
	s_delay_alu instid0(VALU_DEP_1) | instskip(NEXT) | instid1(TRANS32_DEP_1)
	v_rcp_iflag_f32_e32 v2, v2
	v_mul_f32_e32 v2, 0x4f7ffffe, v2
	s_delay_alu instid0(VALU_DEP_1) | instskip(SKIP_1) | instid1(VALU_DEP_1)
	v_cvt_u32_f32_e32 v2, v2
	s_wait_alu 0xfffe
	v_mul_lo_u32 v21, s76, v2
	s_delay_alu instid0(VALU_DEP_1) | instskip(NEXT) | instid1(VALU_DEP_1)
	v_mul_hi_u32 v21, v2, v21
	v_add_nc_u32_e32 v2, v2, v21
	s_delay_alu instid0(VALU_DEP_1) | instskip(NEXT) | instid1(VALU_DEP_1)
	v_mul_hi_u32 v2, v3, v2
	v_mul_lo_u32 v21, v2, s54
	v_add_nc_u32_e32 v22, 1, v2
	s_delay_alu instid0(VALU_DEP_2) | instskip(NEXT) | instid1(VALU_DEP_1)
	v_sub_nc_u32_e32 v21, v3, v21
	v_subrev_nc_u32_e32 v23, s54, v21
	v_cmp_le_u32_e32 vcc_lo, s54, v21
	s_wait_alu 0xfffd
	s_delay_alu instid0(VALU_DEP_2) | instskip(NEXT) | instid1(VALU_DEP_1)
	v_dual_cndmask_b32 v21, v21, v23 :: v_dual_cndmask_b32 v2, v2, v22
	v_cmp_le_u32_e32 vcc_lo, s54, v21
	s_delay_alu instid0(VALU_DEP_2) | instskip(SKIP_1) | instid1(VALU_DEP_1)
	v_add_nc_u32_e32 v22, 1, v2
	s_wait_alu 0xfffd
	v_dual_cndmask_b32 v21, v2, v22 :: v_dual_mov_b32 v22, v1
.LBB31_47:                              ;   in Loop: Header=BB31_3 Depth=1
	s_wait_alu 0xfffe
	s_or_b32 exec_lo, exec_lo, s0
	s_delay_alu instid0(VALU_DEP_1) | instskip(NEXT) | instid1(VALU_DEP_2)
	v_mad_co_u64_u32 v[23:24], null, s68, v21, v[3:4]
	v_mul_lo_u32 v2, s68, v22
	v_mul_lo_u32 v31, s69, v21
	;; [unrolled: 1-line block ×4, first 2 shown]
	v_mad_co_u64_u32 v[21:22], null, v21, s24, 0
	s_mov_b32 s0, exec_lo
	v_add3_u32 v2, v31, v24, v2
	v_mul_lo_u32 v31, v23, s27
	v_mad_co_u64_u32 v[23:24], null, v23, s26, 0
	v_add3_u32 v22, v22, v33, v32
	s_delay_alu instid0(VALU_DEP_4) | instskip(NEXT) | instid1(VALU_DEP_2)
	v_mul_lo_u32 v2, v2, s26
	v_lshlrev_b64_e32 v[21:22], 1, v[21:22]
	s_delay_alu instid0(VALU_DEP_2) | instskip(NEXT) | instid1(VALU_DEP_2)
	v_add3_u32 v24, v24, v31, v2
	v_add_co_u32 v2, vcc_lo, s52, v21
	s_wait_alu 0xfffd
	s_delay_alu instid0(VALU_DEP_3) | instskip(NEXT) | instid1(VALU_DEP_3)
	v_add_co_ci_u32_e64 v22, null, s53, v22, vcc_lo
	v_lshlrev_b64_e32 v[23:24], 1, v[23:24]
	s_delay_alu instid0(VALU_DEP_1) | instskip(SKIP_1) | instid1(VALU_DEP_2)
	v_add_co_u32 v21, vcc_lo, v2, v23
	s_wait_alu 0xfffd
	v_add_co_ci_u32_e64 v22, null, v22, v24, vcc_lo
	v_or_b32_e32 v2, s61, v4
	global_load_u16 v31, v[21:22], off
                                        ; implicit-def: $vgpr21_vgpr22
	v_cmpx_ne_u64_e32 0, v[1:2]
	s_wait_alu 0xfffe
	s_xor_b32 s84, exec_lo, s0
	s_cbranch_execnz .LBB31_60
; %bb.48:                               ;   in Loop: Header=BB31_3 Depth=1
	s_and_not1_saveexec_b32 s0, s84
	s_cbranch_execnz .LBB31_61
.LBB31_49:                              ;   in Loop: Header=BB31_3 Depth=1
	s_wait_alu 0xfffe
	s_or_b32 exec_lo, exec_lo, s0
	s_delay_alu instid0(SALU_CYCLE_1)
	s_and_not1_b32 vcc_lo, exec_lo, s33
	s_wait_alu 0xfffe
	s_cbranch_vccnz .LBB31_62
.LBB31_50:                              ;   in Loop: Header=BB31_3 Depth=1
	v_or_b32_e32 v2, s57, v4
                                        ; implicit-def: $vgpr23_vgpr24
	s_mov_b32 s0, exec_lo
	s_delay_alu instid0(VALU_DEP_1)
	v_cmpx_ne_u64_e32 0, v[1:2]
	s_wait_alu 0xfffe
	s_xor_b32 s84, exec_lo, s0
	s_cbranch_execz .LBB31_52
; %bb.51:                               ;   in Loop: Header=BB31_3 Depth=1
	s_ashr_i32 s76, s57, 31
	v_ashrrev_i32_e32 v2, 31, v4
	s_wait_alu 0xfffe
	s_mov_b32 s77, s76
	s_wait_alu 0xfffe
	s_add_nc_u64 s[78:79], s[56:57], s[76:77]
	v_add_co_u32 v23, vcc_lo, v3, v2
	s_wait_alu 0xfffe
	s_xor_b64 s[78:79], s[78:79], s[76:77]
	s_wait_alu 0xfffd
	v_add_co_ci_u32_e64 v24, null, v4, v2, vcc_lo
	s_wait_alu 0xfffe
	s_cvt_f32_u32 s0, s78
	s_cvt_f32_u32 s77, s79
	s_sub_nc_u64 s[88:89], 0, s[78:79]
	v_xor_b32_e32 v36, v23, v2
	v_xor_b32_e32 v37, v24, v2
	s_wait_alu 0xfffe
	s_fmamk_f32 s0, s77, 0x4f800000, s0
	v_xor_b32_e32 v2, s76, v2
	s_wait_alu 0xfffe
	s_delay_alu instid0(SALU_CYCLE_1) | instskip(NEXT) | instid1(TRANS32_DEP_1)
	v_s_rcp_f32 s0, s0
	s_mul_f32 s0, s0, 0x5f7ffffc
	s_wait_alu 0xfffe
	s_delay_alu instid0(SALU_CYCLE_2) | instskip(SKIP_1) | instid1(SALU_CYCLE_2)
	s_mul_f32 s77, s0, 0x2f800000
	s_wait_alu 0xfffe
	s_trunc_f32 s77, s77
	s_wait_alu 0xfffe
	s_delay_alu instid0(SALU_CYCLE_2) | instskip(SKIP_2) | instid1(SALU_CYCLE_1)
	s_fmamk_f32 s0, s77, 0xcf800000, s0
	s_cvt_u32_f32 s87, s77
	s_wait_alu 0xfffe
	s_cvt_u32_f32 s86, s0
	s_delay_alu instid0(SALU_CYCLE_3) | instskip(NEXT) | instid1(SALU_CYCLE_1)
	s_mul_u64 s[90:91], s[88:89], s[86:87]
	s_mul_hi_u32 s93, s86, s91
	s_mul_i32 s92, s86, s91
	s_mul_hi_u32 s0, s86, s90
	s_mul_i32 s85, s87, s90
	s_wait_alu 0xfffe
	s_add_nc_u64 s[92:93], s[0:1], s[92:93]
	s_mul_hi_u32 s77, s87, s90
	s_mul_hi_u32 s94, s87, s91
	s_add_co_u32 s0, s92, s85
	s_wait_alu 0xfffe
	s_add_co_ci_u32 s0, s93, s77
	s_mul_i32 s90, s87, s91
	s_add_co_ci_u32 s91, s94, 0
	s_wait_alu 0xfffe
	s_add_nc_u64 s[90:91], s[0:1], s[90:91]
	s_delay_alu instid0(SALU_CYCLE_1) | instskip(SKIP_4) | instid1(SALU_CYCLE_1)
	s_add_co_u32 s86, s86, s90
	s_cselect_b32 s0, -1, 0
	s_wait_alu 0xfffe
	s_cmp_lg_u32 s0, 0
	s_add_co_ci_u32 s87, s87, s91
	s_mul_u64 s[88:89], s[88:89], s[86:87]
	s_delay_alu instid0(SALU_CYCLE_1)
	s_mul_hi_u32 s91, s86, s89
	s_mul_i32 s90, s86, s89
	s_mul_hi_u32 s0, s86, s88
	s_mul_i32 s85, s87, s88
	s_wait_alu 0xfffe
	s_add_nc_u64 s[90:91], s[0:1], s[90:91]
	s_mul_hi_u32 s77, s87, s88
	s_mul_hi_u32 s92, s87, s89
	s_add_co_u32 s0, s90, s85
	s_wait_alu 0xfffe
	s_add_co_ci_u32 s0, s91, s77
	s_mul_i32 s88, s87, s89
	s_add_co_ci_u32 s89, s92, 0
	s_wait_alu 0xfffe
	s_add_nc_u64 s[88:89], s[0:1], s[88:89]
	s_delay_alu instid0(SALU_CYCLE_1)
	s_add_co_u32 s0, s86, s88
	s_cselect_b32 s77, -1, 0
	s_wait_alu 0xfffe
	v_mul_hi_u32 v38, v36, s0
	s_cmp_lg_u32 s77, 0
	v_mad_co_u64_u32 v[32:33], null, v37, s0, 0
	s_add_co_ci_u32 s77, s87, s89
	s_wait_alu 0xfffe
	v_mad_co_u64_u32 v[23:24], null, v36, s77, 0
	v_mad_co_u64_u32 v[34:35], null, v37, s77, 0
	s_delay_alu instid0(VALU_DEP_2) | instskip(SKIP_1) | instid1(VALU_DEP_3)
	v_add_co_u32 v23, vcc_lo, v38, v23
	s_wait_alu 0xfffd
	v_add_co_ci_u32_e64 v24, null, 0, v24, vcc_lo
	s_delay_alu instid0(VALU_DEP_2) | instskip(SKIP_1) | instid1(VALU_DEP_2)
	v_add_co_u32 v23, vcc_lo, v23, v32
	s_wait_alu 0xfffd
	v_add_co_ci_u32_e32 v23, vcc_lo, v24, v33, vcc_lo
	s_wait_alu 0xfffd
	v_add_co_ci_u32_e32 v24, vcc_lo, 0, v35, vcc_lo
	s_delay_alu instid0(VALU_DEP_2) | instskip(SKIP_1) | instid1(VALU_DEP_2)
	v_add_co_u32 v32, vcc_lo, v23, v34
	s_wait_alu 0xfffd
	v_add_co_ci_u32_e64 v33, null, 0, v24, vcc_lo
	s_delay_alu instid0(VALU_DEP_2) | instskip(SKIP_1) | instid1(VALU_DEP_3)
	v_mul_lo_u32 v34, s79, v32
	v_mad_co_u64_u32 v[23:24], null, s78, v32, 0
	v_mul_lo_u32 v35, s78, v33
	s_delay_alu instid0(VALU_DEP_2) | instskip(NEXT) | instid1(VALU_DEP_2)
	v_sub_co_u32 v23, vcc_lo, v36, v23
	v_add3_u32 v24, v24, v35, v34
	v_add_co_u32 v35, s0, v32, 2
	s_wait_alu 0xf1ff
	v_add_co_ci_u32_e64 v36, null, 0, v33, s0
	s_delay_alu instid0(VALU_DEP_3) | instskip(SKIP_3) | instid1(VALU_DEP_3)
	v_sub_nc_u32_e32 v34, v37, v24
	v_sub_co_u32 v38, s0, v23, s78
	s_wait_alu 0xfffd
	v_sub_co_ci_u32_e64 v24, null, v37, v24, vcc_lo
	v_subrev_co_ci_u32_e64 v34, null, s79, v34, vcc_lo
	s_delay_alu instid0(VALU_DEP_3) | instskip(SKIP_1) | instid1(VALU_DEP_2)
	v_cmp_le_u32_e32 vcc_lo, s78, v38
	s_wait_alu 0xf1ff
	v_subrev_co_ci_u32_e64 v34, null, 0, v34, s0
	s_wait_alu 0xfffd
	v_cndmask_b32_e64 v37, 0, -1, vcc_lo
	s_delay_alu instid0(VALU_DEP_2)
	v_cmp_le_u32_e32 vcc_lo, s79, v34
	s_wait_alu 0xfffd
	v_cndmask_b32_e64 v38, 0, -1, vcc_lo
	v_cmp_le_u32_e32 vcc_lo, s78, v23
	s_wait_alu 0xfffd
	v_cndmask_b32_e64 v23, 0, -1, vcc_lo
	;; [unrolled: 3-line block ×3, first 2 shown]
	v_cmp_eq_u32_e32 vcc_lo, s79, v34
	s_wait_alu 0xfffd
	v_cndmask_b32_e32 v34, v38, v37, vcc_lo
	v_add_co_u32 v37, vcc_lo, v32, 1
	s_wait_alu 0xfffd
	v_add_co_ci_u32_e64 v38, null, 0, v33, vcc_lo
	v_cmp_eq_u32_e32 vcc_lo, s79, v24
	s_wait_alu 0xfffd
	v_cndmask_b32_e32 v23, v39, v23, vcc_lo
	v_cmp_ne_u32_e32 vcc_lo, 0, v34
	s_delay_alu instid0(VALU_DEP_2) | instskip(SKIP_3) | instid1(VALU_DEP_1)
	v_cmp_ne_u32_e64 s0, 0, v23
	s_wait_alu 0xfffd
	v_dual_cndmask_b32 v24, v38, v36 :: v_dual_cndmask_b32 v23, v37, v35
	s_wait_alu 0xf1ff
	v_cndmask_b32_e64 v24, v33, v24, s0
	s_delay_alu instid0(VALU_DEP_2) | instskip(NEXT) | instid1(VALU_DEP_2)
	v_cndmask_b32_e64 v23, v32, v23, s0
	v_xor_b32_e32 v24, v24, v2
	s_delay_alu instid0(VALU_DEP_2) | instskip(NEXT) | instid1(VALU_DEP_1)
	v_xor_b32_e32 v23, v23, v2
	v_sub_co_u32 v23, vcc_lo, v23, v2
	s_wait_alu 0xfffd
	s_delay_alu instid0(VALU_DEP_3)
	v_sub_co_ci_u32_e64 v24, null, v24, v2, vcc_lo
.LBB31_52:                              ;   in Loop: Header=BB31_3 Depth=1
	s_and_not1_saveexec_b32 s0, s84
	s_cbranch_execz .LBB31_54
; %bb.53:                               ;   in Loop: Header=BB31_3 Depth=1
	v_cvt_f32_u32_e32 v2, s56
	s_sub_co_i32 s76, 0, s56
	s_delay_alu instid0(VALU_DEP_1) | instskip(NEXT) | instid1(TRANS32_DEP_1)
	v_rcp_iflag_f32_e32 v2, v2
	v_mul_f32_e32 v2, 0x4f7ffffe, v2
	s_delay_alu instid0(VALU_DEP_1) | instskip(SKIP_1) | instid1(VALU_DEP_1)
	v_cvt_u32_f32_e32 v2, v2
	s_wait_alu 0xfffe
	v_mul_lo_u32 v23, s76, v2
	s_delay_alu instid0(VALU_DEP_1) | instskip(NEXT) | instid1(VALU_DEP_1)
	v_mul_hi_u32 v23, v2, v23
	v_add_nc_u32_e32 v2, v2, v23
	s_delay_alu instid0(VALU_DEP_1) | instskip(NEXT) | instid1(VALU_DEP_1)
	v_mul_hi_u32 v2, v3, v2
	v_mul_lo_u32 v23, v2, s56
	v_add_nc_u32_e32 v24, 1, v2
	s_delay_alu instid0(VALU_DEP_2) | instskip(NEXT) | instid1(VALU_DEP_1)
	v_sub_nc_u32_e32 v23, v3, v23
	v_subrev_nc_u32_e32 v32, s56, v23
	v_cmp_le_u32_e32 vcc_lo, s56, v23
	s_wait_alu 0xfffd
	s_delay_alu instid0(VALU_DEP_2) | instskip(SKIP_1) | instid1(VALU_DEP_2)
	v_cndmask_b32_e32 v23, v23, v32, vcc_lo
	v_cndmask_b32_e32 v2, v2, v24, vcc_lo
	v_cmp_le_u32_e32 vcc_lo, s56, v23
	s_delay_alu instid0(VALU_DEP_2) | instskip(SKIP_1) | instid1(VALU_DEP_1)
	v_add_nc_u32_e32 v24, 1, v2
	s_wait_alu 0xfffd
	v_dual_cndmask_b32 v23, v2, v24 :: v_dual_mov_b32 v24, v1
.LBB31_54:                              ;   in Loop: Header=BB31_3 Depth=1
	s_wait_alu 0xfffe
	s_or_b32 exec_lo, exec_lo, s0
	s_delay_alu instid0(VALU_DEP_1) | instskip(NEXT) | instid1(VALU_DEP_2)
	v_mad_co_u64_u32 v[32:33], null, s72, v23, v[3:4]
	v_mul_lo_u32 v2, s72, v24
	v_mul_lo_u32 v34, s73, v23
	;; [unrolled: 1-line block ×4, first 2 shown]
	v_mad_co_u64_u32 v[23:24], null, v23, s16, 0
	s_delay_alu instid0(VALU_DEP_4) | instskip(SKIP_2) | instid1(VALU_DEP_4)
	v_add3_u32 v2, v34, v33, v2
	v_mul_lo_u32 v34, v32, s19
	v_mad_co_u64_u32 v[32:33], null, v32, s18, 0
	v_add3_u32 v24, v24, v36, v35
	s_delay_alu instid0(VALU_DEP_4) | instskip(NEXT) | instid1(VALU_DEP_2)
	v_mul_lo_u32 v2, v2, s18
	v_lshlrev_b64_e32 v[23:24], 1, v[23:24]
	s_delay_alu instid0(VALU_DEP_2) | instskip(NEXT) | instid1(VALU_DEP_2)
	v_add3_u32 v33, v33, v34, v2
	v_add_co_u32 v2, vcc_lo, s42, v23
	s_wait_alu 0xfffd
	s_delay_alu instid0(VALU_DEP_3) | instskip(NEXT) | instid1(VALU_DEP_3)
	v_add_co_ci_u32_e64 v24, null, s43, v24, vcc_lo
	v_lshlrev_b64_e32 v[32:33], 1, v[32:33]
	s_delay_alu instid0(VALU_DEP_1) | instskip(SKIP_1) | instid1(VALU_DEP_2)
	v_add_co_u32 v23, vcc_lo, v2, v32
	s_wait_alu 0xfffd
	v_add_co_ci_u32_e64 v24, null, v24, v33, vcc_lo
	global_load_u16 v2, v[23:24], off
	s_wait_loadcnt 0x0
	v_lshlrev_b32_e32 v32, 16, v2
	s_and_not1_b32 vcc_lo, exec_lo, s80
	s_wait_alu 0xfffe
	s_cbranch_vccnz .LBB31_63
.LBB31_55:                              ;   in Loop: Header=BB31_3 Depth=1
	v_or_b32_e32 v2, s63, v4
                                        ; implicit-def: $vgpr23_vgpr24
	s_mov_b32 s0, exec_lo
	s_delay_alu instid0(VALU_DEP_1)
	v_cmpx_ne_u64_e32 0, v[1:2]
	s_wait_alu 0xfffe
	s_xor_b32 s84, exec_lo, s0
	s_cbranch_execz .LBB31_57
; %bb.56:                               ;   in Loop: Header=BB31_3 Depth=1
	s_ashr_i32 s76, s63, 31
	v_ashrrev_i32_e32 v2, 31, v4
	s_wait_alu 0xfffe
	s_mov_b32 s77, s76
	s_wait_alu 0xfffe
	s_add_nc_u64 s[78:79], s[62:63], s[76:77]
	v_add_co_u32 v23, vcc_lo, v3, v2
	s_wait_alu 0xfffe
	s_xor_b64 s[78:79], s[78:79], s[76:77]
	s_wait_alu 0xfffd
	v_add_co_ci_u32_e64 v24, null, v4, v2, vcc_lo
	s_wait_alu 0xfffe
	s_cvt_f32_u32 s0, s78
	s_cvt_f32_u32 s77, s79
	s_sub_nc_u64 s[88:89], 0, s[78:79]
	v_xor_b32_e32 v37, v23, v2
	v_xor_b32_e32 v38, v24, v2
	s_wait_alu 0xfffe
	s_fmamk_f32 s0, s77, 0x4f800000, s0
	v_xor_b32_e32 v2, s76, v2
	s_wait_alu 0xfffe
	s_delay_alu instid0(SALU_CYCLE_1) | instskip(NEXT) | instid1(TRANS32_DEP_1)
	v_s_rcp_f32 s0, s0
	s_mul_f32 s0, s0, 0x5f7ffffc
	s_wait_alu 0xfffe
	s_delay_alu instid0(SALU_CYCLE_2) | instskip(SKIP_1) | instid1(SALU_CYCLE_2)
	s_mul_f32 s77, s0, 0x2f800000
	s_wait_alu 0xfffe
	s_trunc_f32 s77, s77
	s_wait_alu 0xfffe
	s_delay_alu instid0(SALU_CYCLE_2) | instskip(SKIP_2) | instid1(SALU_CYCLE_1)
	s_fmamk_f32 s0, s77, 0xcf800000, s0
	s_cvt_u32_f32 s87, s77
	s_wait_alu 0xfffe
	s_cvt_u32_f32 s86, s0
	s_delay_alu instid0(SALU_CYCLE_3) | instskip(NEXT) | instid1(SALU_CYCLE_1)
	s_mul_u64 s[90:91], s[88:89], s[86:87]
	s_mul_hi_u32 s93, s86, s91
	s_mul_i32 s92, s86, s91
	s_mul_hi_u32 s0, s86, s90
	s_mul_i32 s85, s87, s90
	s_wait_alu 0xfffe
	s_add_nc_u64 s[92:93], s[0:1], s[92:93]
	s_mul_hi_u32 s77, s87, s90
	s_mul_hi_u32 s94, s87, s91
	s_add_co_u32 s0, s92, s85
	s_wait_alu 0xfffe
	s_add_co_ci_u32 s0, s93, s77
	s_mul_i32 s90, s87, s91
	s_add_co_ci_u32 s91, s94, 0
	s_wait_alu 0xfffe
	s_add_nc_u64 s[90:91], s[0:1], s[90:91]
	s_delay_alu instid0(SALU_CYCLE_1) | instskip(SKIP_4) | instid1(SALU_CYCLE_1)
	s_add_co_u32 s86, s86, s90
	s_cselect_b32 s0, -1, 0
	s_wait_alu 0xfffe
	s_cmp_lg_u32 s0, 0
	s_add_co_ci_u32 s87, s87, s91
	s_mul_u64 s[88:89], s[88:89], s[86:87]
	s_delay_alu instid0(SALU_CYCLE_1)
	s_mul_hi_u32 s91, s86, s89
	s_mul_i32 s90, s86, s89
	s_mul_hi_u32 s0, s86, s88
	s_mul_i32 s85, s87, s88
	s_wait_alu 0xfffe
	s_add_nc_u64 s[90:91], s[0:1], s[90:91]
	s_mul_hi_u32 s77, s87, s88
	s_mul_hi_u32 s92, s87, s89
	s_add_co_u32 s0, s90, s85
	s_wait_alu 0xfffe
	s_add_co_ci_u32 s0, s91, s77
	s_mul_i32 s88, s87, s89
	s_add_co_ci_u32 s89, s92, 0
	s_wait_alu 0xfffe
	s_add_nc_u64 s[88:89], s[0:1], s[88:89]
	s_delay_alu instid0(SALU_CYCLE_1)
	s_add_co_u32 s0, s86, s88
	s_cselect_b32 s77, -1, 0
	s_wait_alu 0xfffe
	v_mul_hi_u32 v39, v37, s0
	s_cmp_lg_u32 s77, 0
	v_mad_co_u64_u32 v[33:34], null, v38, s0, 0
	s_add_co_ci_u32 s77, s87, s89
	s_wait_alu 0xfffe
	v_mad_co_u64_u32 v[23:24], null, v37, s77, 0
	v_mad_co_u64_u32 v[35:36], null, v38, s77, 0
	s_delay_alu instid0(VALU_DEP_2) | instskip(SKIP_1) | instid1(VALU_DEP_3)
	v_add_co_u32 v23, vcc_lo, v39, v23
	s_wait_alu 0xfffd
	v_add_co_ci_u32_e64 v24, null, 0, v24, vcc_lo
	s_delay_alu instid0(VALU_DEP_2) | instskip(SKIP_1) | instid1(VALU_DEP_2)
	v_add_co_u32 v23, vcc_lo, v23, v33
	s_wait_alu 0xfffd
	v_add_co_ci_u32_e32 v23, vcc_lo, v24, v34, vcc_lo
	s_wait_alu 0xfffd
	v_add_co_ci_u32_e32 v24, vcc_lo, 0, v36, vcc_lo
	s_delay_alu instid0(VALU_DEP_2) | instskip(SKIP_1) | instid1(VALU_DEP_2)
	v_add_co_u32 v33, vcc_lo, v23, v35
	s_wait_alu 0xfffd
	v_add_co_ci_u32_e64 v34, null, 0, v24, vcc_lo
	s_delay_alu instid0(VALU_DEP_2) | instskip(SKIP_1) | instid1(VALU_DEP_3)
	v_mul_lo_u32 v35, s79, v33
	v_mad_co_u64_u32 v[23:24], null, s78, v33, 0
	v_mul_lo_u32 v36, s78, v34
	s_delay_alu instid0(VALU_DEP_2) | instskip(NEXT) | instid1(VALU_DEP_2)
	v_sub_co_u32 v23, vcc_lo, v37, v23
	v_add3_u32 v24, v24, v36, v35
	v_add_co_u32 v36, s0, v33, 2
	s_wait_alu 0xf1ff
	v_add_co_ci_u32_e64 v37, null, 0, v34, s0
	s_delay_alu instid0(VALU_DEP_3) | instskip(SKIP_3) | instid1(VALU_DEP_3)
	v_sub_nc_u32_e32 v35, v38, v24
	v_sub_co_u32 v39, s0, v23, s78
	s_wait_alu 0xfffd
	v_sub_co_ci_u32_e64 v24, null, v38, v24, vcc_lo
	v_subrev_co_ci_u32_e64 v35, null, s79, v35, vcc_lo
	s_delay_alu instid0(VALU_DEP_3) | instskip(SKIP_1) | instid1(VALU_DEP_2)
	v_cmp_le_u32_e32 vcc_lo, s78, v39
	s_wait_alu 0xf1ff
	v_subrev_co_ci_u32_e64 v35, null, 0, v35, s0
	s_wait_alu 0xfffd
	v_cndmask_b32_e64 v38, 0, -1, vcc_lo
	s_delay_alu instid0(VALU_DEP_2)
	v_cmp_le_u32_e32 vcc_lo, s79, v35
	s_wait_alu 0xfffd
	v_cndmask_b32_e64 v39, 0, -1, vcc_lo
	v_cmp_le_u32_e32 vcc_lo, s78, v23
	s_wait_alu 0xfffd
	v_cndmask_b32_e64 v23, 0, -1, vcc_lo
	;; [unrolled: 3-line block ×3, first 2 shown]
	v_cmp_eq_u32_e32 vcc_lo, s79, v35
	s_wait_alu 0xfffd
	v_cndmask_b32_e32 v35, v39, v38, vcc_lo
	v_add_co_u32 v38, vcc_lo, v33, 1
	s_wait_alu 0xfffd
	v_add_co_ci_u32_e64 v39, null, 0, v34, vcc_lo
	v_cmp_eq_u32_e32 vcc_lo, s79, v24
	s_wait_alu 0xfffd
	v_cndmask_b32_e32 v23, v40, v23, vcc_lo
	v_cmp_ne_u32_e32 vcc_lo, 0, v35
	s_wait_alu 0xfffd
	v_cndmask_b32_e32 v24, v39, v37, vcc_lo
	s_delay_alu instid0(VALU_DEP_3) | instskip(SKIP_2) | instid1(VALU_DEP_2)
	v_cmp_ne_u32_e64 s0, 0, v23
	v_cndmask_b32_e32 v23, v38, v36, vcc_lo
	s_wait_alu 0xf1ff
	v_cndmask_b32_e64 v24, v34, v24, s0
	s_delay_alu instid0(VALU_DEP_2) | instskip(NEXT) | instid1(VALU_DEP_2)
	v_cndmask_b32_e64 v23, v33, v23, s0
	v_xor_b32_e32 v24, v24, v2
	s_delay_alu instid0(VALU_DEP_2) | instskip(NEXT) | instid1(VALU_DEP_1)
	v_xor_b32_e32 v23, v23, v2
	v_sub_co_u32 v23, vcc_lo, v23, v2
	s_wait_alu 0xfffd
	s_delay_alu instid0(VALU_DEP_3)
	v_sub_co_ci_u32_e64 v24, null, v24, v2, vcc_lo
.LBB31_57:                              ;   in Loop: Header=BB31_3 Depth=1
	s_and_not1_saveexec_b32 s0, s84
	s_cbranch_execz .LBB31_59
; %bb.58:                               ;   in Loop: Header=BB31_3 Depth=1
	v_cvt_f32_u32_e32 v2, s62
	s_sub_co_i32 s76, 0, s62
	s_delay_alu instid0(VALU_DEP_1) | instskip(NEXT) | instid1(TRANS32_DEP_1)
	v_rcp_iflag_f32_e32 v2, v2
	v_mul_f32_e32 v2, 0x4f7ffffe, v2
	s_delay_alu instid0(VALU_DEP_1) | instskip(SKIP_1) | instid1(VALU_DEP_1)
	v_cvt_u32_f32_e32 v2, v2
	s_wait_alu 0xfffe
	v_mul_lo_u32 v23, s76, v2
	s_delay_alu instid0(VALU_DEP_1) | instskip(NEXT) | instid1(VALU_DEP_1)
	v_mul_hi_u32 v23, v2, v23
	v_add_nc_u32_e32 v2, v2, v23
	s_delay_alu instid0(VALU_DEP_1) | instskip(NEXT) | instid1(VALU_DEP_1)
	v_mul_hi_u32 v2, v3, v2
	v_mul_lo_u32 v23, v2, s62
	v_add_nc_u32_e32 v24, 1, v2
	s_delay_alu instid0(VALU_DEP_2) | instskip(NEXT) | instid1(VALU_DEP_1)
	v_sub_nc_u32_e32 v23, v3, v23
	v_subrev_nc_u32_e32 v33, s62, v23
	v_cmp_le_u32_e32 vcc_lo, s62, v23
	s_wait_alu 0xfffd
	s_delay_alu instid0(VALU_DEP_2) | instskip(NEXT) | instid1(VALU_DEP_1)
	v_dual_cndmask_b32 v23, v23, v33 :: v_dual_cndmask_b32 v2, v2, v24
	v_cmp_le_u32_e32 vcc_lo, s62, v23
	s_delay_alu instid0(VALU_DEP_2) | instskip(SKIP_1) | instid1(VALU_DEP_1)
	v_add_nc_u32_e32 v24, 1, v2
	s_wait_alu 0xfffd
	v_dual_cndmask_b32 v23, v2, v24 :: v_dual_mov_b32 v24, v1
.LBB31_59:                              ;   in Loop: Header=BB31_3 Depth=1
	s_wait_alu 0xfffe
	s_or_b32 exec_lo, exec_lo, s0
	s_delay_alu instid0(VALU_DEP_1) | instskip(NEXT) | instid1(VALU_DEP_2)
	v_mad_co_u64_u32 v[33:34], null, s74, v23, v[3:4]
	v_mul_lo_u32 v2, s74, v24
	v_mul_lo_u32 v35, s75, v23
	;; [unrolled: 1-line block ×4, first 2 shown]
	v_mad_co_u64_u32 v[23:24], null, v23, s28, 0
	s_delay_alu instid0(VALU_DEP_4) | instskip(SKIP_2) | instid1(VALU_DEP_4)
	v_add3_u32 v2, v35, v34, v2
	v_mul_lo_u32 v35, v33, s31
	v_mad_co_u64_u32 v[33:34], null, v33, s30, 0
	v_add3_u32 v24, v24, v37, v36
	s_delay_alu instid0(VALU_DEP_4) | instskip(NEXT) | instid1(VALU_DEP_2)
	v_mul_lo_u32 v2, v2, s30
	v_lshlrev_b64_e32 v[23:24], 1, v[23:24]
	s_delay_alu instid0(VALU_DEP_2) | instskip(NEXT) | instid1(VALU_DEP_2)
	v_add3_u32 v34, v34, v35, v2
	v_add_co_u32 v2, vcc_lo, s46, v23
	s_wait_alu 0xfffd
	s_delay_alu instid0(VALU_DEP_3) | instskip(NEXT) | instid1(VALU_DEP_3)
	v_add_co_ci_u32_e64 v24, null, s47, v24, vcc_lo
	v_lshlrev_b64_e32 v[33:34], 1, v[33:34]
	s_delay_alu instid0(VALU_DEP_1) | instskip(SKIP_1) | instid1(VALU_DEP_2)
	v_add_co_u32 v23, vcc_lo, v2, v33
	s_wait_alu 0xfffd
	v_add_co_ci_u32_e64 v24, null, v24, v34, vcc_lo
	global_load_u16 v2, v[23:24], off
	s_wait_loadcnt 0x0
	v_lshlrev_b32_e32 v2, 16, v2
	s_branch .LBB31_64
.LBB31_60:                              ;   in Loop: Header=BB31_3 Depth=1
	s_ashr_i32 s76, s61, 31
	v_ashrrev_i32_e32 v2, 31, v4
	s_wait_alu 0xfffe
	s_mov_b32 s77, s76
	s_wait_alu 0xfffe
	s_add_nc_u64 s[78:79], s[60:61], s[76:77]
	v_add_co_u32 v21, vcc_lo, v3, v2
	s_wait_alu 0xfffe
	s_xor_b64 s[78:79], s[78:79], s[76:77]
	s_wait_alu 0xfffd
	v_add_co_ci_u32_e64 v22, null, v4, v2, vcc_lo
	s_wait_alu 0xfffe
	s_cvt_f32_u32 s0, s78
	s_cvt_f32_u32 s77, s79
	s_sub_nc_u64 s[88:89], 0, s[78:79]
	v_xor_b32_e32 v34, v21, v2
	v_xor_b32_e32 v35, v22, v2
	s_wait_alu 0xfffe
	s_fmamk_f32 s0, s77, 0x4f800000, s0
	v_xor_b32_e32 v2, s76, v2
	s_wait_alu 0xfffe
	s_delay_alu instid0(SALU_CYCLE_1) | instskip(NEXT) | instid1(TRANS32_DEP_1)
	v_s_rcp_f32 s0, s0
	s_mul_f32 s0, s0, 0x5f7ffffc
	s_wait_alu 0xfffe
	s_delay_alu instid0(SALU_CYCLE_2) | instskip(SKIP_1) | instid1(SALU_CYCLE_2)
	s_mul_f32 s77, s0, 0x2f800000
	s_wait_alu 0xfffe
	s_trunc_f32 s77, s77
	s_wait_alu 0xfffe
	s_delay_alu instid0(SALU_CYCLE_2) | instskip(SKIP_2) | instid1(SALU_CYCLE_1)
	s_fmamk_f32 s0, s77, 0xcf800000, s0
	s_cvt_u32_f32 s87, s77
	s_wait_alu 0xfffe
	s_cvt_u32_f32 s86, s0
	s_delay_alu instid0(SALU_CYCLE_3) | instskip(NEXT) | instid1(SALU_CYCLE_1)
	s_mul_u64 s[90:91], s[88:89], s[86:87]
	s_mul_hi_u32 s93, s86, s91
	s_mul_i32 s92, s86, s91
	s_mul_hi_u32 s0, s86, s90
	s_mul_i32 s85, s87, s90
	s_wait_alu 0xfffe
	s_add_nc_u64 s[92:93], s[0:1], s[92:93]
	s_mul_hi_u32 s77, s87, s90
	s_mul_hi_u32 s94, s87, s91
	s_add_co_u32 s0, s92, s85
	s_wait_alu 0xfffe
	s_add_co_ci_u32 s0, s93, s77
	s_mul_i32 s90, s87, s91
	s_add_co_ci_u32 s91, s94, 0
	s_wait_alu 0xfffe
	s_add_nc_u64 s[90:91], s[0:1], s[90:91]
	s_delay_alu instid0(SALU_CYCLE_1) | instskip(SKIP_4) | instid1(SALU_CYCLE_1)
	s_add_co_u32 s86, s86, s90
	s_cselect_b32 s0, -1, 0
	s_wait_alu 0xfffe
	s_cmp_lg_u32 s0, 0
	s_add_co_ci_u32 s87, s87, s91
	s_mul_u64 s[88:89], s[88:89], s[86:87]
	s_delay_alu instid0(SALU_CYCLE_1)
	s_mul_hi_u32 s91, s86, s89
	s_mul_i32 s90, s86, s89
	s_mul_hi_u32 s0, s86, s88
	s_mul_i32 s85, s87, s88
	s_wait_alu 0xfffe
	s_add_nc_u64 s[90:91], s[0:1], s[90:91]
	s_mul_hi_u32 s77, s87, s88
	s_mul_hi_u32 s92, s87, s89
	s_add_co_u32 s0, s90, s85
	s_wait_alu 0xfffe
	s_add_co_ci_u32 s0, s91, s77
	s_mul_i32 s88, s87, s89
	s_add_co_ci_u32 s89, s92, 0
	s_wait_alu 0xfffe
	s_add_nc_u64 s[88:89], s[0:1], s[88:89]
	s_delay_alu instid0(SALU_CYCLE_1)
	s_add_co_u32 s0, s86, s88
	s_cselect_b32 s77, -1, 0
	s_wait_alu 0xfffe
	v_mul_hi_u32 v36, v34, s0
	s_cmp_lg_u32 s77, 0
	v_mad_co_u64_u32 v[23:24], null, v35, s0, 0
	s_add_co_ci_u32 s77, s87, s89
	s_wait_alu 0xfffe
	v_mad_co_u64_u32 v[21:22], null, v34, s77, 0
	v_mad_co_u64_u32 v[32:33], null, v35, s77, 0
	s_delay_alu instid0(VALU_DEP_2) | instskip(SKIP_1) | instid1(VALU_DEP_3)
	v_add_co_u32 v21, vcc_lo, v36, v21
	s_wait_alu 0xfffd
	v_add_co_ci_u32_e64 v22, null, 0, v22, vcc_lo
	s_delay_alu instid0(VALU_DEP_2) | instskip(SKIP_1) | instid1(VALU_DEP_2)
	v_add_co_u32 v21, vcc_lo, v21, v23
	s_wait_alu 0xfffd
	v_add_co_ci_u32_e32 v21, vcc_lo, v22, v24, vcc_lo
	s_wait_alu 0xfffd
	v_add_co_ci_u32_e32 v22, vcc_lo, 0, v33, vcc_lo
	s_delay_alu instid0(VALU_DEP_2) | instskip(SKIP_1) | instid1(VALU_DEP_2)
	v_add_co_u32 v23, vcc_lo, v21, v32
	s_wait_alu 0xfffd
	v_add_co_ci_u32_e64 v24, null, 0, v22, vcc_lo
	s_delay_alu instid0(VALU_DEP_2) | instskip(SKIP_1) | instid1(VALU_DEP_3)
	v_mul_lo_u32 v32, s79, v23
	v_mad_co_u64_u32 v[21:22], null, s78, v23, 0
	v_mul_lo_u32 v33, s78, v24
	s_delay_alu instid0(VALU_DEP_2) | instskip(NEXT) | instid1(VALU_DEP_2)
	v_sub_co_u32 v21, vcc_lo, v34, v21
	v_add3_u32 v22, v22, v33, v32
	v_add_co_u32 v33, s0, v23, 2
	s_wait_alu 0xf1ff
	v_add_co_ci_u32_e64 v34, null, 0, v24, s0
	s_delay_alu instid0(VALU_DEP_3) | instskip(SKIP_3) | instid1(VALU_DEP_3)
	v_sub_nc_u32_e32 v32, v35, v22
	v_sub_co_u32 v36, s0, v21, s78
	s_wait_alu 0xfffd
	v_sub_co_ci_u32_e64 v22, null, v35, v22, vcc_lo
	v_subrev_co_ci_u32_e64 v32, null, s79, v32, vcc_lo
	s_delay_alu instid0(VALU_DEP_3) | instskip(SKIP_1) | instid1(VALU_DEP_2)
	v_cmp_le_u32_e32 vcc_lo, s78, v36
	s_wait_alu 0xf1ff
	v_subrev_co_ci_u32_e64 v32, null, 0, v32, s0
	s_wait_alu 0xfffd
	v_cndmask_b32_e64 v35, 0, -1, vcc_lo
	s_delay_alu instid0(VALU_DEP_2)
	v_cmp_le_u32_e32 vcc_lo, s79, v32
	s_wait_alu 0xfffd
	v_cndmask_b32_e64 v36, 0, -1, vcc_lo
	v_cmp_le_u32_e32 vcc_lo, s78, v21
	s_wait_alu 0xfffd
	v_cndmask_b32_e64 v21, 0, -1, vcc_lo
	;; [unrolled: 3-line block ×3, first 2 shown]
	v_cmp_eq_u32_e32 vcc_lo, s79, v32
	s_wait_alu 0xfffd
	v_cndmask_b32_e32 v32, v36, v35, vcc_lo
	v_add_co_u32 v35, vcc_lo, v23, 1
	s_wait_alu 0xfffd
	v_add_co_ci_u32_e64 v36, null, 0, v24, vcc_lo
	v_cmp_eq_u32_e32 vcc_lo, s79, v22
	s_wait_alu 0xfffd
	v_cndmask_b32_e32 v21, v37, v21, vcc_lo
	v_cmp_ne_u32_e32 vcc_lo, 0, v32
	s_delay_alu instid0(VALU_DEP_2) | instskip(SKIP_3) | instid1(VALU_DEP_1)
	v_cmp_ne_u32_e64 s0, 0, v21
	s_wait_alu 0xfffd
	v_dual_cndmask_b32 v22, v36, v34 :: v_dual_cndmask_b32 v21, v35, v33
	s_wait_alu 0xf1ff
	v_cndmask_b32_e64 v22, v24, v22, s0
	s_delay_alu instid0(VALU_DEP_2) | instskip(NEXT) | instid1(VALU_DEP_2)
	v_cndmask_b32_e64 v21, v23, v21, s0
	v_xor_b32_e32 v22, v22, v2
	s_delay_alu instid0(VALU_DEP_2) | instskip(NEXT) | instid1(VALU_DEP_1)
	v_xor_b32_e32 v21, v21, v2
	v_sub_co_u32 v21, vcc_lo, v21, v2
	s_wait_alu 0xfffd
	s_delay_alu instid0(VALU_DEP_3)
	v_sub_co_ci_u32_e64 v22, null, v22, v2, vcc_lo
	s_and_not1_saveexec_b32 s0, s84
	s_cbranch_execz .LBB31_49
.LBB31_61:                              ;   in Loop: Header=BB31_3 Depth=1
	v_cvt_f32_u32_e32 v2, s60
	s_sub_co_i32 s76, 0, s60
	s_delay_alu instid0(VALU_DEP_1) | instskip(NEXT) | instid1(TRANS32_DEP_1)
	v_rcp_iflag_f32_e32 v2, v2
	v_mul_f32_e32 v2, 0x4f7ffffe, v2
	s_delay_alu instid0(VALU_DEP_1) | instskip(SKIP_1) | instid1(VALU_DEP_1)
	v_cvt_u32_f32_e32 v2, v2
	s_wait_alu 0xfffe
	v_mul_lo_u32 v21, s76, v2
	s_delay_alu instid0(VALU_DEP_1) | instskip(NEXT) | instid1(VALU_DEP_1)
	v_mul_hi_u32 v21, v2, v21
	v_add_nc_u32_e32 v2, v2, v21
	s_delay_alu instid0(VALU_DEP_1) | instskip(NEXT) | instid1(VALU_DEP_1)
	v_mul_hi_u32 v2, v3, v2
	v_mul_lo_u32 v21, v2, s60
	v_add_nc_u32_e32 v22, 1, v2
	s_delay_alu instid0(VALU_DEP_2) | instskip(NEXT) | instid1(VALU_DEP_1)
	v_sub_nc_u32_e32 v21, v3, v21
	v_subrev_nc_u32_e32 v23, s60, v21
	v_cmp_le_u32_e32 vcc_lo, s60, v21
	s_wait_alu 0xfffd
	s_delay_alu instid0(VALU_DEP_2) | instskip(NEXT) | instid1(VALU_DEP_1)
	v_dual_cndmask_b32 v21, v21, v23 :: v_dual_cndmask_b32 v2, v2, v22
	v_cmp_le_u32_e32 vcc_lo, s60, v21
	s_delay_alu instid0(VALU_DEP_2) | instskip(SKIP_1) | instid1(VALU_DEP_1)
	v_add_nc_u32_e32 v22, 1, v2
	s_wait_alu 0xfffd
	v_dual_cndmask_b32 v21, v2, v22 :: v_dual_mov_b32 v22, v1
	s_or_b32 exec_lo, exec_lo, s0
	s_delay_alu instid0(SALU_CYCLE_1)
	s_and_not1_b32 vcc_lo, exec_lo, s33
	s_wait_alu 0xfffe
	s_cbranch_vccz .LBB31_50
.LBB31_62:                              ;   in Loop: Header=BB31_3 Depth=1
	v_mov_b32_e32 v32, 0
	s_and_not1_b32 vcc_lo, exec_lo, s80
	s_wait_alu 0xfffe
	s_cbranch_vccz .LBB31_55
.LBB31_63:                              ;   in Loop: Header=BB31_3 Depth=1
	v_mov_b32_e32 v2, 0
.LBB31_64:                              ;   in Loop: Header=BB31_3 Depth=1
	s_wait_loadcnt 0x0
	v_lshlrev_b32_e32 v23, 16, v31
                                        ; implicit-def: $vgpr24
	s_delay_alu instid0(VALU_DEP_1)
	v_cmp_ngt_f32_e64 s0, 0x3f200000, |v23|
	s_and_saveexec_b32 s76, s0
	s_wait_alu 0xfffe
	s_xor_b32 s0, exec_lo, s76
	s_cbranch_execz .LBB31_66
; %bb.65:                               ;   in Loop: Header=BB31_3 Depth=1
	v_add_f32_e64 v24, |v23|, |v23|
	s_delay_alu instid0(VALU_DEP_1) | instskip(SKIP_1) | instid1(VALU_DEP_2)
	v_mul_f32_e32 v31, 0x3fb8aa3b, v24
	v_cmp_ngt_f32_e32 vcc_lo, 0xc2ce8ed0, v24
	v_rndne_f32_e32 v33, v31
	v_fma_f32 v34, 0x3fb8aa3b, v24, -v31
	s_delay_alu instid0(VALU_DEP_1) | instskip(SKIP_1) | instid1(VALU_DEP_2)
	v_dual_sub_f32 v31, v31, v33 :: v_dual_fmac_f32 v34, 0x32a5705f, v24
	v_cvt_i32_f32_e32 v33, v33
	v_add_f32_e32 v31, v31, v34
	s_delay_alu instid0(VALU_DEP_1) | instskip(NEXT) | instid1(TRANS32_DEP_1)
	v_exp_f32_e32 v31, v31
	v_ldexp_f32 v31, v31, v33
	s_wait_alu 0xfffd
	s_delay_alu instid0(VALU_DEP_1) | instskip(SKIP_2) | instid1(VALU_DEP_2)
	v_cndmask_b32_e32 v31, 0, v31, vcc_lo
	v_cmp_nlt_f32_e32 vcc_lo, 0x42b17218, v24
	s_wait_alu 0xfffd
	v_cndmask_b32_e32 v24, 0x7f800000, v31, vcc_lo
	s_delay_alu instid0(VALU_DEP_1) | instskip(NEXT) | instid1(VALU_DEP_1)
	v_add_f32_e32 v24, 1.0, v24
	v_rcp_f32_e32 v24, v24
	s_delay_alu instid0(TRANS32_DEP_1)
	v_fma_f32 v24, v24, -2.0, 1.0
.LBB31_66:                              ;   in Loop: Header=BB31_3 Depth=1
	s_wait_alu 0xfffe
	s_and_not1_saveexec_b32 s0, s0
	s_cbranch_execz .LBB31_2
; %bb.67:                               ;   in Loop: Header=BB31_3 Depth=1
	v_mul_f32_e32 v24, v23, v23
	s_delay_alu instid0(VALU_DEP_1) | instskip(NEXT) | instid1(VALU_DEP_1)
	v_fmaak_f32 v31, s82, v24, 0x3ca908c9
	v_fmaak_f32 v31, v24, v31, 0xbd5c1c4e
	s_delay_alu instid0(VALU_DEP_1) | instskip(NEXT) | instid1(VALU_DEP_1)
	v_fmaak_f32 v31, v24, v31, 0x3e088382
	v_fmaak_f32 v31, v24, v31, 0xbeaaaa99
	s_delay_alu instid0(VALU_DEP_1) | instskip(NEXT) | instid1(VALU_DEP_1)
	v_mul_f32_e64 v31, |v23|, v31
	v_fma_f32 v24, v24, v31, |v23|
	s_branch .LBB31_2
.LBB31_68:
	s_endpgm
	.section	.rodata,"a",@progbits
	.p2align	6, 0x0
	.amdhsa_kernel _ZN2at6native12_GLOBAL__N_16kernel18lstm_cell_backwardIN3c108BFloat16EflLi2EEEvNS_4cuda6detail10TensorInfoIT_T1_EESB_SB_SB_SB_SB_SB_SA_SA_
		.amdhsa_group_segment_fixed_size 0
		.amdhsa_private_segment_fixed_size 0
		.amdhsa_kernarg_size 3184
		.amdhsa_user_sgpr_count 2
		.amdhsa_user_sgpr_dispatch_ptr 0
		.amdhsa_user_sgpr_queue_ptr 0
		.amdhsa_user_sgpr_kernarg_segment_ptr 1
		.amdhsa_user_sgpr_dispatch_id 0
		.amdhsa_user_sgpr_private_segment_size 0
		.amdhsa_wavefront_size32 1
		.amdhsa_uses_dynamic_stack 0
		.amdhsa_enable_private_segment 0
		.amdhsa_system_sgpr_workgroup_id_x 1
		.amdhsa_system_sgpr_workgroup_id_y 0
		.amdhsa_system_sgpr_workgroup_id_z 0
		.amdhsa_system_sgpr_workgroup_info 0
		.amdhsa_system_vgpr_workitem_id 0
		.amdhsa_next_free_vgpr 44
		.amdhsa_next_free_sgpr 95
		.amdhsa_reserve_vcc 1
		.amdhsa_float_round_mode_32 0
		.amdhsa_float_round_mode_16_64 0
		.amdhsa_float_denorm_mode_32 3
		.amdhsa_float_denorm_mode_16_64 3
		.amdhsa_fp16_overflow 0
		.amdhsa_workgroup_processor_mode 1
		.amdhsa_memory_ordered 1
		.amdhsa_forward_progress 1
		.amdhsa_inst_pref_size 137
		.amdhsa_round_robin_scheduling 0
		.amdhsa_exception_fp_ieee_invalid_op 0
		.amdhsa_exception_fp_denorm_src 0
		.amdhsa_exception_fp_ieee_div_zero 0
		.amdhsa_exception_fp_ieee_overflow 0
		.amdhsa_exception_fp_ieee_underflow 0
		.amdhsa_exception_fp_ieee_inexact 0
		.amdhsa_exception_int_div_zero 0
	.end_amdhsa_kernel
	.section	.text._ZN2at6native12_GLOBAL__N_16kernel18lstm_cell_backwardIN3c108BFloat16EflLi2EEEvNS_4cuda6detail10TensorInfoIT_T1_EESB_SB_SB_SB_SB_SB_SA_SA_,"axG",@progbits,_ZN2at6native12_GLOBAL__N_16kernel18lstm_cell_backwardIN3c108BFloat16EflLi2EEEvNS_4cuda6detail10TensorInfoIT_T1_EESB_SB_SB_SB_SB_SB_SA_SA_,comdat
.Lfunc_end31:
	.size	_ZN2at6native12_GLOBAL__N_16kernel18lstm_cell_backwardIN3c108BFloat16EflLi2EEEvNS_4cuda6detail10TensorInfoIT_T1_EESB_SB_SB_SB_SB_SB_SA_SA_, .Lfunc_end31-_ZN2at6native12_GLOBAL__N_16kernel18lstm_cell_backwardIN3c108BFloat16EflLi2EEEvNS_4cuda6detail10TensorInfoIT_T1_EESB_SB_SB_SB_SB_SB_SA_SA_
                                        ; -- End function
	.set _ZN2at6native12_GLOBAL__N_16kernel18lstm_cell_backwardIN3c108BFloat16EflLi2EEEvNS_4cuda6detail10TensorInfoIT_T1_EESB_SB_SB_SB_SB_SB_SA_SA_.num_vgpr, 44
	.set _ZN2at6native12_GLOBAL__N_16kernel18lstm_cell_backwardIN3c108BFloat16EflLi2EEEvNS_4cuda6detail10TensorInfoIT_T1_EESB_SB_SB_SB_SB_SB_SA_SA_.num_agpr, 0
	.set _ZN2at6native12_GLOBAL__N_16kernel18lstm_cell_backwardIN3c108BFloat16EflLi2EEEvNS_4cuda6detail10TensorInfoIT_T1_EESB_SB_SB_SB_SB_SB_SA_SA_.numbered_sgpr, 95
	.set _ZN2at6native12_GLOBAL__N_16kernel18lstm_cell_backwardIN3c108BFloat16EflLi2EEEvNS_4cuda6detail10TensorInfoIT_T1_EESB_SB_SB_SB_SB_SB_SA_SA_.num_named_barrier, 0
	.set _ZN2at6native12_GLOBAL__N_16kernel18lstm_cell_backwardIN3c108BFloat16EflLi2EEEvNS_4cuda6detail10TensorInfoIT_T1_EESB_SB_SB_SB_SB_SB_SA_SA_.private_seg_size, 0
	.set _ZN2at6native12_GLOBAL__N_16kernel18lstm_cell_backwardIN3c108BFloat16EflLi2EEEvNS_4cuda6detail10TensorInfoIT_T1_EESB_SB_SB_SB_SB_SB_SA_SA_.uses_vcc, 1
	.set _ZN2at6native12_GLOBAL__N_16kernel18lstm_cell_backwardIN3c108BFloat16EflLi2EEEvNS_4cuda6detail10TensorInfoIT_T1_EESB_SB_SB_SB_SB_SB_SA_SA_.uses_flat_scratch, 0
	.set _ZN2at6native12_GLOBAL__N_16kernel18lstm_cell_backwardIN3c108BFloat16EflLi2EEEvNS_4cuda6detail10TensorInfoIT_T1_EESB_SB_SB_SB_SB_SB_SA_SA_.has_dyn_sized_stack, 0
	.set _ZN2at6native12_GLOBAL__N_16kernel18lstm_cell_backwardIN3c108BFloat16EflLi2EEEvNS_4cuda6detail10TensorInfoIT_T1_EESB_SB_SB_SB_SB_SB_SA_SA_.has_recursion, 0
	.set _ZN2at6native12_GLOBAL__N_16kernel18lstm_cell_backwardIN3c108BFloat16EflLi2EEEvNS_4cuda6detail10TensorInfoIT_T1_EESB_SB_SB_SB_SB_SB_SA_SA_.has_indirect_call, 0
	.section	.AMDGPU.csdata,"",@progbits
; Kernel info:
; codeLenInByte = 17448
; TotalNumSgprs: 97
; NumVgprs: 44
; ScratchSize: 0
; MemoryBound: 0
; FloatMode: 240
; IeeeMode: 1
; LDSByteSize: 0 bytes/workgroup (compile time only)
; SGPRBlocks: 0
; VGPRBlocks: 5
; NumSGPRsForWavesPerEU: 97
; NumVGPRsForWavesPerEU: 44
; Occupancy: 16
; WaveLimiterHint : 1
; COMPUTE_PGM_RSRC2:SCRATCH_EN: 0
; COMPUTE_PGM_RSRC2:USER_SGPR: 2
; COMPUTE_PGM_RSRC2:TRAP_HANDLER: 0
; COMPUTE_PGM_RSRC2:TGID_X_EN: 1
; COMPUTE_PGM_RSRC2:TGID_Y_EN: 0
; COMPUTE_PGM_RSRC2:TGID_Z_EN: 0
; COMPUTE_PGM_RSRC2:TIDIG_COMP_CNT: 0
	.section	.text._ZN2at6native12_GLOBAL__N_16kernel16gru_cell_forwardIddiLi1EEEvNS_4cuda6detail10TensorInfoIT_T1_EES9_S9_S9_S9_S9_S9_S8_S8_,"axG",@progbits,_ZN2at6native12_GLOBAL__N_16kernel16gru_cell_forwardIddiLi1EEEvNS_4cuda6detail10TensorInfoIT_T1_EES9_S9_S9_S9_S9_S9_S8_S8_,comdat
	.globl	_ZN2at6native12_GLOBAL__N_16kernel16gru_cell_forwardIddiLi1EEEvNS_4cuda6detail10TensorInfoIT_T1_EES9_S9_S9_S9_S9_S9_S8_S8_ ; -- Begin function _ZN2at6native12_GLOBAL__N_16kernel16gru_cell_forwardIddiLi1EEEvNS_4cuda6detail10TensorInfoIT_T1_EES9_S9_S9_S9_S9_S9_S8_S8_
	.p2align	8
	.type	_ZN2at6native12_GLOBAL__N_16kernel16gru_cell_forwardIddiLi1EEEvNS_4cuda6detail10TensorInfoIT_T1_EES9_S9_S9_S9_S9_S9_S8_S8_,@function
_ZN2at6native12_GLOBAL__N_16kernel16gru_cell_forwardIddiLi1EEEvNS_4cuda6detail10TensorInfoIT_T1_EES9_S9_S9_S9_S9_S9_S8_S8_: ; @_ZN2at6native12_GLOBAL__N_16kernel16gru_cell_forwardIddiLi1EEEvNS_4cuda6detail10TensorInfoIT_T1_EES9_S9_S9_S9_S9_S9_S8_S8_
; %bb.0:
	s_clause 0x1
	s_load_b32 s4, s[0:1], 0x5fc
	s_load_b64 s[2:3], s[0:1], 0x5e8
	s_wait_kmcnt 0x0
	s_and_b32 s38, s4, 0xffff
	s_mov_b32 s4, exec_lo
	v_mad_co_u64_u32 v[0:1], null, ttmp9, s38, v[0:1]
	s_delay_alu instid0(VALU_DEP_1)
	v_cmpx_gt_i32_e64 s3, v0
	s_cbranch_execz .LBB32_6
; %bb.1:
	s_load_b64 s[4:5], s[0:1], 0x1b0
	s_add_nc_u64 s[22:23], s[0:1], 0x5f0
	s_clause 0xc
	s_load_b64 s[6:7], s[0:1], 0x0
	s_load_b32 s33, s[0:1], 0x6c
	s_load_b64 s[8:9], s[0:1], 0xd8
	s_load_b32 s54, s[0:1], 0x144
	s_load_b32 s55, s[0:1], 0x21c
	s_load_b64 s[10:11], s[0:1], 0x288
	s_load_b32 s56, s[0:1], 0x2f4
	s_load_b64 s[12:13], s[0:1], 0x360
	;; [unrolled: 2-line block ×4, first 2 shown]
	s_load_b32 s1, s[0:1], 0x57c
	s_load_b32 s60, s[22:23], 0x0
	s_mov_b32 s20, 0xfefa39ef
	s_mov_b32 s21, 0xbfe62e42
	;; [unrolled: 1-line block ×16, first 2 shown]
	s_wait_kmcnt 0x0
	s_cmp_lg_u64 s[4:5], 0
	v_mul_lo_u32 v3, v0, s40
	s_cselect_b32 s58, -1, 0
	s_abs_i32 s59, s2
	s_mul_i32 s60, s60, s38
	s_cvt_f32_u32 s0, s59
	s_sub_co_i32 s38, 0, s59
	s_mul_i32 s65, s60, s39
	s_mul_i32 s66, s60, s40
	s_wait_alu 0xfffe
	v_rcp_iflag_f32_e32 v1, s0
	s_mov_b32 s40, 0x555502a1
	s_mov_b32 s23, 0xbc7abc9e
	;; [unrolled: 1-line block ×8, first 2 shown]
	s_ashr_i32 s61, s2, 31
	v_readfirstlane_b32 s0, v1
	v_mul_lo_u32 v1, v0, s39
	s_lshl_b32 s62, s2, 1
	s_lshl_b32 s63, s2, 2
	s_sub_co_i32 s64, 0, s2
	s_mul_f32 s0, s0, 0x4f7ffffe
	s_mov_b32 s41, 0x3fa55555
	s_mov_b32 s43, 0x3fc55555
	;; [unrolled: 1-line block ×3, first 2 shown]
	s_wait_alu 0xfffe
	s_cvt_u32_f32 s0, s0
	s_mov_b32 s47, 0x3ff71547
	s_mov_b32 s48, 0xfefa3000
	;; [unrolled: 1-line block ×3, first 2 shown]
	s_wait_alu 0xfffe
	s_mul_i32 s38, s38, s0
	s_mov_b32 s53, 0xbac9cc01
	s_wait_alu 0xfffe
	s_mul_hi_u32 s38, s0, s38
	s_mov_b32 s46, s18
	s_wait_alu 0xfffe
	s_add_co_i32 s67, s0, s38
	s_mov_b32 s38, 0x11122322
	s_mov_b32 s39, 0x3f811111
	;; [unrolled: 1-line block ×3, first 2 shown]
	s_branch .LBB32_4
.LBB32_2:                               ;   in Loop: Header=BB32_4 Depth=1
	v_sub_nc_u32_e32 v2, v4, v31
	v_mad_co_u64_u32 v[11:12], null, s64, v32, v[0:1]
	s_delay_alu instid0(VALU_DEP_2) | instskip(SKIP_1) | instid1(VALU_DEP_3)
	v_mul_lo_u32 v13, s2, v2
	v_add_nc_u32_e32 v2, 2, v2
	v_mul_lo_u32 v12, v11, s55
	v_mul_lo_u32 v23, v11, s56
	s_delay_alu instid0(VALU_DEP_3) | instskip(SKIP_1) | instid1(VALU_DEP_4)
	v_mad_co_u64_u32 v[25:26], null, s2, v2, v[0:1]
	v_add3_u32 v2, v13, s2, v0
	v_ashrrev_i32_e32 v13, 31, v12
	s_delay_alu instid0(VALU_DEP_2) | instskip(NEXT) | instid1(VALU_DEP_4)
	v_mul_lo_u32 v11, v2, s55
	v_mul_lo_u32 v26, v25, s55
	;; [unrolled: 1-line block ×3, first 2 shown]
	v_ashrrev_i32_e32 v24, 31, v23
	v_lshlrev_b64_e32 v[13:14], 3, v[12:13]
	v_mul_lo_u32 v33, v25, s56
	s_delay_alu instid0(VALU_DEP_3) | instskip(SKIP_4) | instid1(VALU_DEP_4)
	v_lshlrev_b64_e32 v[23:24], 3, v[23:24]
	v_ashrrev_i32_e32 v12, 31, v11
	v_ashrrev_i32_e32 v27, 31, v26
	v_add_co_u32 v13, vcc_lo, s4, v13
	v_ashrrev_i32_e32 v29, 31, v28
	v_lshlrev_b64_e32 v[11:12], 3, v[11:12]
	s_delay_alu instid0(VALU_DEP_4)
	v_lshlrev_b64_e32 v[25:26], 3, v[26:27]
	s_wait_alu 0xfffd
	v_add_co_ci_u32_e64 v14, null, s5, v14, vcc_lo
	v_ashrrev_i32_e32 v34, 31, v33
	v_lshlrev_b64_e32 v[27:28], 3, v[28:29]
	v_add_co_u32 v11, vcc_lo, s4, v11
	s_wait_alu 0xfffd
	v_add_co_ci_u32_e64 v12, null, s5, v12, vcc_lo
	v_add_co_u32 v25, vcc_lo, s4, v25
	s_wait_alu 0xfffd
	v_add_co_ci_u32_e64 v26, null, s5, v26, vcc_lo
	v_add_co_u32 v35, vcc_lo, s10, v23
	s_wait_alu 0xfffd
	v_add_co_ci_u32_e64 v36, null, s11, v24, vcc_lo
	v_lshlrev_b64_e32 v[23:24], 3, v[33:34]
	v_add_co_u32 v33, vcc_lo, s10, v27
	s_wait_alu 0xfffd
	v_add_co_ci_u32_e64 v34, null, s11, v28, vcc_lo
	s_delay_alu instid0(VALU_DEP_3)
	v_add_co_u32 v37, vcc_lo, s10, v23
	s_wait_alu 0xfffd
	v_add_co_ci_u32_e64 v38, null, s11, v24, vcc_lo
	s_clause 0x2
	global_load_b64 v[29:30], v[13:14], off
	global_load_b64 v[11:12], v[11:12], off
	global_load_b64 v[23:24], v[25:26], off
	s_clause 0x2
	global_load_b64 v[27:28], v[35:36], off
	global_load_b64 v[13:14], v[33:34], off
	;; [unrolled: 1-line block ×3, first 2 shown]
.LBB32_3:                               ;   in Loop: Header=BB32_4 Depth=1
	s_wait_loadcnt 0x3
	v_add_f64_e32 v[19:20], v[19:20], v[21:22]
	v_add_f64_e32 v[15:16], v[15:16], v[23:24]
	s_wait_loadcnt 0x0
	v_add_f64_e32 v[17:18], v[17:18], v[25:26]
	v_add_f64_e32 v[7:8], v[7:8], v[9:10]
	s_delay_alu instid0(VALU_DEP_4) | instskip(NEXT) | instid1(VALU_DEP_2)
	v_add_f64_e32 v[19:20], v[19:20], v[29:30]
	v_add_f64_e32 v[7:8], v[7:8], v[11:12]
	s_delay_alu instid0(VALU_DEP_2) | instskip(NEXT) | instid1(VALU_DEP_2)
	v_add_f64_e32 v[19:20], v[27:28], v[19:20]
	v_add_f64_e32 v[7:8], v[7:8], v[13:14]
	s_delay_alu instid0(VALU_DEP_2) | instskip(SKIP_1) | instid1(VALU_DEP_2)
	v_mul_f64_e32 v[21:22], s[18:19], v[19:20]
	v_cmp_nlt_f64_e64 s0, 0x4090cc00, v[19:20]
	v_rndne_f64_e32 v[21:22], v[21:22]
	s_delay_alu instid0(VALU_DEP_1) | instskip(SKIP_1) | instid1(VALU_DEP_2)
	v_fma_f64 v[27:28], v[21:22], s[20:21], -v[19:20]
	v_cvt_i32_f64_e32 v2, v[21:22]
	v_fma_f64 v[27:28], v[21:22], s[22:23], v[27:28]
	s_delay_alu instid0(VALU_DEP_1) | instskip(NEXT) | instid1(VALU_DEP_1)
	v_fma_f64 v[29:30], v[27:28], s[26:27], s[24:25]
	v_fma_f64 v[29:30], v[27:28], v[29:30], s[28:29]
	s_delay_alu instid0(VALU_DEP_1) | instskip(NEXT) | instid1(VALU_DEP_1)
	v_fma_f64 v[29:30], v[27:28], v[29:30], s[30:31]
	;; [unrolled: 3-line block ×5, first 2 shown]
	v_fma_f64 v[29:30], v[27:28], v[29:30], 1.0
	s_delay_alu instid0(VALU_DEP_1) | instskip(NEXT) | instid1(VALU_DEP_1)
	v_fma_f64 v[21:22], v[27:28], v[29:30], 1.0
	v_ldexp_f64 v[21:22], v[21:22], v2
	s_delay_alu instid0(VALU_DEP_1) | instskip(NEXT) | instid1(VALU_DEP_1)
	v_add_f64_e32 v[21:22], 1.0, v[21:22]
	v_div_scale_f64 v[27:28], null, v[21:22], v[21:22], 1.0
	v_div_scale_f64 v[35:36], vcc_lo, 1.0, v[21:22], 1.0
	s_delay_alu instid0(VALU_DEP_2) | instskip(NEXT) | instid1(TRANS32_DEP_1)
	v_rcp_f64_e32 v[29:30], v[27:28]
	v_fma_f64 v[33:34], -v[27:28], v[29:30], 1.0
	s_delay_alu instid0(VALU_DEP_1) | instskip(NEXT) | instid1(VALU_DEP_1)
	v_fma_f64 v[29:30], v[29:30], v[33:34], v[29:30]
	v_fma_f64 v[33:34], -v[27:28], v[29:30], 1.0
	s_delay_alu instid0(VALU_DEP_1) | instskip(NEXT) | instid1(VALU_DEP_1)
	v_fma_f64 v[29:30], v[29:30], v[33:34], v[29:30]
	v_mul_f64_e32 v[33:34], v[35:36], v[29:30]
	s_delay_alu instid0(VALU_DEP_1) | instskip(SKIP_1) | instid1(VALU_DEP_1)
	v_fma_f64 v[27:28], -v[27:28], v[33:34], v[35:36]
	s_wait_alu 0xfffd
	v_div_fmas_f64 v[27:28], v[27:28], v[29:30], v[33:34]
	v_cmp_ngt_f64_e32 vcc_lo, 0xc0900000, v[19:20]
	s_delay_alu instid0(VALU_DEP_2) | instskip(SKIP_1) | instid1(VALU_DEP_1)
	v_div_fixup_f64 v[21:22], v[27:28], v[21:22], 1.0
	s_wait_alu 0xfffd
	v_cndmask_b32_e32 v2, 0, v22, vcc_lo
	s_and_b32 vcc_lo, s0, vcc_lo
	s_wait_alu 0xfffe
	s_delay_alu instid0(VALU_DEP_2) | instskip(NEXT) | instid1(VALU_DEP_2)
	v_cndmask_b32_e32 v19, 0, v21, vcc_lo
	v_cndmask_b32_e64 v20, 0x3ff00000, v2, s0
	s_delay_alu instid0(VALU_DEP_1) | instskip(NEXT) | instid1(VALU_DEP_1)
	v_fma_f64 v[15:16], v[17:18], v[19:20], v[15:16]
	v_mul_f64_e64 v[21:22], |v[15:16]|, s[46:47]
	v_cmp_nlt_f64_e64 s0, 0x40331000, |v[15:16]|
	s_delay_alu instid0(VALU_DEP_2) | instskip(NEXT) | instid1(VALU_DEP_1)
	v_rndne_f64_e32 v[21:22], v[21:22]
	v_fma_f64 v[23:24], v[21:22], s[48:49], |v[15:16]|
	v_mul_f64_e32 v[25:26], s[50:51], v[21:22]
	v_cvt_i32_f64_e32 v2, v[21:22]
	s_delay_alu instid0(VALU_DEP_3) | instskip(NEXT) | instid1(VALU_DEP_1)
	v_add_f64_e32 v[27:28], 0, v[23:24]
	v_add_f64_e32 v[29:30], v[27:28], v[25:26]
	v_add_f64_e64 v[23:24], v[23:24], -v[27:28]
	s_delay_alu instid0(VALU_DEP_2) | instskip(NEXT) | instid1(VALU_DEP_2)
	v_add_f64_e64 v[27:28], v[27:28], -v[29:30]
	v_add_f64_e32 v[23:24], 0, v[23:24]
	s_delay_alu instid0(VALU_DEP_2) | instskip(NEXT) | instid1(VALU_DEP_1)
	v_add_f64_e32 v[25:26], v[27:28], v[25:26]
	v_add_f64_e32 v[23:24], v[23:24], v[25:26]
	v_mul_f64_e32 v[25:26], s[52:53], v[21:22]
	s_delay_alu instid0(VALU_DEP_2) | instskip(NEXT) | instid1(VALU_DEP_1)
	v_add_f64_e32 v[27:28], v[29:30], v[23:24]
	v_add_f64_e32 v[33:34], v[27:28], v[25:26]
	v_add_f64_e64 v[29:30], v[29:30], -v[27:28]
	s_delay_alu instid0(VALU_DEP_2) | instskip(NEXT) | instid1(VALU_DEP_2)
	v_add_f64_e64 v[27:28], v[27:28], -v[33:34]
	v_add_f64_e32 v[23:24], v[23:24], v[29:30]
	s_delay_alu instid0(VALU_DEP_2) | instskip(NEXT) | instid1(VALU_DEP_1)
	v_add_f64_e32 v[25:26], v[27:28], v[25:26]
	v_add_f64_e32 v[23:24], v[23:24], v[25:26]
	s_delay_alu instid0(VALU_DEP_1) | instskip(NEXT) | instid1(VALU_DEP_1)
	v_add_f64_e32 v[25:26], v[33:34], v[23:24]
	v_fma_f64 v[27:28], v[25:26], s[26:27], s[24:25]
	v_add_f64_e64 v[29:30], v[33:34], -v[25:26]
	v_mul_f64_e32 v[33:34], v[25:26], v[25:26]
	s_delay_alu instid0(VALU_DEP_3) | instskip(NEXT) | instid1(VALU_DEP_3)
	v_fma_f64 v[27:28], v[25:26], v[27:28], s[28:29]
	v_add_f64_e32 v[23:24], v[23:24], v[29:30]
	s_delay_alu instid0(VALU_DEP_3) | instskip(NEXT) | instid1(VALU_DEP_3)
	v_fma_f64 v[29:30], v[25:26], v[25:26], -v[33:34]
	v_fma_f64 v[27:28], v[25:26], v[27:28], s[30:31]
	s_delay_alu instid0(VALU_DEP_3) | instskip(NEXT) | instid1(VALU_DEP_2)
	v_add_f64_e32 v[35:36], v[23:24], v[23:24]
	v_fma_f64 v[27:28], v[25:26], v[27:28], s[34:35]
	s_delay_alu instid0(VALU_DEP_2) | instskip(NEXT) | instid1(VALU_DEP_2)
	v_fma_f64 v[29:30], v[25:26], v[35:36], v[29:30]
	v_fma_f64 v[27:28], v[25:26], v[27:28], s[36:37]
	s_delay_alu instid0(VALU_DEP_2) | instskip(NEXT) | instid1(VALU_DEP_2)
	v_add_f64_e32 v[35:36], v[33:34], v[29:30]
	v_fma_f64 v[27:28], v[25:26], v[27:28], s[38:39]
	s_delay_alu instid0(VALU_DEP_2) | instskip(NEXT) | instid1(VALU_DEP_2)
	v_add_f64_e64 v[33:34], v[35:36], -v[33:34]
	v_fma_f64 v[27:28], v[25:26], v[27:28], s[40:41]
	s_delay_alu instid0(VALU_DEP_2) | instskip(NEXT) | instid1(VALU_DEP_2)
	v_add_f64_e64 v[29:30], v[29:30], -v[33:34]
	v_fma_f64 v[27:28], v[25:26], v[27:28], s[42:43]
	s_delay_alu instid0(VALU_DEP_1) | instskip(NEXT) | instid1(VALU_DEP_1)
	v_fma_f64 v[27:28], v[25:26], v[27:28], s[44:45]
	v_mul_f64_e32 v[37:38], v[35:36], v[27:28]
	s_delay_alu instid0(VALU_DEP_1) | instskip(NEXT) | instid1(VALU_DEP_1)
	v_fma_f64 v[33:34], v[35:36], v[27:28], -v[37:38]
	v_fma_f64 v[27:28], v[29:30], v[27:28], v[33:34]
	s_delay_alu instid0(VALU_DEP_1) | instskip(NEXT) | instid1(VALU_DEP_1)
	v_add_f64_e32 v[29:30], v[37:38], v[27:28]
	v_add_f64_e32 v[33:34], v[25:26], v[29:30]
	v_add_f64_e64 v[35:36], v[29:30], -v[37:38]
	s_delay_alu instid0(VALU_DEP_2) | instskip(NEXT) | instid1(VALU_DEP_2)
	v_add_f64_e64 v[25:26], v[33:34], -v[25:26]
	v_add_f64_e64 v[27:28], v[27:28], -v[35:36]
	s_delay_alu instid0(VALU_DEP_2) | instskip(NEXT) | instid1(VALU_DEP_2)
	v_add_f64_e64 v[25:26], v[29:30], -v[25:26]
	v_add_f64_e32 v[23:24], v[23:24], v[27:28]
	s_delay_alu instid0(VALU_DEP_1) | instskip(NEXT) | instid1(VALU_DEP_1)
	v_add_f64_e32 v[23:24], v[23:24], v[25:26]
	v_add_f64_e32 v[25:26], v[33:34], v[23:24]
	s_delay_alu instid0(VALU_DEP_1) | instskip(SKIP_1) | instid1(VALU_DEP_2)
	v_add_f64_e32 v[27:28], 1.0, v[25:26]
	v_add_f64_e64 v[29:30], v[25:26], -v[33:34]
	v_add_f64_e32 v[33:34], -1.0, v[27:28]
	s_delay_alu instid0(VALU_DEP_2) | instskip(NEXT) | instid1(VALU_DEP_2)
	v_add_f64_e64 v[23:24], v[23:24], -v[29:30]
	v_add_f64_e64 v[25:26], v[25:26], -v[33:34]
	s_delay_alu instid0(VALU_DEP_1) | instskip(NEXT) | instid1(VALU_DEP_1)
	v_add_f64_e32 v[23:24], v[23:24], v[25:26]
	v_add_f64_e32 v[21:22], v[27:28], v[23:24]
	s_delay_alu instid0(VALU_DEP_1) | instskip(SKIP_1) | instid1(VALU_DEP_2)
	v_ldexp_f64 v[25:26], v[21:22], v2
	v_add_f64_e64 v[21:22], v[21:22], -v[27:28]
	v_rcp_f64_e32 v[29:30], v[25:26]
	s_delay_alu instid0(VALU_DEP_1) | instskip(NEXT) | instid1(VALU_DEP_1)
	v_add_f64_e64 v[21:22], v[23:24], -v[21:22]
	v_ldexp_f64 v[21:22], v[21:22], v2
	s_delay_alu instid0(TRANS32_DEP_1) | instskip(NEXT) | instid1(VALU_DEP_1)
	v_fma_f64 v[33:34], -v[25:26], v[29:30], 1.0
	v_fma_f64 v[29:30], v[33:34], v[29:30], v[29:30]
	s_delay_alu instid0(VALU_DEP_1) | instskip(NEXT) | instid1(VALU_DEP_1)
	v_fma_f64 v[33:34], -v[25:26], v[29:30], 1.0
	v_fma_f64 v[27:28], v[33:34], v[29:30], v[29:30]
	s_delay_alu instid0(VALU_DEP_1) | instskip(NEXT) | instid1(VALU_DEP_1)
	v_mul_f64_e32 v[23:24], v[25:26], v[27:28]
	v_fma_f64 v[29:30], v[27:28], v[25:26], -v[23:24]
	s_delay_alu instid0(VALU_DEP_1) | instskip(NEXT) | instid1(VALU_DEP_1)
	v_fma_f64 v[29:30], v[27:28], v[21:22], v[29:30]
	v_add_f64_e32 v[33:34], v[23:24], v[29:30]
	s_delay_alu instid0(VALU_DEP_1) | instskip(SKIP_1) | instid1(VALU_DEP_2)
	v_add_f64_e64 v[35:36], -v[33:34], 1.0
	v_add_f64_e64 v[23:24], v[33:34], -v[23:24]
	v_add_f64_e64 v[37:38], -v[35:36], 1.0
	s_delay_alu instid0(VALU_DEP_2) | instskip(NEXT) | instid1(VALU_DEP_2)
	v_add_f64_e64 v[23:24], v[23:24], -v[29:30]
	v_add_f64_e64 v[29:30], v[37:38], -v[33:34]
	s_delay_alu instid0(VALU_DEP_1) | instskip(NEXT) | instid1(VALU_DEP_1)
	v_add_f64_e32 v[23:24], v[23:24], v[29:30]
	v_add_f64_e32 v[29:30], v[35:36], v[23:24]
	s_delay_alu instid0(VALU_DEP_1) | instskip(SKIP_1) | instid1(VALU_DEP_2)
	v_mul_f64_e32 v[33:34], v[27:28], v[29:30]
	v_add_f64_e64 v[35:36], v[35:36], -v[29:30]
	v_mul_f64_e32 v[37:38], v[25:26], v[33:34]
	s_delay_alu instid0(VALU_DEP_2) | instskip(SKIP_1) | instid1(VALU_DEP_3)
	v_add_f64_e32 v[23:24], v[23:24], v[35:36]
	v_add_f64_e32 v[9:10], v[27:28], v[33:34]
	v_fma_f64 v[39:40], v[33:34], v[25:26], -v[37:38]
	s_delay_alu instid0(VALU_DEP_2) | instskip(NEXT) | instid1(VALU_DEP_2)
	v_add_f64_e64 v[11:12], v[9:10], -v[27:28]
	v_fma_f64 v[39:40], v[33:34], v[21:22], v[39:40]
	s_delay_alu instid0(VALU_DEP_2) | instskip(NEXT) | instid1(VALU_DEP_2)
	v_add_f64_e64 v[11:12], v[33:34], -v[11:12]
	v_add_f64_e32 v[41:42], v[37:38], v[39:40]
	s_delay_alu instid0(VALU_DEP_1) | instskip(SKIP_1) | instid1(VALU_DEP_2)
	v_add_f64_e64 v[43:44], v[29:30], -v[41:42]
	v_add_f64_e64 v[35:36], v[41:42], -v[37:38]
	;; [unrolled: 1-line block ×3, first 2 shown]
	s_delay_alu instid0(VALU_DEP_2) | instskip(NEXT) | instid1(VALU_DEP_2)
	v_add_f64_e64 v[35:36], v[35:36], -v[39:40]
	v_add_f64_e64 v[29:30], v[29:30], -v[41:42]
	s_delay_alu instid0(VALU_DEP_1) | instskip(NEXT) | instid1(VALU_DEP_1)
	v_add_f64_e32 v[23:24], v[23:24], v[29:30]
	v_add_f64_e32 v[23:24], v[35:36], v[23:24]
	s_delay_alu instid0(VALU_DEP_1) | instskip(NEXT) | instid1(VALU_DEP_1)
	v_add_f64_e32 v[23:24], v[43:44], v[23:24]
	v_mul_f64_e32 v[13:14], v[27:28], v[23:24]
	v_mul_f64_e32 v[23:24], s[18:19], v[7:8]
	s_delay_alu instid0(VALU_DEP_2) | instskip(NEXT) | instid1(VALU_DEP_2)
	v_add_f64_e32 v[11:12], v[11:12], v[13:14]
	v_rndne_f64_e32 v[13:14], v[23:24]
	s_delay_alu instid0(VALU_DEP_2) | instskip(NEXT) | instid1(VALU_DEP_2)
	v_add_f64_e32 v[23:24], v[9:10], v[11:12]
	v_fma_f64 v[27:28], v[13:14], s[20:21], -v[7:8]
	v_cvt_i32_f64_e32 v2, v[13:14]
	s_delay_alu instid0(VALU_DEP_3) | instskip(SKIP_1) | instid1(VALU_DEP_4)
	v_add_f64_e32 v[29:30], v[25:26], v[23:24]
	v_add_f64_e64 v[9:10], v[23:24], -v[9:10]
	v_fma_f64 v[27:28], v[13:14], s[22:23], v[27:28]
	v_add_f64_e64 v[37:38], v[25:26], -v[23:24]
	s_delay_alu instid0(VALU_DEP_4) | instskip(NEXT) | instid1(VALU_DEP_4)
	v_add_f64_e64 v[33:34], v[29:30], -v[25:26]
	v_add_f64_e64 v[9:10], v[11:12], -v[9:10]
	s_delay_alu instid0(VALU_DEP_4) | instskip(NEXT) | instid1(VALU_DEP_4)
	v_fma_f64 v[11:12], v[27:28], s[26:27], s[24:25]
	v_add_f64_e64 v[25:26], v[25:26], -v[37:38]
	s_delay_alu instid0(VALU_DEP_4) | instskip(NEXT) | instid1(VALU_DEP_4)
	v_add_f64_e64 v[33:34], v[23:24], -v[33:34]
	v_add_f64_e32 v[35:36], v[21:22], v[9:10]
	s_delay_alu instid0(VALU_DEP_4) | instskip(NEXT) | instid1(VALU_DEP_4)
	v_fma_f64 v[11:12], v[27:28], v[11:12], s[28:29]
	v_add_f64_e64 v[23:24], v[25:26], -v[23:24]
	s_delay_alu instid0(VALU_DEP_3) | instskip(NEXT) | instid1(VALU_DEP_3)
	v_add_f64_e32 v[33:34], v[35:36], v[33:34]
	v_fma_f64 v[11:12], v[27:28], v[11:12], s[30:31]
	s_delay_alu instid0(VALU_DEP_3) | instskip(NEXT) | instid1(VALU_DEP_3)
	v_add_f64_e32 v[21:22], v[21:22], v[23:24]
	v_add_f64_e32 v[35:36], v[29:30], v[33:34]
	s_delay_alu instid0(VALU_DEP_3) | instskip(NEXT) | instid1(VALU_DEP_3)
	v_fma_f64 v[11:12], v[27:28], v[11:12], s[34:35]
	v_add_f64_e64 v[9:10], v[21:22], -v[9:10]
	s_delay_alu instid0(VALU_DEP_3) | instskip(NEXT) | instid1(VALU_DEP_2)
	v_rcp_f64_e32 v[39:40], v[35:36]
	v_fma_f64 v[11:12], v[27:28], v[11:12], s[36:37]
	v_add_f64_e64 v[29:30], v[35:36], -v[29:30]
	s_delay_alu instid0(VALU_DEP_2) | instskip(NEXT) | instid1(TRANS32_DEP_1)
	v_fma_f64 v[11:12], v[27:28], v[11:12], s[38:39]
	v_fma_f64 v[25:26], -v[35:36], v[39:40], 1.0
	s_delay_alu instid0(VALU_DEP_3) | instskip(NEXT) | instid1(VALU_DEP_3)
	v_add_f64_e64 v[13:14], v[33:34], -v[29:30]
	v_fma_f64 v[11:12], v[27:28], v[11:12], s[40:41]
	s_delay_alu instid0(VALU_DEP_3) | instskip(SKIP_1) | instid1(VALU_DEP_3)
	v_fma_f64 v[23:24], v[25:26], v[39:40], v[39:40]
	v_add_f64_e32 v[25:26], v[37:38], v[9:10]
	v_fma_f64 v[11:12], v[27:28], v[11:12], s[42:43]
	s_delay_alu instid0(VALU_DEP_3) | instskip(NEXT) | instid1(VALU_DEP_2)
	v_fma_f64 v[21:22], -v[35:36], v[23:24], 1.0
	v_fma_f64 v[11:12], v[27:28], v[11:12], s[44:45]
	s_delay_alu instid0(VALU_DEP_2) | instskip(NEXT) | instid1(VALU_DEP_2)
	v_fma_f64 v[21:22], v[21:22], v[23:24], v[23:24]
	v_fma_f64 v[11:12], v[27:28], v[11:12], 1.0
	s_delay_alu instid0(VALU_DEP_2) | instskip(NEXT) | instid1(VALU_DEP_2)
	v_mul_f64_e32 v[23:24], v[25:26], v[21:22]
	v_fma_f64 v[11:12], v[27:28], v[11:12], 1.0
	s_delay_alu instid0(VALU_DEP_2) | instskip(NEXT) | instid1(VALU_DEP_2)
	v_mul_f64_e32 v[39:40], v[35:36], v[23:24]
	v_ldexp_f64 v[11:12], v[11:12], v2
	s_delay_alu instid0(VALU_DEP_2) | instskip(NEXT) | instid1(VALU_DEP_2)
	v_fma_f64 v[27:28], v[23:24], v[35:36], -v[39:40]
	v_add_f64_e32 v[11:12], 1.0, v[11:12]
	s_delay_alu instid0(VALU_DEP_2) | instskip(NEXT) | instid1(VALU_DEP_2)
	v_fma_f64 v[13:14], v[23:24], v[13:14], v[27:28]
	v_div_scale_f64 v[29:30], null, v[11:12], v[11:12], 1.0
	s_delay_alu instid0(VALU_DEP_2) | instskip(NEXT) | instid1(VALU_DEP_2)
	v_add_f64_e32 v[27:28], v[39:40], v[13:14]
	v_rcp_f64_e32 v[35:36], v[29:30]
	s_delay_alu instid0(VALU_DEP_1) | instskip(SKIP_1) | instid1(VALU_DEP_2)
	v_add_f64_e64 v[33:34], v[25:26], -v[27:28]
	v_add_f64_e64 v[39:40], v[27:28], -v[39:40]
	;; [unrolled: 1-line block ×3, first 2 shown]
	s_delay_alu instid0(TRANS32_DEP_1) | instskip(SKIP_1) | instid1(VALU_DEP_4)
	v_fma_f64 v[43:44], -v[29:30], v[35:36], 1.0
	v_add_f64_e64 v[25:26], v[25:26], -v[37:38]
	v_add_f64_e64 v[13:14], v[13:14], -v[39:40]
	s_delay_alu instid0(VALU_DEP_4) | instskip(NEXT) | instid1(VALU_DEP_4)
	v_add_f64_e64 v[27:28], v[41:42], -v[27:28]
	v_fma_f64 v[35:36], v[35:36], v[43:44], v[35:36]
	s_delay_alu instid0(VALU_DEP_4) | instskip(NEXT) | instid1(VALU_DEP_3)
	v_add_f64_e64 v[9:10], v[9:10], -v[25:26]
	v_add_f64_e64 v[13:14], v[27:28], -v[13:14]
	s_delay_alu instid0(VALU_DEP_3) | instskip(NEXT) | instid1(VALU_DEP_2)
	v_fma_f64 v[25:26], -v[29:30], v[35:36], 1.0
	v_add_f64_e32 v[9:10], v[9:10], v[13:14]
	v_div_scale_f64 v[13:14], vcc_lo, 1.0, v[11:12], 1.0
	s_delay_alu instid0(VALU_DEP_3) | instskip(NEXT) | instid1(VALU_DEP_3)
	v_fma_f64 v[25:26], v[35:36], v[25:26], v[35:36]
	v_add_f64_e32 v[9:10], v[33:34], v[9:10]
	s_delay_alu instid0(VALU_DEP_2) | instskip(NEXT) | instid1(VALU_DEP_2)
	v_mul_f64_e32 v[27:28], v[13:14], v[25:26]
	v_mul_f64_e32 v[9:10], v[21:22], v[9:10]
	s_delay_alu instid0(VALU_DEP_2) | instskip(NEXT) | instid1(VALU_DEP_2)
	v_fma_f64 v[13:14], -v[29:30], v[27:28], v[13:14]
	v_add_f64_e32 v[9:10], v[23:24], v[9:10]
	s_wait_alu 0xfffd
	s_delay_alu instid0(VALU_DEP_2) | instskip(SKIP_2) | instid1(VALU_DEP_3)
	v_div_fmas_f64 v[13:14], v[13:14], v[25:26], v[27:28]
	v_cmp_gt_f64_e64 vcc_lo, 0x3e400000, |v[15:16]|
	s_wait_alu 0xf1ff
	v_cndmask_b32_e64 v2, 0x3ff00000, v10, s0
	s_delay_alu instid0(VALU_DEP_4)
	v_cndmask_b32_e64 v21, 0, v9, s0
	v_cmp_nlt_f64_e64 s0, 0x4090cc00, v[7:8]
	v_div_fixup_f64 v[9:10], v[13:14], v[11:12], 1.0
	v_and_b32_e32 v12, 0x7fffffff, v16
	v_mad_co_u64_u32 v[13:14], null, s63, v32, v[0:1]
	s_wait_alu 0xfffd
	v_cndmask_b32_e32 v11, v21, v15, vcc_lo
	s_delay_alu instid0(VALU_DEP_3)
	v_dual_cndmask_b32 v2, v2, v12 :: v_dual_add_nc_u32 v1, s65, v1
	v_cmp_ngt_f64_e32 vcc_lo, 0xc0900000, v[7:8]
	v_lshlrev_b32_e32 v15, 2, v4
	v_ashrrev_i32_e32 v4, 31, v3
	v_mul_lo_u32 v21, v13, s1
	v_bfi_b32 v12, 0x7fffffff, v2, v16
	s_delay_alu instid0(VALU_DEP_1) | instskip(NEXT) | instid1(VALU_DEP_3)
	v_add_f64_e64 v[7:8], v[5:6], -v[11:12]
	v_ashrrev_i32_e32 v22, 31, v21
	s_wait_alu 0xfffd
	v_cndmask_b32_e32 v10, 0, v10, vcc_lo
	s_and_b32 vcc_lo, s0, vcc_lo
	s_wait_alu 0xfffe
	v_dual_cndmask_b32 v9, 0, v9 :: v_dual_lshlrev_b32 v2, 2, v31
	s_delay_alu instid0(VALU_DEP_2) | instskip(NEXT) | instid1(VALU_DEP_2)
	v_cndmask_b32_e64 v10, 0x3ff00000, v10, s0
	v_sub_nc_u32_e32 v2, v2, v15
	v_lshlrev_b64_e32 v[14:15], 3, v[3:4]
	v_add_nc_u32_e32 v3, s66, v3
	s_delay_alu instid0(VALU_DEP_4) | instskip(NEXT) | instid1(VALU_DEP_4)
	v_fma_f64 v[7:8], v[9:10], v[7:8], v[11:12]
	v_or_b32_e32 v4, 1, v2
	v_or_b32_e32 v13, 2, v2
	;; [unrolled: 1-line block ×3, first 2 shown]
	v_add_nc_u32_e32 v2, 4, v2
	v_add_co_u32 v29, vcc_lo, s14, v14
	v_mad_co_u64_u32 v[23:24], null, s2, v4, v[0:1]
	v_mad_co_u64_u32 v[24:25], null, s2, v13, v[0:1]
	;; [unrolled: 1-line block ×4, first 2 shown]
	s_delay_alu instid0(VALU_DEP_4)
	v_mul_lo_u32 v13, v23, s1
	s_wait_alu 0xfffd
	v_add_co_ci_u32_e64 v30, null, s15, v15, vcc_lo
	v_mul_lo_u32 v23, v24, s1
	v_mul_lo_u32 v25, v25, s1
	v_lshlrev_b64_e32 v[15:16], 3, v[21:22]
	v_mul_lo_u32 v27, v26, s1
	v_add_nc_u32_e32 v0, s60, v0
	v_ashrrev_i32_e32 v14, 31, v13
	v_ashrrev_i32_e32 v24, 31, v23
	;; [unrolled: 1-line block ×3, first 2 shown]
	s_delay_alu instid0(VALU_DEP_3)
	v_lshlrev_b64_e32 v[13:14], 3, v[13:14]
	v_ashrrev_i32_e32 v28, 31, v27
	v_add_co_u32 v15, s0, s16, v15
	v_lshlrev_b64_e32 v[21:22], 3, v[23:24]
	v_lshlrev_b64_e32 v[23:24], 3, v[25:26]
	s_wait_alu 0xf1ff
	v_add_co_ci_u32_e64 v16, null, s17, v16, s0
	v_lshlrev_b64_e32 v[25:26], 3, v[27:28]
	v_add_co_u32 v13, s0, s16, v13
	v_cmp_le_i32_e32 vcc_lo, s3, v0
	s_wait_alu 0xf1ff
	v_add_co_ci_u32_e64 v14, null, s17, v14, s0
	v_add_co_u32 v21, s0, s16, v21
	s_wait_alu 0xf1ff
	v_add_co_ci_u32_e64 v22, null, s17, v22, s0
	v_add_co_u32 v23, s0, s16, v23
	;; [unrolled: 3-line block ×3, first 2 shown]
	s_or_b32 s57, vcc_lo, s57
	v_add_co_ci_u32_e64 v26, null, s17, v26, s0
	global_store_b64 v[29:30], v[7:8], off
	s_clause 0x4
	global_store_b64 v[15:16], v[19:20], off
	global_store_b64 v[13:14], v[9:10], off
	;; [unrolled: 1-line block ×5, first 2 shown]
	s_wait_alu 0xfffe
	s_and_not1_b32 exec_lo, exec_lo, s57
	s_cbranch_execz .LBB32_6
.LBB32_4:                               ; =>This Inner Loop Header: Depth=1
	v_sub_nc_u32_e32 v2, 0, v0
	s_delay_alu instid0(VALU_DEP_1) | instskip(NEXT) | instid1(VALU_DEP_1)
	v_max_i32_e32 v2, v0, v2
	v_mul_hi_u32 v4, v2, s67
	s_delay_alu instid0(VALU_DEP_1) | instskip(NEXT) | instid1(VALU_DEP_1)
	v_mul_lo_u32 v5, v4, s59
	v_sub_nc_u32_e32 v2, v2, v5
	s_delay_alu instid0(VALU_DEP_1) | instskip(SKIP_2) | instid1(VALU_DEP_2)
	v_subrev_nc_u32_e32 v6, s59, v2
	v_cmp_le_u32_e32 vcc_lo, s59, v2
	s_wait_alu 0xfffd
	v_dual_cndmask_b32 v2, v2, v6 :: v_dual_add_nc_u32 v5, 1, v4
	s_delay_alu instid0(VALU_DEP_1) | instskip(SKIP_1) | instid1(VALU_DEP_3)
	v_cndmask_b32_e32 v5, v4, v5, vcc_lo
	v_ashrrev_i32_e32 v4, 31, v0
	v_cmp_le_u32_e32 vcc_lo, s59, v2
	s_delay_alu instid0(VALU_DEP_3) | instskip(NEXT) | instid1(VALU_DEP_3)
	v_add_nc_u32_e32 v6, 1, v5
	v_xor_b32_e32 v4, s61, v4
	s_wait_alu 0xfffd
	s_delay_alu instid0(VALU_DEP_2) | instskip(NEXT) | instid1(VALU_DEP_1)
	v_cndmask_b32_e32 v2, v5, v6, vcc_lo
	v_xor_b32_e32 v31, v2, v4
	v_lshlrev_b32_e32 v2, 1, v4
	s_delay_alu instid0(VALU_DEP_2) | instskip(SKIP_1) | instid1(VALU_DEP_2)
	v_sub_nc_u32_e32 v32, v31, v4
	v_lshlrev_b32_e32 v7, 1, v31
	v_mad_co_u64_u32 v[5:6], null, s62, v32, v[0:1]
	s_delay_alu instid0(VALU_DEP_2) | instskip(SKIP_1) | instid1(VALU_DEP_2)
	v_sub_nc_u32_e32 v6, v7, v2
	v_ashrrev_i32_e32 v2, 31, v1
	v_or_b32_e32 v7, 1, v6
	v_add_nc_u32_e32 v9, 2, v6
	v_mul_lo_u32 v6, v5, s33
	v_mul_lo_u32 v8, v5, s54
	s_delay_alu instid0(VALU_DEP_4) | instskip(NEXT) | instid1(VALU_DEP_4)
	v_mad_co_u64_u32 v[10:11], null, s2, v7, v[0:1]
	v_mad_co_u64_u32 v[11:12], null, s2, v9, v[0:1]
	v_lshlrev_b64_e32 v[12:13], 3, v[1:2]
	v_ashrrev_i32_e32 v7, 31, v6
	v_ashrrev_i32_e32 v9, 31, v8
	v_mul_lo_u32 v5, v10, s33
	v_mul_lo_u32 v10, v10, s54
	;; [unrolled: 1-line block ×3, first 2 shown]
	v_lshlrev_b64_e32 v[18:19], 3, v[6:7]
	v_mul_lo_u32 v16, v11, s54
	v_lshlrev_b64_e32 v[7:8], 3, v[8:9]
	v_add_co_u32 v12, vcc_lo, s12, v12
	v_ashrrev_i32_e32 v6, 31, v5
	s_wait_alu 0xfffd
	v_add_co_ci_u32_e64 v13, null, s13, v13, vcc_lo
	v_ashrrev_i32_e32 v15, 31, v14
	v_add_co_u32 v18, vcc_lo, s6, v18
	v_ashrrev_i32_e32 v11, 31, v10
	s_wait_alu 0xfffd
	v_add_co_ci_u32_e64 v19, null, s7, v19, vcc_lo
	v_lshlrev_b64_e32 v[5:6], 3, v[5:6]
	v_add_co_u32 v21, vcc_lo, s8, v7
	v_ashrrev_i32_e32 v17, 31, v16
	s_wait_alu 0xfffd
	v_add_co_ci_u32_e64 v22, null, s9, v8, vcc_lo
	v_lshlrev_b64_e32 v[7:8], 3, v[14:15]
	v_lshlrev_b64_e32 v[9:10], 3, v[10:11]
	v_lshlrev_b64_e32 v[14:15], 3, v[16:17]
	v_add_co_u32 v5, vcc_lo, s6, v5
	s_wait_alu 0xfffd
	v_add_co_ci_u32_e64 v6, null, s7, v6, vcc_lo
	v_add_co_u32 v16, vcc_lo, s6, v7
	s_wait_alu 0xfffd
	v_add_co_ci_u32_e64 v17, null, s7, v8, vcc_lo
	;; [unrolled: 3-line block ×4, first 2 shown]
	s_clause 0x2
	global_load_b64 v[19:20], v[18:19], off
	global_load_b64 v[7:8], v[5:6], off
	;; [unrolled: 1-line block ×3, first 2 shown]
	s_clause 0x2
	global_load_b64 v[21:22], v[21:22], off
	global_load_b64 v[9:10], v[9:10], off
	;; [unrolled: 1-line block ×4, first 2 shown]
	s_and_not1_b32 vcc_lo, exec_lo, s58
	s_wait_alu 0xfffe
	s_cbranch_vccz .LBB32_2
; %bb.5:                                ;   in Loop: Header=BB32_4 Depth=1
	v_mov_b32_e32 v11, 0
	v_mov_b32_e32 v27, 0
	v_dual_mov_b32 v25, 0 :: v_dual_mov_b32 v12, 0
	v_dual_mov_b32 v23, 0 :: v_dual_mov_b32 v28, 0
	;; [unrolled: 1-line block ×4, first 2 shown]
	v_mov_b32_e32 v14, 0
	v_mov_b32_e32 v30, 0
	s_branch .LBB32_3
.LBB32_6:
	s_endpgm
	.section	.rodata,"a",@progbits
	.p2align	6, 0x0
	.amdhsa_kernel _ZN2at6native12_GLOBAL__N_16kernel16gru_cell_forwardIddiLi1EEEvNS_4cuda6detail10TensorInfoIT_T1_EES9_S9_S9_S9_S9_S9_S8_S8_
		.amdhsa_group_segment_fixed_size 0
		.amdhsa_private_segment_fixed_size 0
		.amdhsa_kernarg_size 1776
		.amdhsa_user_sgpr_count 2
		.amdhsa_user_sgpr_dispatch_ptr 0
		.amdhsa_user_sgpr_queue_ptr 0
		.amdhsa_user_sgpr_kernarg_segment_ptr 1
		.amdhsa_user_sgpr_dispatch_id 0
		.amdhsa_user_sgpr_private_segment_size 0
		.amdhsa_wavefront_size32 1
		.amdhsa_uses_dynamic_stack 0
		.amdhsa_enable_private_segment 0
		.amdhsa_system_sgpr_workgroup_id_x 1
		.amdhsa_system_sgpr_workgroup_id_y 0
		.amdhsa_system_sgpr_workgroup_id_z 0
		.amdhsa_system_sgpr_workgroup_info 0
		.amdhsa_system_vgpr_workitem_id 0
		.amdhsa_next_free_vgpr 45
		.amdhsa_next_free_sgpr 68
		.amdhsa_reserve_vcc 1
		.amdhsa_float_round_mode_32 0
		.amdhsa_float_round_mode_16_64 0
		.amdhsa_float_denorm_mode_32 3
		.amdhsa_float_denorm_mode_16_64 3
		.amdhsa_fp16_overflow 0
		.amdhsa_workgroup_processor_mode 1
		.amdhsa_memory_ordered 1
		.amdhsa_forward_progress 1
		.amdhsa_inst_pref_size 30
		.amdhsa_round_robin_scheduling 0
		.amdhsa_exception_fp_ieee_invalid_op 0
		.amdhsa_exception_fp_denorm_src 0
		.amdhsa_exception_fp_ieee_div_zero 0
		.amdhsa_exception_fp_ieee_overflow 0
		.amdhsa_exception_fp_ieee_underflow 0
		.amdhsa_exception_fp_ieee_inexact 0
		.amdhsa_exception_int_div_zero 0
	.end_amdhsa_kernel
	.section	.text._ZN2at6native12_GLOBAL__N_16kernel16gru_cell_forwardIddiLi1EEEvNS_4cuda6detail10TensorInfoIT_T1_EES9_S9_S9_S9_S9_S9_S8_S8_,"axG",@progbits,_ZN2at6native12_GLOBAL__N_16kernel16gru_cell_forwardIddiLi1EEEvNS_4cuda6detail10TensorInfoIT_T1_EES9_S9_S9_S9_S9_S9_S8_S8_,comdat
.Lfunc_end32:
	.size	_ZN2at6native12_GLOBAL__N_16kernel16gru_cell_forwardIddiLi1EEEvNS_4cuda6detail10TensorInfoIT_T1_EES9_S9_S9_S9_S9_S9_S8_S8_, .Lfunc_end32-_ZN2at6native12_GLOBAL__N_16kernel16gru_cell_forwardIddiLi1EEEvNS_4cuda6detail10TensorInfoIT_T1_EES9_S9_S9_S9_S9_S9_S8_S8_
                                        ; -- End function
	.set _ZN2at6native12_GLOBAL__N_16kernel16gru_cell_forwardIddiLi1EEEvNS_4cuda6detail10TensorInfoIT_T1_EES9_S9_S9_S9_S9_S9_S8_S8_.num_vgpr, 45
	.set _ZN2at6native12_GLOBAL__N_16kernel16gru_cell_forwardIddiLi1EEEvNS_4cuda6detail10TensorInfoIT_T1_EES9_S9_S9_S9_S9_S9_S8_S8_.num_agpr, 0
	.set _ZN2at6native12_GLOBAL__N_16kernel16gru_cell_forwardIddiLi1EEEvNS_4cuda6detail10TensorInfoIT_T1_EES9_S9_S9_S9_S9_S9_S8_S8_.numbered_sgpr, 68
	.set _ZN2at6native12_GLOBAL__N_16kernel16gru_cell_forwardIddiLi1EEEvNS_4cuda6detail10TensorInfoIT_T1_EES9_S9_S9_S9_S9_S9_S8_S8_.num_named_barrier, 0
	.set _ZN2at6native12_GLOBAL__N_16kernel16gru_cell_forwardIddiLi1EEEvNS_4cuda6detail10TensorInfoIT_T1_EES9_S9_S9_S9_S9_S9_S8_S8_.private_seg_size, 0
	.set _ZN2at6native12_GLOBAL__N_16kernel16gru_cell_forwardIddiLi1EEEvNS_4cuda6detail10TensorInfoIT_T1_EES9_S9_S9_S9_S9_S9_S8_S8_.uses_vcc, 1
	.set _ZN2at6native12_GLOBAL__N_16kernel16gru_cell_forwardIddiLi1EEEvNS_4cuda6detail10TensorInfoIT_T1_EES9_S9_S9_S9_S9_S9_S8_S8_.uses_flat_scratch, 0
	.set _ZN2at6native12_GLOBAL__N_16kernel16gru_cell_forwardIddiLi1EEEvNS_4cuda6detail10TensorInfoIT_T1_EES9_S9_S9_S9_S9_S9_S8_S8_.has_dyn_sized_stack, 0
	.set _ZN2at6native12_GLOBAL__N_16kernel16gru_cell_forwardIddiLi1EEEvNS_4cuda6detail10TensorInfoIT_T1_EES9_S9_S9_S9_S9_S9_S8_S8_.has_recursion, 0
	.set _ZN2at6native12_GLOBAL__N_16kernel16gru_cell_forwardIddiLi1EEEvNS_4cuda6detail10TensorInfoIT_T1_EES9_S9_S9_S9_S9_S9_S8_S8_.has_indirect_call, 0
	.section	.AMDGPU.csdata,"",@progbits
; Kernel info:
; codeLenInByte = 3804
; TotalNumSgprs: 70
; NumVgprs: 45
; ScratchSize: 0
; MemoryBound: 0
; FloatMode: 240
; IeeeMode: 1
; LDSByteSize: 0 bytes/workgroup (compile time only)
; SGPRBlocks: 0
; VGPRBlocks: 5
; NumSGPRsForWavesPerEU: 70
; NumVGPRsForWavesPerEU: 45
; Occupancy: 16
; WaveLimiterHint : 1
; COMPUTE_PGM_RSRC2:SCRATCH_EN: 0
; COMPUTE_PGM_RSRC2:USER_SGPR: 2
; COMPUTE_PGM_RSRC2:TRAP_HANDLER: 0
; COMPUTE_PGM_RSRC2:TGID_X_EN: 1
; COMPUTE_PGM_RSRC2:TGID_Y_EN: 0
; COMPUTE_PGM_RSRC2:TGID_Z_EN: 0
; COMPUTE_PGM_RSRC2:TIDIG_COMP_CNT: 0
	.section	.text._ZN2at6native12_GLOBAL__N_16kernel16gru_cell_forwardIddiLi2EEEvNS_4cuda6detail10TensorInfoIT_T1_EES9_S9_S9_S9_S9_S9_S8_S8_,"axG",@progbits,_ZN2at6native12_GLOBAL__N_16kernel16gru_cell_forwardIddiLi2EEEvNS_4cuda6detail10TensorInfoIT_T1_EES9_S9_S9_S9_S9_S9_S8_S8_,comdat
	.globl	_ZN2at6native12_GLOBAL__N_16kernel16gru_cell_forwardIddiLi2EEEvNS_4cuda6detail10TensorInfoIT_T1_EES9_S9_S9_S9_S9_S9_S8_S8_ ; -- Begin function _ZN2at6native12_GLOBAL__N_16kernel16gru_cell_forwardIddiLi2EEEvNS_4cuda6detail10TensorInfoIT_T1_EES9_S9_S9_S9_S9_S9_S8_S8_
	.p2align	8
	.type	_ZN2at6native12_GLOBAL__N_16kernel16gru_cell_forwardIddiLi2EEEvNS_4cuda6detail10TensorInfoIT_T1_EES9_S9_S9_S9_S9_S9_S8_S8_,@function
_ZN2at6native12_GLOBAL__N_16kernel16gru_cell_forwardIddiLi2EEEvNS_4cuda6detail10TensorInfoIT_T1_EES9_S9_S9_S9_S9_S9_S8_S8_: ; @_ZN2at6native12_GLOBAL__N_16kernel16gru_cell_forwardIddiLi2EEEvNS_4cuda6detail10TensorInfoIT_T1_EES9_S9_S9_S9_S9_S9_S8_S8_
; %bb.0:
	s_clause 0x1
	s_load_b32 s2, s[0:1], 0x5fc
	s_load_b64 s[4:5], s[0:1], 0x5e8
	s_mov_b32 s3, exec_lo
	s_wait_kmcnt 0x0
	s_and_b32 s2, s2, 0xffff
	s_delay_alu instid0(SALU_CYCLE_1) | instskip(NEXT) | instid1(VALU_DEP_1)
	v_mad_co_u64_u32 v[0:1], null, ttmp9, s2, v[0:1]
	v_cmpx_gt_i32_e64 s5, v0
	s_cbranch_execz .LBB33_6
; %bb.1:
	s_clause 0x1
	s_load_b64 s[6:7], s[0:1], 0x1b0
	s_load_b32 s33, s[0:1], 0xc
	s_add_nc_u64 s[16:17], s[0:1], 0x5f0
	s_clause 0x5
	s_load_b32 s66, s[0:1], 0xe4
	s_load_b64 s[8:9], s[0:1], 0x0
	s_load_b64 s[10:11], s[0:1], 0x6c
	;; [unrolled: 1-line block ×4, first 2 shown]
	s_load_b32 s67, s[0:1], 0x21c
	s_load_b32 s75, s[16:17], 0x0
	s_clause 0x7
	s_load_b64 s[16:17], s[0:1], 0x288
	s_load_b32 s68, s[0:1], 0x2f4
	s_load_b64 s[18:19], s[0:1], 0x360
	s_load_b32 s3, s[0:1], 0x36c
	s_load_b32 s30, s[0:1], 0x444
	s_load_b64 s[20:21], s[0:1], 0x3cc
	s_load_b64 s[22:23], s[0:1], 0x438
	;; [unrolled: 1-line block ×3, first 2 shown]
	s_mov_b32 s36, 0x3b39803f
	s_mov_b32 s38, 0xfca7ab0c
	;; [unrolled: 1-line block ×13, first 2 shown]
	s_wait_kmcnt 0x0
	s_mul_i32 s75, s75, s2
	s_cmp_lg_u64 s[6:7], 0
	s_mov_b32 s74, 0
	s_cselect_b32 s69, -1, 0
	s_abs_i32 s70, s4
	s_abs_i32 s71, s33
	s_cvt_f32_u32 s26, s70
	s_cvt_f32_u32 s27, s71
	s_abs_i32 s72, s66
	s_abs_i32 s78, s3
	v_rcp_iflag_f32_e32 v1, s26
	v_rcp_iflag_f32_e32 v2, s27
	s_clause 0x2
	s_load_b64 s[26:27], s[0:1], 0x510
	s_load_b32 s73, s[0:1], 0x51c
	s_load_b64 s[28:29], s[0:1], 0x57c
	s_cvt_f32_u32 s0, s72
	s_cvt_f32_u32 s31, s78
	s_sub_co_i32 s2, 0, s70
	s_abs_i32 s79, s30
	s_wait_alu 0xfffe
	v_rcp_iflag_f32_e32 v3, s0
	s_sub_co_i32 s35, 0, s71
	s_ashr_i32 s87, s30, 31
	v_readfirstlane_b32 s0, v1
	v_readfirstlane_b32 s1, v2
	v_rcp_iflag_f32_e32 v1, s31
	s_sub_co_i32 s95, 0, s30
	s_ashr_i32 s76, s4, 31
	s_mul_f32 s0, s0, 0x4f7ffffe
	s_mul_f32 s1, s1, 0x4f7ffffe
	v_readfirstlane_b32 s34, v3
	s_ashr_i32 s77, s33, 31
	s_wait_alu 0xfffe
	s_cvt_u32_f32 s0, s0
	s_cvt_u32_f32 s1, s1
	s_wait_kmcnt 0x0
	s_abs_i32 s82, s73
	s_mul_f32 s31, s34, 0x4f7ffffe
	s_wait_alu 0xfffe
	s_mul_i32 s2, s2, s0
	s_mul_i32 s35, s35, s1
	s_wait_alu 0xfffe
	s_mul_hi_u32 s2, s0, s2
	s_mul_hi_u32 s34, s1, s35
	s_wait_alu 0xfffe
	s_add_co_i32 s80, s0, s2
	s_cvt_f32_u32 s0, s79
	s_cvt_f32_u32 s2, s82
	s_add_co_i32 s81, s1, s34
	v_readfirstlane_b32 s1, v1
	s_wait_alu 0xfffe
	v_rcp_iflag_f32_e32 v1, s0
	v_rcp_iflag_f32_e32 v2, s2
	s_cvt_u32_f32 s0, s31
	s_sub_co_i32 s31, 0, s72
	s_mul_f32 s1, s1, 0x4f7ffffe
	s_ashr_i32 s83, s66, 31
	s_wait_alu 0xfffe
	s_mul_i32 s31, s31, s0
	s_ashr_i32 s85, s3, 31
	s_cvt_u32_f32 s1, s1
	s_wait_alu 0xfffe
	s_mul_hi_u32 s2, s0, s31
	v_readfirstlane_b32 s34, v1
	s_sub_co_i32 s31, 0, s78
	s_wait_alu 0xfffe
	s_add_co_i32 s84, s0, s2
	v_readfirstlane_b32 s0, v2
	s_mul_i32 s31, s31, s1
	s_ashr_i32 s89, s73, 31
	s_wait_alu 0xfffe
	s_mul_hi_u32 s2, s1, s31
	s_mul_f32 s31, s34, 0x4f7ffffe
	s_mul_f32 s0, s0, 0x4f7ffffe
	s_wait_alu 0xfffe
	s_add_co_i32 s86, s1, s2
	s_sub_co_i32 s2, 0, s79
	s_cvt_u32_f32 s1, s31
	s_cvt_u32_f32 s0, s0
	s_sub_co_i32 s31, 0, s82
	s_mov_b32 s34, 0xfefa39ef
	s_wait_alu 0xfffe
	s_mul_i32 s2, s2, s1
	s_mul_i32 s31, s31, s0
	s_wait_alu 0xfffe
	s_mul_hi_u32 s2, s1, s2
	s_lshl_b32 s91, s4, 1
	s_wait_alu 0xfffe
	s_add_co_i32 s88, s1, s2
	s_mul_hi_u32 s1, s0, s31
	s_mov_b32 s30, 0x652b82fe
	s_wait_alu 0xfffe
	s_add_co_i32 s90, s0, s1
	s_lshl_b32 s92, s4, 2
	s_sub_co_i32 s93, 0, s4
	s_sub_co_i32 s94, 0, s3
	s_mov_b32 s31, 0xbff71547
	s_mov_b32 s35, 0xbfe62e42
	;; [unrolled: 1-line block ×17, first 2 shown]
	s_branch .LBB33_4
.LBB33_2:                               ;   in Loop: Header=BB33_4 Depth=1
	v_sub_nc_u32_e32 v13, v29, v30
	s_wait_loadcnt 0x0
	v_mad_co_u64_u32 v[11:12], null, s93, v31, v[0:1]
	s_delay_alu instid0(VALU_DEP_2) | instskip(SKIP_1) | instid1(VALU_DEP_3)
	v_mul_lo_u32 v15, s4, v13
	v_add_nc_u32_e32 v13, 2, v13
	v_mul_lo_u32 v12, v11, s67
	v_mul_lo_u32 v14, v11, s68
	s_delay_alu instid0(VALU_DEP_3) | instskip(SKIP_1) | instid1(VALU_DEP_4)
	v_mad_co_u64_u32 v[21:22], null, s4, v13, v[0:1]
	v_add3_u32 v16, v15, s4, v0
	v_ashrrev_i32_e32 v13, 31, v12
	s_delay_alu instid0(VALU_DEP_2) | instskip(NEXT) | instid1(VALU_DEP_4)
	v_mul_lo_u32 v11, v16, s67
	v_mul_lo_u32 v22, v21, s67
	;; [unrolled: 1-line block ×4, first 2 shown]
	v_lshlrev_b64_e32 v[34:35], 3, v[12:13]
	v_ashrrev_i32_e32 v15, 31, v14
	v_ashrrev_i32_e32 v12, 31, v11
	;; [unrolled: 1-line block ×5, first 2 shown]
	v_lshlrev_b64_e32 v[13:14], 3, v[14:15]
	v_lshlrev_b64_e32 v[11:12], 3, v[11:12]
	;; [unrolled: 1-line block ×3, first 2 shown]
	v_add_co_u32 v15, vcc_lo, s6, v34
	s_wait_alu 0xfffd
	v_add_co_ci_u32_e64 v16, null, s7, v35, vcc_lo
	v_lshlrev_b64_e32 v[23:24], 3, v[24:25]
	v_add_co_u32 v11, vcc_lo, s6, v11
	s_wait_alu 0xfffd
	v_add_co_ci_u32_e64 v12, null, s7, v12, vcc_lo
	v_add_co_u32 v21, vcc_lo, s6, v21
	v_lshlrev_b64_e32 v[25:26], 3, v[32:33]
	s_wait_alu 0xfffd
	v_add_co_ci_u32_e64 v22, null, s7, v22, vcc_lo
	v_add_co_u32 v13, vcc_lo, s16, v13
	s_wait_alu 0xfffd
	v_add_co_ci_u32_e64 v14, null, s17, v14, vcc_lo
	v_add_co_u32 v32, vcc_lo, s16, v23
	;; [unrolled: 3-line block ×3, first 2 shown]
	s_wait_alu 0xfffd
	v_add_co_ci_u32_e64 v35, null, s17, v26, vcc_lo
	s_clause 0x2
	global_load_b64 v[25:26], v[15:16], off
	global_load_b64 v[11:12], v[11:12], off
	;; [unrolled: 1-line block ×3, first 2 shown]
	s_clause 0x2
	global_load_b64 v[23:24], v[13:14], off
	global_load_b64 v[13:14], v[32:33], off
	;; [unrolled: 1-line block ×3, first 2 shown]
.LBB33_3:                               ;   in Loop: Header=BB33_4 Depth=1
	s_wait_loadcnt 0x3
	v_add_f64_e32 v[17:18], v[17:18], v[19:20]
	v_add_f64_e32 v[15:16], v[3:4], v[15:16]
	s_wait_loadcnt 0x0
	v_add_f64_e32 v[3:4], v[5:6], v[21:22]
	s_mov_b32 s58, s30
	s_mov_b32 s61, s35
	v_add_f64_e32 v[7:8], v[7:8], v[9:10]
	v_lshlrev_b32_e32 v30, 2, v30
	v_lshlrev_b32_e32 v29, 2, v29
	v_mul_lo_u32 v31, s92, v31
	v_xor_b32_e32 v28, s87, v28
	s_delay_alu instid0(VALU_DEP_3) | instskip(SKIP_2) | instid1(VALU_DEP_2)
	v_sub_nc_u32_e32 v29, v30, v29
	v_add_f64_e32 v[17:18], v[17:18], v[25:26]
	v_add_f64_e32 v[7:8], v[7:8], v[11:12]
	;; [unrolled: 1-line block ×3, first 2 shown]
	s_delay_alu instid0(VALU_DEP_2) | instskip(NEXT) | instid1(VALU_DEP_2)
	v_add_f64_e32 v[7:8], v[7:8], v[13:14]
	v_mul_f64_e32 v[19:20], s[30:31], v[17:18]
	v_cmp_nlt_f64_e64 s0, 0x4090cc00, v[17:18]
	s_delay_alu instid0(VALU_DEP_2) | instskip(NEXT) | instid1(VALU_DEP_1)
	v_rndne_f64_e32 v[19:20], v[19:20]
	v_fma_f64 v[23:24], v[19:20], s[34:35], -v[17:18]
	v_cvt_i32_f64_e32 v32, v[19:20]
	s_delay_alu instid0(VALU_DEP_2) | instskip(NEXT) | instid1(VALU_DEP_1)
	v_fma_f64 v[23:24], v[19:20], s[36:37], v[23:24]
	v_fma_f64 v[25:26], v[23:24], s[40:41], s[38:39]
	s_delay_alu instid0(VALU_DEP_1) | instskip(NEXT) | instid1(VALU_DEP_1)
	v_fma_f64 v[25:26], v[23:24], v[25:26], s[42:43]
	v_fma_f64 v[25:26], v[23:24], v[25:26], s[44:45]
	s_delay_alu instid0(VALU_DEP_1) | instskip(NEXT) | instid1(VALU_DEP_1)
	;; [unrolled: 3-line block ×5, first 2 shown]
	v_fma_f64 v[25:26], v[23:24], v[25:26], 1.0
	v_fma_f64 v[19:20], v[23:24], v[25:26], 1.0
	s_delay_alu instid0(VALU_DEP_1) | instskip(NEXT) | instid1(VALU_DEP_1)
	v_ldexp_f64 v[19:20], v[19:20], v32
	v_add_f64_e32 v[19:20], 1.0, v[19:20]
	s_delay_alu instid0(VALU_DEP_1) | instskip(SKIP_1) | instid1(VALU_DEP_2)
	v_div_scale_f64 v[23:24], null, v[19:20], v[19:20], 1.0
	v_div_scale_f64 v[34:35], vcc_lo, 1.0, v[19:20], 1.0
	v_rcp_f64_e32 v[25:26], v[23:24]
	s_delay_alu instid0(TRANS32_DEP_1) | instskip(NEXT) | instid1(VALU_DEP_1)
	v_fma_f64 v[32:33], -v[23:24], v[25:26], 1.0
	v_fma_f64 v[25:26], v[25:26], v[32:33], v[25:26]
	s_delay_alu instid0(VALU_DEP_1) | instskip(NEXT) | instid1(VALU_DEP_1)
	v_fma_f64 v[32:33], -v[23:24], v[25:26], 1.0
	v_fma_f64 v[25:26], v[25:26], v[32:33], v[25:26]
	s_delay_alu instid0(VALU_DEP_1) | instskip(NEXT) | instid1(VALU_DEP_1)
	v_mul_f64_e32 v[32:33], v[34:35], v[25:26]
	v_fma_f64 v[23:24], -v[23:24], v[32:33], v[34:35]
	s_wait_alu 0xfffd
	s_delay_alu instid0(VALU_DEP_1) | instskip(SKIP_1) | instid1(VALU_DEP_2)
	v_div_fmas_f64 v[23:24], v[23:24], v[25:26], v[32:33]
	v_cmp_ngt_f64_e32 vcc_lo, 0xc0900000, v[17:18]
	v_div_fixup_f64 v[19:20], v[23:24], v[19:20], 1.0
	s_wait_alu 0xfffd
	s_delay_alu instid0(VALU_DEP_1) | instskip(SKIP_2) | instid1(VALU_DEP_2)
	v_cndmask_b32_e32 v20, 0, v20, vcc_lo
	s_and_b32 vcc_lo, s0, vcc_lo
	s_wait_alu 0xfffe
	v_cndmask_b32_e32 v5, 0, v19, vcc_lo
	s_delay_alu instid0(VALU_DEP_2) | instskip(NEXT) | instid1(VALU_DEP_1)
	v_cndmask_b32_e64 v6, 0x3ff00000, v20, s0
	v_fma_f64 v[15:16], v[3:4], v[5:6], v[15:16]
	s_delay_alu instid0(VALU_DEP_1) | instskip(NEXT) | instid1(VALU_DEP_1)
	v_mul_f64_e64 v[17:18], |v[15:16]|, s[58:59]
	v_rndne_f64_e32 v[17:18], v[17:18]
	s_delay_alu instid0(VALU_DEP_1) | instskip(SKIP_1) | instid1(VALU_DEP_2)
	v_fma_f64 v[19:20], v[17:18], s[60:61], |v[15:16]|
	v_mul_f64_e32 v[21:22], s[62:63], v[17:18]
	v_add_f64_e32 v[23:24], 0, v[19:20]
	s_delay_alu instid0(VALU_DEP_1) | instskip(SKIP_1) | instid1(VALU_DEP_2)
	v_add_f64_e32 v[25:26], v[23:24], v[21:22]
	v_add_f64_e64 v[19:20], v[19:20], -v[23:24]
	v_add_f64_e64 v[23:24], v[23:24], -v[25:26]
	s_delay_alu instid0(VALU_DEP_2) | instskip(NEXT) | instid1(VALU_DEP_2)
	v_add_f64_e32 v[19:20], 0, v[19:20]
	v_add_f64_e32 v[21:22], v[23:24], v[21:22]
	s_delay_alu instid0(VALU_DEP_1) | instskip(SKIP_1) | instid1(VALU_DEP_2)
	v_add_f64_e32 v[19:20], v[19:20], v[21:22]
	v_mul_f64_e32 v[21:22], s[64:65], v[17:18]
	v_add_f64_e32 v[23:24], v[25:26], v[19:20]
	s_delay_alu instid0(VALU_DEP_1) | instskip(SKIP_1) | instid1(VALU_DEP_2)
	v_add_f64_e32 v[32:33], v[23:24], v[21:22]
	v_add_f64_e64 v[25:26], v[25:26], -v[23:24]
	v_add_f64_e64 v[23:24], v[23:24], -v[32:33]
	s_delay_alu instid0(VALU_DEP_2) | instskip(NEXT) | instid1(VALU_DEP_2)
	v_add_f64_e32 v[19:20], v[19:20], v[25:26]
	v_add_f64_e32 v[21:22], v[23:24], v[21:22]
	s_delay_alu instid0(VALU_DEP_1) | instskip(NEXT) | instid1(VALU_DEP_1)
	v_add_f64_e32 v[19:20], v[19:20], v[21:22]
	v_add_f64_e32 v[21:22], v[32:33], v[19:20]
	s_delay_alu instid0(VALU_DEP_1) | instskip(SKIP_2) | instid1(VALU_DEP_3)
	v_fma_f64 v[23:24], v[21:22], s[40:41], s[38:39]
	v_add_f64_e64 v[25:26], v[32:33], -v[21:22]
	v_mul_f64_e32 v[32:33], v[21:22], v[21:22]
	v_fma_f64 v[23:24], v[21:22], v[23:24], s[42:43]
	s_delay_alu instid0(VALU_DEP_3) | instskip(NEXT) | instid1(VALU_DEP_3)
	v_add_f64_e32 v[19:20], v[19:20], v[25:26]
	v_fma_f64 v[25:26], v[21:22], v[21:22], -v[32:33]
	s_delay_alu instid0(VALU_DEP_3) | instskip(NEXT) | instid1(VALU_DEP_3)
	v_fma_f64 v[23:24], v[21:22], v[23:24], s[44:45]
	v_add_f64_e32 v[34:35], v[19:20], v[19:20]
	s_delay_alu instid0(VALU_DEP_2) | instskip(NEXT) | instid1(VALU_DEP_2)
	v_fma_f64 v[23:24], v[21:22], v[23:24], s[46:47]
	v_fma_f64 v[25:26], v[21:22], v[34:35], v[25:26]
	s_delay_alu instid0(VALU_DEP_2) | instskip(NEXT) | instid1(VALU_DEP_2)
	v_fma_f64 v[23:24], v[21:22], v[23:24], s[48:49]
	v_add_f64_e32 v[34:35], v[32:33], v[25:26]
	s_delay_alu instid0(VALU_DEP_2) | instskip(NEXT) | instid1(VALU_DEP_2)
	v_fma_f64 v[23:24], v[21:22], v[23:24], s[50:51]
	v_add_f64_e64 v[32:33], v[34:35], -v[32:33]
	s_delay_alu instid0(VALU_DEP_2) | instskip(NEXT) | instid1(VALU_DEP_2)
	v_fma_f64 v[23:24], v[21:22], v[23:24], s[52:53]
	v_add_f64_e64 v[25:26], v[25:26], -v[32:33]
	s_delay_alu instid0(VALU_DEP_2) | instskip(NEXT) | instid1(VALU_DEP_1)
	v_fma_f64 v[23:24], v[21:22], v[23:24], s[54:55]
	v_fma_f64 v[23:24], v[21:22], v[23:24], s[56:57]
	s_delay_alu instid0(VALU_DEP_1) | instskip(NEXT) | instid1(VALU_DEP_1)
	v_mul_f64_e32 v[36:37], v[34:35], v[23:24]
	v_fma_f64 v[32:33], v[34:35], v[23:24], -v[36:37]
	s_delay_alu instid0(VALU_DEP_1) | instskip(NEXT) | instid1(VALU_DEP_1)
	v_fma_f64 v[23:24], v[25:26], v[23:24], v[32:33]
	v_add_f64_e32 v[25:26], v[36:37], v[23:24]
	s_delay_alu instid0(VALU_DEP_1) | instskip(SKIP_1) | instid1(VALU_DEP_2)
	v_add_f64_e32 v[32:33], v[21:22], v[25:26]
	v_add_f64_e64 v[34:35], v[25:26], -v[36:37]
	v_add_f64_e64 v[21:22], v[32:33], -v[21:22]
	s_delay_alu instid0(VALU_DEP_2) | instskip(SKIP_1) | instid1(VALU_DEP_3)
	v_add_f64_e64 v[23:24], v[23:24], -v[34:35]
	v_cvt_i32_f64_e32 v34, v[17:18]
	v_add_f64_e64 v[21:22], v[25:26], -v[21:22]
	s_delay_alu instid0(VALU_DEP_3) | instskip(NEXT) | instid1(VALU_DEP_1)
	v_add_f64_e32 v[19:20], v[19:20], v[23:24]
	v_add_f64_e32 v[19:20], v[19:20], v[21:22]
	s_delay_alu instid0(VALU_DEP_1) | instskip(NEXT) | instid1(VALU_DEP_1)
	v_add_f64_e32 v[21:22], v[32:33], v[19:20]
	v_add_f64_e32 v[23:24], 1.0, v[21:22]
	v_add_f64_e64 v[25:26], v[21:22], -v[32:33]
	s_delay_alu instid0(VALU_DEP_2) | instskip(NEXT) | instid1(VALU_DEP_2)
	v_add_f64_e32 v[32:33], -1.0, v[23:24]
	v_add_f64_e64 v[19:20], v[19:20], -v[25:26]
	s_delay_alu instid0(VALU_DEP_2) | instskip(NEXT) | instid1(VALU_DEP_1)
	v_add_f64_e64 v[21:22], v[21:22], -v[32:33]
	v_add_f64_e32 v[19:20], v[19:20], v[21:22]
	s_delay_alu instid0(VALU_DEP_1) | instskip(NEXT) | instid1(VALU_DEP_1)
	v_add_f64_e32 v[17:18], v[23:24], v[19:20]
	v_ldexp_f64 v[21:22], v[17:18], v34
	v_add_f64_e64 v[17:18], v[17:18], -v[23:24]
	s_delay_alu instid0(VALU_DEP_2) | instskip(NEXT) | instid1(VALU_DEP_1)
	v_rcp_f64_e32 v[25:26], v[21:22]
	v_add_f64_e64 v[17:18], v[19:20], -v[17:18]
	s_delay_alu instid0(VALU_DEP_1) | instskip(NEXT) | instid1(TRANS32_DEP_1)
	v_ldexp_f64 v[17:18], v[17:18], v34
	v_fma_f64 v[32:33], -v[21:22], v[25:26], 1.0
	s_delay_alu instid0(VALU_DEP_1) | instskip(NEXT) | instid1(VALU_DEP_1)
	v_fma_f64 v[25:26], v[32:33], v[25:26], v[25:26]
	v_fma_f64 v[32:33], -v[21:22], v[25:26], 1.0
	s_delay_alu instid0(VALU_DEP_1) | instskip(NEXT) | instid1(VALU_DEP_1)
	v_fma_f64 v[23:24], v[32:33], v[25:26], v[25:26]
	v_mul_f64_e32 v[19:20], v[21:22], v[23:24]
	s_delay_alu instid0(VALU_DEP_1) | instskip(NEXT) | instid1(VALU_DEP_1)
	v_fma_f64 v[25:26], v[23:24], v[21:22], -v[19:20]
	v_fma_f64 v[25:26], v[23:24], v[17:18], v[25:26]
	s_delay_alu instid0(VALU_DEP_1) | instskip(NEXT) | instid1(VALU_DEP_1)
	v_add_f64_e32 v[32:33], v[19:20], v[25:26]
	v_add_f64_e64 v[34:35], -v[32:33], 1.0
	v_add_f64_e64 v[19:20], v[32:33], -v[19:20]
	s_delay_alu instid0(VALU_DEP_2) | instskip(NEXT) | instid1(VALU_DEP_2)
	v_add_f64_e64 v[36:37], -v[34:35], 1.0
	v_add_f64_e64 v[19:20], v[19:20], -v[25:26]
	s_delay_alu instid0(VALU_DEP_2) | instskip(NEXT) | instid1(VALU_DEP_1)
	v_add_f64_e64 v[25:26], v[36:37], -v[32:33]
	v_add_f64_e32 v[19:20], v[19:20], v[25:26]
	s_delay_alu instid0(VALU_DEP_1) | instskip(NEXT) | instid1(VALU_DEP_1)
	v_add_f64_e32 v[25:26], v[34:35], v[19:20]
	v_mul_f64_e32 v[32:33], v[23:24], v[25:26]
	v_add_f64_e64 v[34:35], v[34:35], -v[25:26]
	s_delay_alu instid0(VALU_DEP_2) | instskip(NEXT) | instid1(VALU_DEP_2)
	v_mul_f64_e32 v[36:37], v[21:22], v[32:33]
	v_add_f64_e32 v[19:20], v[19:20], v[34:35]
	v_add_f64_e32 v[9:10], v[23:24], v[32:33]
	s_delay_alu instid0(VALU_DEP_3) | instskip(NEXT) | instid1(VALU_DEP_2)
	v_fma_f64 v[38:39], v[32:33], v[21:22], -v[36:37]
	v_add_f64_e64 v[11:12], v[9:10], -v[23:24]
	s_delay_alu instid0(VALU_DEP_2) | instskip(NEXT) | instid1(VALU_DEP_2)
	v_fma_f64 v[38:39], v[32:33], v[17:18], v[38:39]
	v_add_f64_e64 v[11:12], v[32:33], -v[11:12]
	s_delay_alu instid0(VALU_DEP_2) | instskip(NEXT) | instid1(VALU_DEP_1)
	v_add_f64_e32 v[40:41], v[36:37], v[38:39]
	v_add_f64_e64 v[42:43], v[25:26], -v[40:41]
	v_add_f64_e64 v[34:35], v[40:41], -v[36:37]
	s_delay_alu instid0(VALU_DEP_2) | instskip(NEXT) | instid1(VALU_DEP_2)
	v_add_f64_e64 v[25:26], v[25:26], -v[42:43]
	v_add_f64_e64 v[34:35], v[34:35], -v[38:39]
	s_delay_alu instid0(VALU_DEP_2) | instskip(NEXT) | instid1(VALU_DEP_1)
	v_add_f64_e64 v[25:26], v[25:26], -v[40:41]
	v_add_f64_e32 v[19:20], v[19:20], v[25:26]
	s_delay_alu instid0(VALU_DEP_1) | instskip(NEXT) | instid1(VALU_DEP_1)
	v_add_f64_e32 v[19:20], v[34:35], v[19:20]
	v_add_f64_e32 v[19:20], v[42:43], v[19:20]
	s_delay_alu instid0(VALU_DEP_1) | instskip(SKIP_1) | instid1(VALU_DEP_2)
	v_mul_f64_e32 v[13:14], v[23:24], v[19:20]
	v_mul_f64_e32 v[19:20], s[30:31], v[7:8]
	v_add_f64_e32 v[11:12], v[11:12], v[13:14]
	s_delay_alu instid0(VALU_DEP_2) | instskip(NEXT) | instid1(VALU_DEP_2)
	v_rndne_f64_e32 v[13:14], v[19:20]
	v_add_f64_e32 v[19:20], v[9:10], v[11:12]
	s_delay_alu instid0(VALU_DEP_2) | instskip(SKIP_1) | instid1(VALU_DEP_3)
	v_fma_f64 v[23:24], v[13:14], s[34:35], -v[7:8]
	v_cvt_i32_f64_e32 v40, v[13:14]
	v_add_f64_e32 v[25:26], v[21:22], v[19:20]
	v_add_f64_e64 v[9:10], v[19:20], -v[9:10]
	s_delay_alu instid0(VALU_DEP_4) | instskip(SKIP_1) | instid1(VALU_DEP_4)
	v_fma_f64 v[23:24], v[13:14], s[36:37], v[23:24]
	v_add_f64_e64 v[36:37], v[21:22], -v[19:20]
	v_add_f64_e64 v[32:33], v[25:26], -v[21:22]
	s_delay_alu instid0(VALU_DEP_4) | instskip(NEXT) | instid1(VALU_DEP_4)
	v_add_f64_e64 v[9:10], v[11:12], -v[9:10]
	v_fma_f64 v[11:12], v[23:24], s[40:41], s[38:39]
	s_delay_alu instid0(VALU_DEP_4) | instskip(NEXT) | instid1(VALU_DEP_4)
	v_add_f64_e64 v[21:22], v[21:22], -v[36:37]
	v_add_f64_e64 v[32:33], v[19:20], -v[32:33]
	s_delay_alu instid0(VALU_DEP_4) | instskip(NEXT) | instid1(VALU_DEP_4)
	v_add_f64_e32 v[34:35], v[17:18], v[9:10]
	v_fma_f64 v[11:12], v[23:24], v[11:12], s[42:43]
	s_delay_alu instid0(VALU_DEP_4) | instskip(NEXT) | instid1(VALU_DEP_3)
	v_add_f64_e64 v[19:20], v[21:22], -v[19:20]
	v_add_f64_e32 v[32:33], v[34:35], v[32:33]
	s_delay_alu instid0(VALU_DEP_3) | instskip(NEXT) | instid1(VALU_DEP_3)
	v_fma_f64 v[11:12], v[23:24], v[11:12], s[44:45]
	v_add_f64_e32 v[17:18], v[17:18], v[19:20]
	s_delay_alu instid0(VALU_DEP_3) | instskip(NEXT) | instid1(VALU_DEP_3)
	v_add_f64_e32 v[34:35], v[25:26], v[32:33]
	v_fma_f64 v[11:12], v[23:24], v[11:12], s[46:47]
	s_delay_alu instid0(VALU_DEP_3) | instskip(NEXT) | instid1(VALU_DEP_3)
	v_add_f64_e64 v[9:10], v[17:18], -v[9:10]
	v_rcp_f64_e32 v[38:39], v[34:35]
	s_delay_alu instid0(VALU_DEP_2) | instskip(SKIP_1) | instid1(VALU_DEP_2)
	v_fma_f64 v[11:12], v[23:24], v[11:12], s[48:49]
	v_add_f64_e64 v[25:26], v[34:35], -v[25:26]
	v_fma_f64 v[11:12], v[23:24], v[11:12], s[50:51]
	s_delay_alu instid0(TRANS32_DEP_1) | instskip(NEXT) | instid1(VALU_DEP_3)
	v_fma_f64 v[21:22], -v[34:35], v[38:39], 1.0
	v_add_f64_e64 v[13:14], v[32:33], -v[25:26]
	s_delay_alu instid0(VALU_DEP_3) | instskip(NEXT) | instid1(VALU_DEP_3)
	v_fma_f64 v[11:12], v[23:24], v[11:12], s[52:53]
	v_fma_f64 v[19:20], v[21:22], v[38:39], v[38:39]
	v_add_f64_e32 v[21:22], v[36:37], v[9:10]
	s_delay_alu instid0(VALU_DEP_3) | instskip(NEXT) | instid1(VALU_DEP_3)
	v_fma_f64 v[11:12], v[23:24], v[11:12], s[54:55]
	v_fma_f64 v[17:18], -v[34:35], v[19:20], 1.0
	s_delay_alu instid0(VALU_DEP_2) | instskip(NEXT) | instid1(VALU_DEP_2)
	v_fma_f64 v[11:12], v[23:24], v[11:12], s[56:57]
	v_fma_f64 v[17:18], v[17:18], v[19:20], v[19:20]
	s_delay_alu instid0(VALU_DEP_2) | instskip(NEXT) | instid1(VALU_DEP_2)
	v_fma_f64 v[11:12], v[23:24], v[11:12], 1.0
	v_mul_f64_e32 v[19:20], v[21:22], v[17:18]
	s_delay_alu instid0(VALU_DEP_2) | instskip(NEXT) | instid1(VALU_DEP_2)
	v_fma_f64 v[11:12], v[23:24], v[11:12], 1.0
	v_mul_f64_e32 v[38:39], v[34:35], v[19:20]
	s_delay_alu instid0(VALU_DEP_2) | instskip(NEXT) | instid1(VALU_DEP_2)
	v_ldexp_f64 v[11:12], v[11:12], v40
	v_fma_f64 v[23:24], v[19:20], v[34:35], -v[38:39]
	s_delay_alu instid0(VALU_DEP_2) | instskip(NEXT) | instid1(VALU_DEP_2)
	v_add_f64_e32 v[11:12], 1.0, v[11:12]
	v_fma_f64 v[13:14], v[19:20], v[13:14], v[23:24]
	s_delay_alu instid0(VALU_DEP_2) | instskip(NEXT) | instid1(VALU_DEP_2)
	v_div_scale_f64 v[25:26], null, v[11:12], v[11:12], 1.0
	v_add_f64_e32 v[23:24], v[38:39], v[13:14]
	s_delay_alu instid0(VALU_DEP_2) | instskip(NEXT) | instid1(VALU_DEP_1)
	v_rcp_f64_e32 v[34:35], v[25:26]
	v_add_f64_e64 v[32:33], v[21:22], -v[23:24]
	v_add_f64_e64 v[38:39], v[23:24], -v[38:39]
	s_delay_alu instid0(VALU_DEP_2) | instskip(NEXT) | instid1(TRANS32_DEP_1)
	v_add_f64_e64 v[40:41], v[21:22], -v[32:33]
	v_fma_f64 v[42:43], -v[25:26], v[34:35], 1.0
	v_add_f64_e64 v[21:22], v[21:22], -v[36:37]
	s_delay_alu instid0(VALU_DEP_4)
	v_add_f64_e64 v[13:14], v[13:14], -v[38:39]
	v_or_b32_e32 v36, 2, v29
	v_or_b32_e32 v37, 3, v29
	v_add_f64_e64 v[23:24], v[40:41], -v[23:24]
	v_fma_f64 v[34:35], v[34:35], v[42:43], v[34:35]
	v_add_f64_e64 v[9:10], v[9:10], -v[21:22]
	s_delay_alu instid0(VALU_DEP_3) | instskip(NEXT) | instid1(VALU_DEP_3)
	v_add_f64_e64 v[13:14], v[23:24], -v[13:14]
	v_fma_f64 v[21:22], -v[25:26], v[34:35], 1.0
	s_delay_alu instid0(VALU_DEP_2) | instskip(SKIP_1) | instid1(VALU_DEP_3)
	v_add_f64_e32 v[9:10], v[9:10], v[13:14]
	v_div_scale_f64 v[13:14], vcc_lo, 1.0, v[11:12], 1.0
	v_fma_f64 v[21:22], v[34:35], v[21:22], v[34:35]
	v_add_nc_u32_e32 v34, v0, v31
	v_or_b32_e32 v35, 1, v29
	v_add_f64_e32 v[9:10], v[32:33], v[9:10]
	v_mul_hi_u32 v32, v27, s88
	v_mul_f64_e32 v[23:24], v[13:14], v[21:22]
	s_delay_alu instid0(VALU_DEP_2) | instskip(SKIP_1) | instid1(VALU_DEP_2)
	v_mul_lo_u32 v30, v32, s79
	v_add_nc_u32_e32 v33, 1, v32
	v_sub_nc_u32_e32 v27, v27, v30
	s_delay_alu instid0(VALU_DEP_1) | instskip(SKIP_1) | instid1(VALU_DEP_1)
	v_cmp_le_u32_e64 s0, s79, v27
	s_wait_alu 0xf1ff
	v_cndmask_b32_e64 v32, v32, v33, s0
	v_subrev_nc_u32_e32 v33, s79, v27
	s_delay_alu instid0(VALU_DEP_1) | instskip(NEXT) | instid1(VALU_DEP_3)
	v_cndmask_b32_e64 v27, v27, v33, s0
	v_add_nc_u32_e32 v33, 1, v32
	v_mul_f64_e32 v[9:10], v[17:18], v[9:10]
	v_ashrrev_i32_e32 v18, 31, v34
	s_delay_alu instid0(VALU_DEP_4)
	v_cmp_le_u32_e64 s0, s79, v27
	v_fma_f64 v[13:14], -v[25:26], v[23:24], v[13:14]
	v_mul_lo_u32 v34, s4, v36
	v_mul_lo_u32 v25, s4, v37
	v_xor_b32_e32 v30, s89, v18
	s_wait_alu 0xf1ff
	v_cndmask_b32_e64 v27, v32, v33, s0
	v_cmp_nlt_f64_e64 s0, 0x40331000, |v[15:16]|
	s_delay_alu instid0(VALU_DEP_2) | instskip(SKIP_3) | instid1(VALU_DEP_3)
	v_xor_b32_e32 v27, v27, v28
	v_add_f64_e32 v[9:10], v[19:20], v[9:10]
	s_wait_alu 0xfffd
	v_div_fmas_f64 v[13:14], v[13:14], v[21:22], v[23:24]
	v_sub_nc_u32_e32 v24, v27, v28
	s_delay_alu instid0(VALU_DEP_2) | instskip(SKIP_3) | instid1(VALU_DEP_3)
	v_div_fixup_f64 v[11:12], v[13:14], v[11:12], 1.0
	v_add_nc_u32_e32 v17, 4, v29
	v_mul_lo_u32 v29, s4, v35
	v_add_nc_u32_e32 v36, v0, v25
	v_mul_lo_u32 v26, s4, v17
	v_add3_u32 v17, v18, v31, v0
	s_delay_alu instid0(VALU_DEP_3) | instskip(NEXT) | instid1(VALU_DEP_2)
	v_ashrrev_i32_e32 v36, 31, v36
	v_xor_b32_e32 v17, v17, v18
	v_add_nc_u32_e32 v18, v0, v29
	v_add_nc_u32_e32 v37, v0, v26
	s_delay_alu instid0(VALU_DEP_4)
	v_add3_u32 v42, v36, v25, v0
	v_xor_b32_e32 v41, s89, v36
	v_mul_hi_u32 v38, v17, s90
	v_ashrrev_i32_e32 v18, 31, v18
	v_ashrrev_i32_e32 v37, 31, v37
	v_xor_b32_e32 v22, v42, v36
	s_delay_alu instid0(VALU_DEP_3)
	v_add3_u32 v33, v18, v29, v0
	v_xor_b32_e32 v32, s89, v18
	v_mul_lo_u32 v45, v38, s82
	v_add_nc_u32_e32 v19, 1, v38
	v_add3_u32 v44, v37, v26, v0
	v_xor_b32_e32 v20, v33, v18
	v_xor_b32_e32 v43, s89, v37
	s_delay_alu instid0(VALU_DEP_3) | instskip(SKIP_3) | instid1(VALU_DEP_4)
	v_xor_b32_e32 v23, v44, v37
	v_sub_nc_u32_e32 v33, v17, v45
	v_mad_co_u64_u32 v[17:18], null, s95, v24, v[0:1]
	v_mul_hi_u32 v27, v20, s90
	v_mul_hi_u32 v36, v23, s90
	s_delay_alu instid0(VALU_DEP_4) | instskip(NEXT) | instid1(VALU_DEP_4)
	v_cmp_le_u32_e32 vcc_lo, s82, v33
	v_mul_lo_u32 v17, v17, s25
	s_wait_alu 0xfffd
	v_cndmask_b32_e32 v18, v38, v19, vcc_lo
	v_subrev_nc_u32_e32 v19, s82, v33
	v_mul_lo_u32 v37, v27, s82
	v_mul_lo_u32 v46, v36, s82
	v_add_nc_u32_e32 v38, 1, v27
	v_add_nc_u32_e32 v47, 1, v36
	v_cndmask_b32_e32 v19, v33, v19, vcc_lo
	v_add_nc_u32_e32 v33, 1, v18
	s_delay_alu instid0(VALU_DEP_2) | instskip(SKIP_4) | instid1(VALU_DEP_3)
	v_cmp_le_u32_e32 vcc_lo, s82, v19
	v_add_nc_u32_e32 v35, v0, v34
	v_sub_nc_u32_e32 v19, v20, v37
	s_wait_alu 0xfffd
	v_cndmask_b32_e32 v18, v18, v33, vcc_lo
	v_ashrrev_i32_e32 v35, 31, v35
	v_cmp_gt_f64_e64 vcc_lo, 0x3e400000, |v[15:16]|
	s_wait_alu 0xf1ff
	v_cndmask_b32_e64 v33, 0, v9, s0
	v_subrev_nc_u32_e32 v14, s82, v19
	v_add3_u32 v40, v35, v34, v0
	v_xor_b32_e32 v39, s89, v35
	s_delay_alu instid0(VALU_DEP_2) | instskip(SKIP_1) | instid1(VALU_DEP_2)
	v_xor_b32_e32 v21, v40, v35
	v_mul_hi_u32 v35, v22, s90
	v_mul_hi_u32 v28, v21, s90
	s_delay_alu instid0(VALU_DEP_2) | instskip(SKIP_1) | instid1(VALU_DEP_3)
	v_mul_lo_u32 v44, v35, s82
	v_add_nc_u32_e32 v45, 1, v35
	v_mul_lo_u32 v40, v28, s82
	v_add_nc_u32_e32 v42, 1, v28
	s_delay_alu instid0(VALU_DEP_2)
	v_sub_nc_u32_e32 v20, v21, v40
	v_sub_nc_u32_e32 v21, v22, v44
	;; [unrolled: 1-line block ×3, first 2 shown]
	v_cndmask_b32_e64 v23, 0x3ff00000, v10, s0
	v_mad_co_u64_u32 v[9:10], null, v24, s24, v[17:18]
	v_xor_b32_e32 v10, v18, v30
	v_cmp_le_u32_e64 s0, s82, v19
	v_cmp_le_u32_e64 s1, s82, v20
	v_subrev_nc_u32_e32 v18, s82, v20
	v_cmp_le_u32_e64 s2, s82, v21
	v_sub_nc_u32_e32 v30, v10, v30
	s_wait_alu 0xf1ff
	v_cndmask_b32_e64 v13, v27, v38, s0
	v_cndmask_b32_e64 v10, v19, v14, s0
	;; [unrolled: 1-line block ×4, first 2 shown]
	v_subrev_nc_u32_e32 v27, s82, v21
	v_add_nc_u32_e32 v14, 1, v13
	v_cmp_le_u32_e64 s0, s82, v10
	v_add_nc_u32_e32 v19, 1, v17
	v_cndmask_b32_e64 v24, v35, v45, s2
	v_cmp_le_u32_e64 s3, s82, v22
	v_subrev_nc_u32_e32 v35, s82, v22
	s_wait_alu 0xf1ff
	v_cndmask_b32_e64 v10, v13, v14, s0
	v_cmp_le_u32_e64 s0, s82, v18
	v_cndmask_b32_e64 v20, v21, v27, s2
	v_cndmask_b32_e64 v28, v36, v47, s3
	v_add_nc_u32_e32 v21, 1, v24
	v_cndmask_b32_e64 v22, v22, v35, s3
	s_wait_alu 0xf1ff
	v_cndmask_b32_e64 v13, v17, v19, s0
	v_and_b32_e32 v17, 0x7fffffff, v16
	v_cmp_le_u32_e64 s0, s82, v20
	v_add_nc_u32_e32 v27, 1, v28
	v_xor_b32_e32 v10, v10, v32
	v_xor_b32_e32 v19, v13, v39
	s_wait_alu 0xfffd
	v_cndmask_b32_e32 v13, v33, v15, vcc_lo
	v_cndmask_b32_e32 v15, v23, v17, vcc_lo
	v_cmp_ngt_f64_e32 vcc_lo, 0xc0900000, v[7:8]
	s_wait_alu 0xf1ff
	v_cndmask_b32_e64 v14, v24, v21, s0
	v_cmp_le_u32_e64 s0, s82, v22
	v_mul_lo_u32 v35, v30, s73
	v_sub_nc_u32_e32 v20, v10, v32
	v_sub_nc_u32_e32 v23, v19, v39
	v_xor_b32_e32 v17, v14, v41
	s_wait_alu 0xf1ff
	v_cndmask_b32_e64 v18, v28, v27, s0
	v_cmp_nlt_f64_e64 s0, 0x4090cc00, v[7:8]
	v_bfi_b32 v14, 0x7fffffff, v15, v16
	v_mul_lo_u32 v10, v20, s73
	v_sub_nc_u32_e32 v15, v31, v35
	v_sub_nc_u32_e32 v24, v17, v41
	s_delay_alu instid0(VALU_DEP_4) | instskip(NEXT) | instid1(VALU_DEP_2)
	v_add_f64_e64 v[7:8], v[1:2], -v[13:14]
	v_mul_lo_u32 v16, v24, s73
	s_delay_alu instid0(VALU_DEP_1)
	v_sub_nc_u32_e32 v21, v25, v16
	s_wait_alu 0xfffd
	v_cndmask_b32_e32 v22, 0, v12, vcc_lo
	v_xor_b32_e32 v12, v18, v43
	v_sub_nc_u32_e32 v18, v29, v10
	v_ashrrev_i32_e32 v10, 31, v9
	s_delay_alu instid0(VALU_DEP_3)
	v_sub_nc_u32_e32 v27, v12, v43
	v_add_nc_u32_e32 v12, v0, v15
	v_mul_lo_u32 v15, v23, s73
	v_add_nc_u32_e32 v18, v0, v18
	s_and_b32 vcc_lo, s0, vcc_lo
	v_mul_lo_u32 v17, v27, s73
	v_mul_lo_u32 v12, v12, s29
	s_wait_alu 0xfffe
	v_cndmask_b32_e32 v11, 0, v11, vcc_lo
	v_lshlrev_b64_e32 v[9:10], 3, v[9:10]
	v_sub_nc_u32_e32 v19, v34, v15
	v_sub_nc_u32_e32 v17, v26, v17
	v_mad_co_u64_u32 v[15:16], null, v30, s28, v[12:13]
	v_mul_lo_u32 v12, v18, s29
	s_delay_alu instid0(VALU_DEP_4) | instskip(SKIP_4) | instid1(VALU_DEP_4)
	v_add_nc_u32_e32 v16, v0, v19
	v_add_nc_u32_e32 v19, v0, v21
	;; [unrolled: 1-line block ×4, first 2 shown]
	v_add_co_u32 v9, vcc_lo, s22, v9
	v_mul_lo_u32 v18, v19, s29
	s_delay_alu instid0(VALU_DEP_4)
	v_mul_lo_u32 v19, v21, s29
	v_mad_co_u64_u32 v[20:21], null, v20, s28, v[12:13]
	v_cndmask_b32_e64 v12, 0x3ff00000, v22, s0
	v_mul_lo_u32 v17, v16, s29
	v_ashrrev_i32_e32 v16, 31, v15
	s_wait_alu 0xfffd
	v_add_co_ci_u32_e64 v10, null, s23, v10, vcc_lo
	v_fma_f64 v[7:8], v[11:12], v[7:8], v[13:14]
	v_ashrrev_i32_e32 v21, 31, v20
	v_lshlrev_b64_e32 v[15:16], 3, v[15:16]
	v_cmp_le_i32_e32 vcc_lo, s5, v0
	v_mad_co_u64_u32 v[22:23], null, v23, s28, v[17:18]
	v_mad_co_u64_u32 v[17:18], null, v24, s28, v[18:19]
	v_mad_co_u64_u32 v[24:25], null, v27, s28, v[19:20]
	v_lshlrev_b64_e32 v[19:20], 3, v[20:21]
	v_add_co_u32 v15, s0, s26, v15
	v_ashrrev_i32_e32 v23, 31, v22
	v_ashrrev_i32_e32 v18, 31, v17
	s_wait_alu 0xf1ff
	v_add_co_ci_u32_e64 v16, null, s27, v16, s0
	v_ashrrev_i32_e32 v25, 31, v24
	v_lshlrev_b64_e32 v[21:22], 3, v[22:23]
	v_lshlrev_b64_e32 v[17:18], 3, v[17:18]
	v_add_co_u32 v19, s0, s26, v19
	s_delay_alu instid0(VALU_DEP_4)
	v_lshlrev_b64_e32 v[23:24], 3, v[24:25]
	s_wait_alu 0xf1ff
	v_add_co_ci_u32_e64 v20, null, s27, v20, s0
	v_add_co_u32 v21, s0, s26, v21
	s_wait_alu 0xf1ff
	v_add_co_ci_u32_e64 v22, null, s27, v22, s0
	v_add_co_u32 v17, s0, s26, v17
	s_wait_alu 0xf1ff
	v_add_co_ci_u32_e64 v18, null, s27, v18, s0
	v_add_co_u32 v23, s0, s26, v23
	s_or_b32 s74, vcc_lo, s74
	v_add_co_ci_u32_e64 v24, null, s27, v24, s0
	global_store_b64 v[9:10], v[7:8], off
	s_clause 0x4
	global_store_b64 v[15:16], v[5:6], off
	global_store_b64 v[19:20], v[11:12], off
	;; [unrolled: 1-line block ×5, first 2 shown]
	s_wait_alu 0xfffe
	s_and_not1_b32 exec_lo, exec_lo, s74
	s_cbranch_execz .LBB33_6
.LBB33_4:                               ; =>This Inner Loop Header: Depth=1
	v_sub_nc_u32_e32 v1, 0, v0
	v_ashrrev_i32_e32 v28, 31, v0
	s_delay_alu instid0(VALU_DEP_2) | instskip(NEXT) | instid1(VALU_DEP_2)
	v_max_i32_e32 v27, v0, v1
	v_xor_b32_e32 v29, s76, v28
	v_xor_b32_e32 v8, s85, v28
	s_delay_alu instid0(VALU_DEP_3) | instskip(NEXT) | instid1(VALU_DEP_1)
	v_mul_hi_u32 v1, v27, s80
	v_mul_lo_u32 v2, v1, s70
	s_delay_alu instid0(VALU_DEP_1) | instskip(NEXT) | instid1(VALU_DEP_1)
	v_sub_nc_u32_e32 v2, v27, v2
	v_subrev_nc_u32_e32 v4, s70, v2
	v_cmp_le_u32_e32 vcc_lo, s70, v2
	s_wait_alu 0xfffd
	s_delay_alu instid0(VALU_DEP_2) | instskip(NEXT) | instid1(VALU_DEP_1)
	v_dual_cndmask_b32 v2, v2, v4 :: v_dual_add_nc_u32 v3, 1, v1
	v_cndmask_b32_e32 v1, v1, v3, vcc_lo
	v_mul_hi_u32 v3, v27, s86
	s_delay_alu instid0(VALU_DEP_3) | instskip(NEXT) | instid1(VALU_DEP_3)
	v_cmp_le_u32_e32 vcc_lo, s70, v2
	v_add_nc_u32_e32 v4, 1, v1
	s_delay_alu instid0(VALU_DEP_3) | instskip(SKIP_1) | instid1(VALU_DEP_2)
	v_mul_lo_u32 v2, v3, s78
	v_add_nc_u32_e32 v5, 1, v3
	v_sub_nc_u32_e32 v2, v27, v2
	s_delay_alu instid0(VALU_DEP_1)
	v_subrev_nc_u32_e32 v6, s78, v2
	s_wait_alu 0xfffd
	v_cndmask_b32_e32 v1, v1, v4, vcc_lo
	v_cmp_le_u32_e32 vcc_lo, s78, v2
	s_wait_alu 0xfffd
	v_cndmask_b32_e32 v2, v2, v6, vcc_lo
	s_delay_alu instid0(VALU_DEP_3) | instskip(SKIP_2) | instid1(VALU_DEP_4)
	v_xor_b32_e32 v30, v1, v29
	v_cndmask_b32_e32 v3, v3, v5, vcc_lo
	v_lshlrev_b32_e32 v1, 1, v29
	v_cmp_le_u32_e32 vcc_lo, s78, v2
	s_delay_alu instid0(VALU_DEP_4) | instskip(SKIP_1) | instid1(VALU_DEP_2)
	v_sub_nc_u32_e32 v31, v30, v29
	v_lshlrev_b32_e32 v4, 1, v30
	v_mul_lo_u32 v7, s91, v31
	s_delay_alu instid0(VALU_DEP_2) | instskip(NEXT) | instid1(VALU_DEP_1)
	v_sub_nc_u32_e32 v1, v4, v1
	v_or_b32_e32 v4, 1, v1
	v_add_nc_u32_e32 v1, 2, v1
	s_delay_alu instid0(VALU_DEP_4) | instskip(NEXT) | instid1(VALU_DEP_3)
	v_add_nc_u32_e32 v5, v0, v7
	v_mul_lo_u32 v4, s4, v4
	s_delay_alu instid0(VALU_DEP_3) | instskip(NEXT) | instid1(VALU_DEP_3)
	v_mul_lo_u32 v9, s4, v1
	v_ashrrev_i32_e32 v5, 31, v5
	s_delay_alu instid0(VALU_DEP_1) | instskip(SKIP_1) | instid1(VALU_DEP_2)
	v_add3_u32 v2, v5, v7, v0
	v_xor_b32_e32 v10, s77, v5
	v_xor_b32_e32 v2, v2, v5
	;; [unrolled: 1-line block ×3, first 2 shown]
	s_delay_alu instid0(VALU_DEP_2) | instskip(SKIP_1) | instid1(VALU_DEP_2)
	v_mul_hi_u32 v11, v2, s81
	v_mul_hi_u32 v14, v2, s84
	v_add_nc_u32_e32 v20, 1, v11
	v_add_nc_u32_e32 v6, 1, v3
	s_delay_alu instid0(VALU_DEP_3) | instskip(SKIP_1) | instid1(VALU_DEP_2)
	v_mul_lo_u32 v18, v14, s72
	s_wait_alu 0xfffd
	v_cndmask_b32_e32 v1, v3, v6, vcc_lo
	v_add_nc_u32_e32 v3, v0, v4
	v_add_nc_u32_e32 v6, v0, v9
	s_delay_alu instid0(VALU_DEP_3) | instskip(NEXT) | instid1(VALU_DEP_3)
	v_xor_b32_e32 v1, v1, v8
	v_ashrrev_i32_e32 v3, 31, v3
	s_delay_alu instid0(VALU_DEP_3) | instskip(NEXT) | instid1(VALU_DEP_2)
	v_ashrrev_i32_e32 v6, 31, v6
	v_add3_u32 v13, v3, v4, v0
	s_delay_alu instid0(VALU_DEP_2)
	v_add3_u32 v15, v6, v9, v0
	v_xor_b32_e32 v12, s77, v3
	v_xor_b32_e32 v16, s77, v6
	;; [unrolled: 1-line block ×6, first 2 shown]
	v_mul_lo_u32 v15, v11, s71
	s_delay_alu instid0(VALU_DEP_4) | instskip(SKIP_1) | instid1(VALU_DEP_4)
	v_mul_hi_u32 v19, v3, s81
	v_mul_hi_u32 v23, v3, s84
	;; [unrolled: 1-line block ×4, first 2 shown]
	v_sub_nc_u32_e32 v15, v2, v15
	v_sub_nc_u32_e32 v2, v2, v18
	v_mul_lo_u32 v18, v19, s71
	v_add_nc_u32_e32 v25, 1, v19
	v_mul_lo_u32 v26, v21, s71
	v_subrev_nc_u32_e32 v37, s71, v15
	v_cmp_le_u32_e32 vcc_lo, s71, v15
	v_add_nc_u32_e32 v22, 1, v14
	v_cmp_le_u32_e64 s0, s72, v2
	v_mul_lo_u32 v33, v23, s72
	v_sub_nc_u32_e32 v18, v3, v18
	s_wait_alu 0xfffd
	v_cndmask_b32_e32 v11, v11, v20, vcc_lo
	v_cndmask_b32_e32 v15, v15, v37, vcc_lo
	s_wait_alu 0xf1ff
	v_cndmask_b32_e64 v14, v14, v22, s0
	v_subrev_nc_u32_e32 v20, s72, v2
	v_sub_nc_u32_e32 v26, v6, v26
	v_add_nc_u32_e32 v22, 1, v11
	v_cmp_le_u32_e32 vcc_lo, s71, v15
	v_mul_lo_u32 v35, v24, s72
	v_cndmask_b32_e64 v2, v2, v20, s0
	v_cmp_le_u32_e64 s0, s71, v26
	v_add_nc_u32_e32 v20, 1, v14
	s_wait_alu 0xfffd
	v_cndmask_b32_e32 v11, v11, v22, vcc_lo
	v_cmp_le_u32_e32 vcc_lo, s71, v18
	v_add_nc_u32_e32 v34, 1, v23
	v_subrev_nc_u32_e32 v22, s71, v26
	v_sub_nc_u32_e32 v3, v3, v33
	v_xor_b32_e32 v11, v11, v10
	s_wait_alu 0xfffd
	v_cndmask_b32_e32 v15, v19, v25, vcc_lo
	v_subrev_nc_u32_e32 v19, s71, v18
	v_sub_nc_u32_e32 v6, v6, v35
	v_cmp_le_u32_e64 s1, s72, v2
	s_wait_alu 0xf1ff
	v_cndmask_b32_e64 v22, v26, v22, s0
	v_sub_nc_u32_e32 v10, v11, v10
	v_cndmask_b32_e32 v18, v18, v19, vcc_lo
	v_add_nc_u32_e32 v19, 1, v15
	v_cndmask_b32_e64 v2, v14, v20, s1
	v_cmp_le_u32_e64 s1, s72, v3
	v_subrev_nc_u32_e32 v20, s72, v3
	v_cmp_le_u32_e32 vcc_lo, s71, v18
	v_add_nc_u32_e32 v32, 1, v21
	v_cmp_le_u32_e64 s2, s72, v6
	s_wait_alu 0xf1ff
	v_cndmask_b32_e64 v14, v23, v34, s1
	v_cndmask_b32_e64 v3, v3, v20, s1
	s_wait_alu 0xfffd
	v_cndmask_b32_e32 v11, v15, v19, vcc_lo
	v_cndmask_b32_e64 v21, v21, v32, s0
	v_cmp_le_u32_e32 vcc_lo, s71, v22
	v_xor_b32_e32 v2, v2, v5
	v_add_nc_u32_e32 v20, 1, v14
	s_delay_alu instid0(VALU_DEP_4) | instskip(SKIP_1) | instid1(VALU_DEP_4)
	v_add_nc_u32_e32 v25, 1, v21
	v_add_nc_u32_e32 v36, 1, v24
	v_sub_nc_u32_e32 v18, v2, v5
	v_xor_b32_e32 v5, v11, v12
	s_wait_alu 0xfffd
	v_cndmask_b32_e32 v15, v21, v25, vcc_lo
	v_cndmask_b32_e64 v23, v24, v36, s2
	v_subrev_nc_u32_e32 v24, s72, v6
	v_cmp_le_u32_e32 vcc_lo, s72, v3
	v_sub_nc_u32_e32 v12, v5, v12
	v_xor_b32_e32 v11, v15, v16
	s_delay_alu instid0(VALU_DEP_4)
	v_cndmask_b32_e64 v6, v6, v24, s2
	v_add_nc_u32_e32 v24, 1, v23
	s_wait_alu 0xfffd
	v_cndmask_b32_e32 v2, v14, v20, vcc_lo
	v_mul_lo_u32 v14, v18, s66
	v_mul_lo_u32 v5, v12, s33
	v_cmp_le_u32_e32 vcc_lo, s72, v6
	v_mul_lo_u32 v6, v10, s33
	v_xor_b32_e32 v2, v2, v17
	v_sub_nc_u32_e32 v11, v11, v16
	s_wait_alu 0xfffd
	v_cndmask_b32_e32 v3, v23, v24, vcc_lo
	s_delay_alu instid0(VALU_DEP_3) | instskip(SKIP_2) | instid1(VALU_DEP_4)
	v_sub_nc_u32_e32 v15, v2, v17
	v_sub_nc_u32_e32 v5, v4, v5
	;; [unrolled: 1-line block ×3, first 2 shown]
	v_xor_b32_e32 v3, v3, v13
	v_mul_lo_u32 v6, v11, s33
	v_sub_nc_u32_e32 v17, v1, v8
	v_add_nc_u32_e32 v5, v0, v5
	v_add_nc_u32_e32 v2, v0, v2
	v_sub_nc_u32_e32 v16, v3, v13
	v_sub_nc_u32_e32 v3, v7, v14
	v_mul_lo_u32 v7, v15, s66
	s_delay_alu instid0(VALU_DEP_4) | instskip(NEXT) | instid1(VALU_DEP_4)
	v_mul_lo_u32 v1, v2, s11
	v_mul_lo_u32 v8, v16, s66
	s_delay_alu instid0(VALU_DEP_4) | instskip(SKIP_2) | instid1(VALU_DEP_3)
	v_add_nc_u32_e32 v3, v0, v3
	v_sub_nc_u32_e32 v6, v9, v6
	v_sub_nc_u32_e32 v4, v4, v7
	v_mul_lo_u32 v2, v3, s15
	v_mul_lo_u32 v3, v5, s11
	v_sub_nc_u32_e32 v7, v9, v8
	v_add_nc_u32_e32 v6, v0, v6
	v_add_nc_u32_e32 v8, v0, v4
	s_delay_alu instid0(VALU_DEP_3) | instskip(SKIP_1) | instid1(VALU_DEP_4)
	v_add_nc_u32_e32 v14, v0, v7
	v_mad_co_u64_u32 v[4:5], null, v10, s10, v[1:2]
	v_mul_lo_u32 v1, v6, s11
	v_mad_co_u64_u32 v[6:7], null, v18, s14, v[2:3]
	v_mul_lo_u32 v2, v8, s15
	s_delay_alu instid0(VALU_DEP_4) | instskip(SKIP_2) | instid1(VALU_DEP_4)
	v_ashrrev_i32_e32 v5, 31, v4
	v_mad_co_u64_u32 v[8:9], null, v12, s10, v[3:4]
	v_mad_co_u64_u32 v[12:13], null, s94, v17, v[0:1]
	;; [unrolled: 1-line block ×3, first 2 shown]
	s_delay_alu instid0(VALU_DEP_4) | instskip(SKIP_3) | instid1(VALU_DEP_4)
	v_lshlrev_b64_e32 v[3:4], 3, v[4:5]
	v_mul_lo_u32 v1, v14, s15
	v_ashrrev_i32_e32 v9, 31, v8
	v_ashrrev_i32_e32 v7, 31, v6
	v_mad_co_u64_u32 v[13:14], null, v15, s14, v[2:3]
	v_ashrrev_i32_e32 v11, 31, v10
	v_add_co_u32 v2, vcc_lo, s8, v3
	s_wait_alu 0xfffd
	v_add_co_ci_u32_e64 v3, null, s9, v4, vcc_lo
	s_delay_alu instid0(VALU_DEP_3)
	v_lshlrev_b64_e32 v[4:5], 3, v[10:11]
	v_mul_lo_u32 v10, v12, s21
	v_mad_co_u64_u32 v[11:12], null, v16, s14, v[1:2]
	v_lshlrev_b64_e32 v[8:9], 3, v[8:9]
	v_ashrrev_i32_e32 v14, 31, v13
	v_lshlrev_b64_e32 v[6:7], 3, v[6:7]
	s_delay_alu instid0(VALU_DEP_4) | instskip(NEXT) | instid1(VALU_DEP_4)
	v_mad_co_u64_u32 v[15:16], null, v17, s20, v[10:11]
	v_add_co_u32 v8, vcc_lo, s8, v8
	v_ashrrev_i32_e32 v12, 31, v11
	s_wait_alu 0xfffd
	v_add_co_ci_u32_e64 v9, null, s9, v9, vcc_lo
	v_add_co_u32 v4, vcc_lo, s8, v4
	v_lshlrev_b64_e32 v[13:14], 3, v[13:14]
	v_ashrrev_i32_e32 v16, 31, v15
	s_wait_alu 0xfffd
	v_add_co_ci_u32_e64 v5, null, s9, v5, vcc_lo
	v_add_co_u32 v19, vcc_lo, s12, v6
	s_wait_alu 0xfffd
	v_add_co_ci_u32_e64 v20, null, s13, v7, vcc_lo
	v_lshlrev_b64_e32 v[6:7], 3, v[11:12]
	v_add_co_u32 v10, vcc_lo, s12, v13
	v_lshlrev_b64_e32 v[12:13], 3, v[15:16]
	s_wait_alu 0xfffd
	v_add_co_ci_u32_e64 v11, null, s13, v14, vcc_lo
	s_delay_alu instid0(VALU_DEP_4)
	v_add_co_u32 v14, vcc_lo, s12, v6
	s_wait_alu 0xfffd
	v_add_co_ci_u32_e64 v15, null, s13, v7, vcc_lo
	v_add_co_u32 v12, vcc_lo, s18, v12
	s_wait_alu 0xfffd
	v_add_co_ci_u32_e64 v13, null, s19, v13, vcc_lo
	s_clause 0x2
	global_load_b64 v[17:18], v[2:3], off
	global_load_b64 v[7:8], v[8:9], off
	;; [unrolled: 1-line block ×3, first 2 shown]
	s_clause 0x2
	global_load_b64 v[19:20], v[19:20], off
	global_load_b64 v[9:10], v[10:11], off
	global_load_b64 v[5:6], v[14:15], off
	global_load_b64 v[1:2], v[12:13], off
	s_and_not1_b32 vcc_lo, exec_lo, s69
	s_wait_alu 0xfffe
	s_cbranch_vccz .LBB33_2
; %bb.5:                                ;   in Loop: Header=BB33_4 Depth=1
	v_mov_b32_e32 v11, 0
	v_mov_b32_e32 v23, 0
	v_dual_mov_b32 v21, 0 :: v_dual_mov_b32 v12, 0
	v_dual_mov_b32 v15, 0 :: v_dual_mov_b32 v24, 0
	;; [unrolled: 1-line block ×4, first 2 shown]
	v_mov_b32_e32 v14, 0
	v_mov_b32_e32 v26, 0
	s_branch .LBB33_3
.LBB33_6:
	s_endpgm
	.section	.rodata,"a",@progbits
	.p2align	6, 0x0
	.amdhsa_kernel _ZN2at6native12_GLOBAL__N_16kernel16gru_cell_forwardIddiLi2EEEvNS_4cuda6detail10TensorInfoIT_T1_EES9_S9_S9_S9_S9_S9_S8_S8_
		.amdhsa_group_segment_fixed_size 0
		.amdhsa_private_segment_fixed_size 0
		.amdhsa_kernarg_size 1776
		.amdhsa_user_sgpr_count 2
		.amdhsa_user_sgpr_dispatch_ptr 0
		.amdhsa_user_sgpr_queue_ptr 0
		.amdhsa_user_sgpr_kernarg_segment_ptr 1
		.amdhsa_user_sgpr_dispatch_id 0
		.amdhsa_user_sgpr_private_segment_size 0
		.amdhsa_wavefront_size32 1
		.amdhsa_uses_dynamic_stack 0
		.amdhsa_enable_private_segment 0
		.amdhsa_system_sgpr_workgroup_id_x 1
		.amdhsa_system_sgpr_workgroup_id_y 0
		.amdhsa_system_sgpr_workgroup_id_z 0
		.amdhsa_system_sgpr_workgroup_info 0
		.amdhsa_system_vgpr_workitem_id 0
		.amdhsa_next_free_vgpr 48
		.amdhsa_next_free_sgpr 96
		.amdhsa_reserve_vcc 1
		.amdhsa_float_round_mode_32 0
		.amdhsa_float_round_mode_16_64 0
		.amdhsa_float_denorm_mode_32 3
		.amdhsa_float_denorm_mode_16_64 3
		.amdhsa_fp16_overflow 0
		.amdhsa_workgroup_processor_mode 1
		.amdhsa_memory_ordered 1
		.amdhsa_forward_progress 1
		.amdhsa_inst_pref_size 46
		.amdhsa_round_robin_scheduling 0
		.amdhsa_exception_fp_ieee_invalid_op 0
		.amdhsa_exception_fp_denorm_src 0
		.amdhsa_exception_fp_ieee_div_zero 0
		.amdhsa_exception_fp_ieee_overflow 0
		.amdhsa_exception_fp_ieee_underflow 0
		.amdhsa_exception_fp_ieee_inexact 0
		.amdhsa_exception_int_div_zero 0
	.end_amdhsa_kernel
	.section	.text._ZN2at6native12_GLOBAL__N_16kernel16gru_cell_forwardIddiLi2EEEvNS_4cuda6detail10TensorInfoIT_T1_EES9_S9_S9_S9_S9_S9_S8_S8_,"axG",@progbits,_ZN2at6native12_GLOBAL__N_16kernel16gru_cell_forwardIddiLi2EEEvNS_4cuda6detail10TensorInfoIT_T1_EES9_S9_S9_S9_S9_S9_S8_S8_,comdat
.Lfunc_end33:
	.size	_ZN2at6native12_GLOBAL__N_16kernel16gru_cell_forwardIddiLi2EEEvNS_4cuda6detail10TensorInfoIT_T1_EES9_S9_S9_S9_S9_S9_S8_S8_, .Lfunc_end33-_ZN2at6native12_GLOBAL__N_16kernel16gru_cell_forwardIddiLi2EEEvNS_4cuda6detail10TensorInfoIT_T1_EES9_S9_S9_S9_S9_S9_S8_S8_
                                        ; -- End function
	.set _ZN2at6native12_GLOBAL__N_16kernel16gru_cell_forwardIddiLi2EEEvNS_4cuda6detail10TensorInfoIT_T1_EES9_S9_S9_S9_S9_S9_S8_S8_.num_vgpr, 48
	.set _ZN2at6native12_GLOBAL__N_16kernel16gru_cell_forwardIddiLi2EEEvNS_4cuda6detail10TensorInfoIT_T1_EES9_S9_S9_S9_S9_S9_S8_S8_.num_agpr, 0
	.set _ZN2at6native12_GLOBAL__N_16kernel16gru_cell_forwardIddiLi2EEEvNS_4cuda6detail10TensorInfoIT_T1_EES9_S9_S9_S9_S9_S9_S8_S8_.numbered_sgpr, 96
	.set _ZN2at6native12_GLOBAL__N_16kernel16gru_cell_forwardIddiLi2EEEvNS_4cuda6detail10TensorInfoIT_T1_EES9_S9_S9_S9_S9_S9_S8_S8_.num_named_barrier, 0
	.set _ZN2at6native12_GLOBAL__N_16kernel16gru_cell_forwardIddiLi2EEEvNS_4cuda6detail10TensorInfoIT_T1_EES9_S9_S9_S9_S9_S9_S8_S8_.private_seg_size, 0
	.set _ZN2at6native12_GLOBAL__N_16kernel16gru_cell_forwardIddiLi2EEEvNS_4cuda6detail10TensorInfoIT_T1_EES9_S9_S9_S9_S9_S9_S8_S8_.uses_vcc, 1
	.set _ZN2at6native12_GLOBAL__N_16kernel16gru_cell_forwardIddiLi2EEEvNS_4cuda6detail10TensorInfoIT_T1_EES9_S9_S9_S9_S9_S9_S8_S8_.uses_flat_scratch, 0
	.set _ZN2at6native12_GLOBAL__N_16kernel16gru_cell_forwardIddiLi2EEEvNS_4cuda6detail10TensorInfoIT_T1_EES9_S9_S9_S9_S9_S9_S8_S8_.has_dyn_sized_stack, 0
	.set _ZN2at6native12_GLOBAL__N_16kernel16gru_cell_forwardIddiLi2EEEvNS_4cuda6detail10TensorInfoIT_T1_EES9_S9_S9_S9_S9_S9_S8_S8_.has_recursion, 0
	.set _ZN2at6native12_GLOBAL__N_16kernel16gru_cell_forwardIddiLi2EEEvNS_4cuda6detail10TensorInfoIT_T1_EES9_S9_S9_S9_S9_S9_S8_S8_.has_indirect_call, 0
	.section	.AMDGPU.csdata,"",@progbits
; Kernel info:
; codeLenInByte = 5772
; TotalNumSgprs: 98
; NumVgprs: 48
; ScratchSize: 0
; MemoryBound: 0
; FloatMode: 240
; IeeeMode: 1
; LDSByteSize: 0 bytes/workgroup (compile time only)
; SGPRBlocks: 0
; VGPRBlocks: 5
; NumSGPRsForWavesPerEU: 98
; NumVGPRsForWavesPerEU: 48
; Occupancy: 16
; WaveLimiterHint : 1
; COMPUTE_PGM_RSRC2:SCRATCH_EN: 0
; COMPUTE_PGM_RSRC2:USER_SGPR: 2
; COMPUTE_PGM_RSRC2:TRAP_HANDLER: 0
; COMPUTE_PGM_RSRC2:TGID_X_EN: 1
; COMPUTE_PGM_RSRC2:TGID_Y_EN: 0
; COMPUTE_PGM_RSRC2:TGID_Z_EN: 0
; COMPUTE_PGM_RSRC2:TIDIG_COMP_CNT: 0
	.section	.text._ZN2at6native12_GLOBAL__N_16kernel16gru_cell_forwardIddlLi1EEEvNS_4cuda6detail10TensorInfoIT_T1_EES9_S9_S9_S9_S9_S9_S8_S8_,"axG",@progbits,_ZN2at6native12_GLOBAL__N_16kernel16gru_cell_forwardIddlLi1EEEvNS_4cuda6detail10TensorInfoIT_T1_EES9_S9_S9_S9_S9_S9_S8_S8_,comdat
	.globl	_ZN2at6native12_GLOBAL__N_16kernel16gru_cell_forwardIddlLi1EEEvNS_4cuda6detail10TensorInfoIT_T1_EES9_S9_S9_S9_S9_S9_S8_S8_ ; -- Begin function _ZN2at6native12_GLOBAL__N_16kernel16gru_cell_forwardIddlLi1EEEvNS_4cuda6detail10TensorInfoIT_T1_EES9_S9_S9_S9_S9_S9_S8_S8_
	.p2align	8
	.type	_ZN2at6native12_GLOBAL__N_16kernel16gru_cell_forwardIddlLi1EEEvNS_4cuda6detail10TensorInfoIT_T1_EES9_S9_S9_S9_S9_S9_S8_S8_,@function
_ZN2at6native12_GLOBAL__N_16kernel16gru_cell_forwardIddlLi1EEEvNS_4cuda6detail10TensorInfoIT_T1_EES9_S9_S9_S9_S9_S9_S8_S8_: ; @_ZN2at6native12_GLOBAL__N_16kernel16gru_cell_forwardIddlLi1EEEvNS_4cuda6detail10TensorInfoIT_T1_EES9_S9_S9_S9_S9_S9_S8_S8_
; %bb.0:
	s_clause 0x1
	s_load_b32 s2, s[0:1], 0xb7c
	s_load_b128 s[4:7], s[0:1], 0xb60
	v_mov_b32_e32 v1, 0
	s_wait_kmcnt 0x0
	s_and_b32 s26, s2, 0xffff
	s_mov_b32 s2, exec_lo
	s_delay_alu instid0(VALU_DEP_1) | instskip(SKIP_1) | instid1(VALU_DEP_1)
	v_mad_co_u64_u32 v[3:4], null, ttmp9, s26, v[0:1]
	v_mov_b32_e32 v4, v1
	v_cmpx_gt_i64_e64 s[6:7], v[3:4]
	s_cbranch_execz .LBB34_10
; %bb.1:
	s_clause 0x3
	s_load_b64 s[38:39], s[0:1], 0x750
	s_load_b64 s[40:41], s[0:1], 0x8f0
	;; [unrolled: 1-line block ×4, first 2 shown]
	s_add_nc_u64 s[16:17], s[0:1], 0xb70
	s_clause 0x4
	s_load_b64 s[2:3], s[0:1], 0x340
	s_load_b64 s[8:9], s[0:1], 0x0
	;; [unrolled: 1-line block ×5, first 2 shown]
	s_load_b32 s30, s[16:17], 0x0
	s_clause 0x4
	s_load_b64 s[16:17], s[0:1], 0x410
	s_load_b64 s[18:19], s[0:1], 0x4e0
	;; [unrolled: 1-line block ×5, first 2 shown]
	s_mov_b32 s27, 0
	s_mov_b32 s46, 0xfefa39ef
	s_wait_alu 0xfffe
	s_mov_b32 s31, s27
	s_mov_b32 s48, 0x3b39803f
	;; [unrolled: 1-line block ×7, first 2 shown]
	s_wait_kmcnt 0x0
	s_cmp_lg_u64 s[2:3], 0
	s_mov_b32 s60, 0x1852b7b0
	s_cselect_b32 s33, -1, 0
	s_mov_b32 s62, 0x11122322
	s_mov_b32 s64, 0x555502a1
	v_mul_lo_u32 v0, 0, s38
	v_mul_lo_u32 v2, v3, s39
	v_mad_co_u64_u32 v[5:6], null, v3, s38, 0
	v_mul_lo_u32 v9, 0, s40
	v_mul_lo_u32 v10, v3, s41
	v_mad_co_u64_u32 v[7:8], null, v3, s40, 0
	s_mul_i32 s30, s30, s26
	s_mov_b32 s66, 0x55555511
	v_add3_u32 v6, v6, v2, v0
	v_cvt_f32_u32_e32 v0, s4
	s_mul_u64 s[0:1], s[30:31], s[38:39]
	s_mov_b32 s68, 11
	v_add3_u32 v8, v8, v10, v9
	v_lshlrev_b64_e32 v[5:6], 3, v[5:6]
	v_rcp_iflag_f32_e32 v0, v0
	s_wait_alu 0xfffe
	s_lshl_b64 s[38:39], s[0:1], 3
	s_mul_u64 s[0:1], s[30:31], s[40:41]
	v_lshlrev_b64_e32 v[7:8], 3, v[7:8]
	s_mov_b32 s74, 0xf278e000
	v_add_co_u32 v5, vcc_lo, s42, v5
	s_delay_alu instid0(VALU_DEP_1) | instskip(NEXT) | instid1(VALU_DEP_3)
	v_add_co_ci_u32_e64 v6, null, s43, v6, vcc_lo
	v_add_co_u32 v7, vcc_lo, s44, v7
	s_delay_alu instid0(TRANS32_DEP_1)
	v_mul_f32_e32 v0, 0x4f7ffffe, v0
	s_wait_alu 0xfffd
	v_add_co_ci_u32_e64 v8, null, s45, v8, vcc_lo
	s_mov_b32 s44, 0x652b82fe
	s_mov_b32 s76, 0xf97b57a0
	v_cvt_u32_f32_e32 v0, v0
	s_sub_nc_u64 s[28:29], 0, s[4:5]
	s_lshl_b64 s[34:35], s[4:5], 1
	s_lshl_b64 s[36:37], s[4:5], 2
	s_wait_alu 0xfffe
	s_lshl_b64 s[40:41], s[0:1], 3
	s_ashr_i32 s42, s5, 31
	s_mov_b32 s45, 0xbff71547
	s_mov_b32 s47, 0xbfe62e42
	;; [unrolled: 1-line block ×18, first 2 shown]
	s_branch .LBB34_5
.LBB34_2:                               ;   in Loop: Header=BB34_5 Depth=1
	s_wait_alu 0xfffe
	s_or_b32 exec_lo, exec_lo, s0
	s_delay_alu instid0(VALU_DEP_1) | instskip(SKIP_3) | instid1(VALU_DEP_4)
	v_lshlrev_b64_e32 v[13:14], 1, v[9:10]
	v_mad_co_u64_u32 v[11:12], null, s34, v9, v[3:4]
	v_mul_lo_u32 v2, s34, v10
	v_mul_lo_u32 v15, s35, v9
	v_or_b32_e32 v16, 1, v13
	v_mul_lo_u32 v17, s4, v14
	v_add_co_u32 v20, vcc_lo, v13, 2
	v_mul_lo_u32 v18, v11, s11
	s_delay_alu instid0(VALU_DEP_4) | instskip(SKIP_3) | instid1(VALU_DEP_3)
	v_mul_lo_u32 v19, s5, v16
	v_add3_u32 v2, v15, v12, v2
	v_mad_co_u64_u32 v[15:16], null, s4, v16, v[3:4]
	v_mad_co_u64_u32 v[12:13], null, v11, s10, 0
	v_mul_lo_u32 v21, v2, s10
	s_wait_alu 0xfffd
	v_add_co_ci_u32_e64 v14, null, 0, v14, vcc_lo
	v_mul_lo_u32 v22, s5, v20
	v_add3_u32 v23, v19, v16, v17
	v_mad_co_u64_u32 v[16:17], null, s4, v20, v[3:4]
	s_delay_alu instid0(VALU_DEP_4) | instskip(SKIP_1) | instid1(VALU_DEP_4)
	v_mul_lo_u32 v14, s4, v14
	v_add3_u32 v13, v13, v18, v21
	v_mul_lo_u32 v20, v23, s10
	v_mul_lo_u32 v21, v15, s11
	v_mad_co_u64_u32 v[18:19], null, v15, s10, 0
	v_mul_lo_u32 v25, v16, s11
	v_mul_lo_u32 v26, v11, s15
	v_add3_u32 v24, v22, v17, v14
	v_mul_lo_u32 v2, v2, s14
	v_lshlrev_b64_e32 v[12:13], 3, v[12:13]
	v_add3_u32 v19, v19, v21, v20
	s_delay_alu instid0(VALU_DEP_4) | instskip(SKIP_2) | instid1(VALU_DEP_4)
	v_mul_lo_u32 v14, v24, s10
	v_mad_co_u64_u32 v[21:22], null, v11, s14, 0
	v_mul_lo_u32 v11, v23, s14
	v_lshlrev_b64_e32 v[17:18], 3, v[18:19]
	v_mad_co_u64_u32 v[19:20], null, v16, s10, 0
	v_add_co_u32 v12, vcc_lo, s8, v12
	v_add3_u32 v22, v22, v26, v2
	v_mul_lo_u32 v2, v24, s14
	v_mul_lo_u32 v26, v16, s15
	v_mad_co_u64_u32 v[23:24], null, v16, s14, 0
	v_add3_u32 v20, v20, v25, v14
	v_mul_lo_u32 v25, v15, s15
	v_mad_co_u64_u32 v[14:15], null, v15, s14, 0
	v_lshlrev_b64_e32 v[21:22], 3, v[21:22]
	s_delay_alu instid0(VALU_DEP_4)
	v_lshlrev_b64_e32 v[19:20], 3, v[19:20]
	s_wait_alu 0xfffd
	v_add_co_ci_u32_e64 v13, null, s9, v13, vcc_lo
	v_add_co_u32 v17, vcc_lo, s8, v17
	v_add3_u32 v15, v15, v25, v11
	v_add3_u32 v24, v24, v26, v2
	s_wait_alu 0xfffd
	v_add_co_ci_u32_e64 v18, null, s9, v18, vcc_lo
	v_add_co_u32 v19, vcc_lo, s8, v19
	s_wait_alu 0xfffd
	v_add_co_ci_u32_e64 v20, null, s9, v20, vcc_lo
	v_lshlrev_b64_e32 v[14:15], 3, v[14:15]
	v_add_co_u32 v27, vcc_lo, s12, v21
	s_wait_alu 0xfffd
	v_add_co_ci_u32_e64 v28, null, s13, v22, vcc_lo
	v_lshlrev_b64_e32 v[21:22], 3, v[23:24]
	s_delay_alu instid0(VALU_DEP_4) | instskip(SKIP_2) | instid1(VALU_DEP_3)
	v_add_co_u32 v23, vcc_lo, s12, v14
	s_wait_alu 0xfffd
	v_add_co_ci_u32_e64 v24, null, s13, v15, vcc_lo
	v_add_co_u32 v29, vcc_lo, s12, v21
	s_wait_alu 0xfffd
	v_add_co_ci_u32_e64 v30, null, s13, v22, vcc_lo
	s_clause 0x2
	global_load_b64 v[25:26], v[12:13], off
	global_load_b64 v[13:14], v[17:18], off
	;; [unrolled: 1-line block ×3, first 2 shown]
	s_clause 0x2
	global_load_b64 v[27:28], v[27:28], off
	global_load_b64 v[15:16], v[23:24], off
	;; [unrolled: 1-line block ×4, first 2 shown]
	s_and_not1_b32 vcc_lo, exec_lo, s33
	s_wait_alu 0xfffe
	s_cbranch_vccnz .LBB34_9
; %bb.3:                                ;   in Loop: Header=BB34_5 Depth=1
	v_mad_co_u64_u32 v[17:18], null, s28, v9, v[3:4]
	v_mul_lo_u32 v2, s28, v10
	v_mul_lo_u32 v19, s29, v9
	v_sub_co_u32 v20, vcc_lo, 1, v9
	s_wait_alu 0xfffd
	v_sub_co_ci_u32_e64 v29, null, 0, v10, vcc_lo
	v_mul_lo_u32 v31, v17, s17
	s_delay_alu instid0(VALU_DEP_3)
	v_mul_lo_u32 v33, s5, v20
	v_mul_lo_u32 v40, v17, s21
	v_add3_u32 v2, v19, v18, v2
	v_mad_co_u64_u32 v[18:19], null, v17, s16, 0
	v_mul_lo_u32 v32, s4, v29
	v_mad_co_u64_u32 v[29:30], null, s4, v20, v[3:4]
	s_delay_alu instid0(VALU_DEP_4) | instskip(SKIP_1) | instid1(VALU_DEP_3)
	v_mul_lo_u32 v20, v2, s16
	v_mul_lo_u32 v2, v2, s20
	v_add3_u32 v37, v33, v30, v32
	s_delay_alu instid0(VALU_DEP_4) | instskip(NEXT) | instid1(VALU_DEP_4)
	v_mul_lo_u32 v35, v29, s17
	v_add3_u32 v19, v19, v31, v20
	v_sub_co_u32 v20, vcc_lo, 2, v9
	s_wait_alu 0xfffd
	v_sub_co_ci_u32_e64 v32, null, 0, v10, vcc_lo
	v_mul_lo_u32 v34, v37, s16
	s_delay_alu instid0(VALU_DEP_3) | instskip(SKIP_1) | instid1(VALU_DEP_4)
	v_mul_lo_u32 v38, s5, v20
	v_mad_co_u64_u32 v[30:31], null, v29, s16, 0
	v_mul_lo_u32 v36, s4, v32
	v_mad_co_u64_u32 v[32:33], null, s4, v20, v[3:4]
	v_mul_lo_u32 v41, v29, s21
	v_lshlrev_b64_e32 v[18:19], 3, v[18:19]
	v_add3_u32 v31, v31, v35, v34
	s_delay_alu instid0(VALU_DEP_4) | instskip(SKIP_3) | instid1(VALU_DEP_4)
	v_add3_u32 v20, v38, v33, v36
	v_mul_lo_u32 v39, v32, s17
	v_mad_co_u64_u32 v[33:34], null, v32, s16, 0
	v_mad_co_u64_u32 v[35:36], null, v17, s20, 0
	v_mul_lo_u32 v38, v20, s16
	v_mul_lo_u32 v17, v37, s20
	v_lshlrev_b64_e32 v[30:31], 3, v[30:31]
	v_add_co_u32 v18, vcc_lo, s2, v18
	s_wait_alu 0xfffd
	v_add_co_ci_u32_e64 v19, null, s3, v19, vcc_lo
	v_add3_u32 v36, v36, v40, v2
	v_add3_u32 v34, v34, v39, v38
	v_mad_co_u64_u32 v[37:38], null, v29, s20, 0
	v_mul_lo_u32 v2, v20, s20
	v_mul_lo_u32 v20, v32, s21
	v_mad_co_u64_u32 v[39:40], null, v32, s20, 0
	v_lshlrev_b64_e32 v[33:34], 3, v[33:34]
	v_lshlrev_b64_e32 v[35:36], 3, v[35:36]
	v_add3_u32 v38, v38, v41, v17
	v_add_co_u32 v30, vcc_lo, s2, v30
	s_wait_alu 0xfffd
	v_add_co_ci_u32_e64 v31, null, s3, v31, vcc_lo
	v_add3_u32 v40, v40, v20, v2
	v_add_co_u32 v32, vcc_lo, s2, v33
	v_lshlrev_b64_e32 v[37:38], 3, v[37:38]
	s_wait_alu 0xfffd
	v_add_co_ci_u32_e64 v33, null, s3, v34, vcc_lo
	v_add_co_u32 v41, vcc_lo, s18, v35
	v_lshlrev_b64_e32 v[34:35], 3, v[39:40]
	s_wait_alu 0xfffd
	v_add_co_ci_u32_e64 v42, null, s19, v36, vcc_lo
	v_add_co_u32 v37, vcc_lo, s18, v37
	s_wait_alu 0xfffd
	v_add_co_ci_u32_e64 v38, null, s19, v38, vcc_lo
	v_add_co_u32 v39, vcc_lo, s18, v34
	s_wait_alu 0xfffd
	v_add_co_ci_u32_e64 v40, null, s19, v35, vcc_lo
	s_clause 0x2
	global_load_b64 v[35:36], v[18:19], off
	global_load_b64 v[17:18], v[30:31], off
	;; [unrolled: 1-line block ×3, first 2 shown]
	s_clause 0x2
	global_load_b64 v[33:34], v[41:42], off
	global_load_b64 v[19:20], v[37:38], off
	;; [unrolled: 1-line block ×3, first 2 shown]
.LBB34_4:                               ;   in Loop: Header=BB34_5 Depth=1
	s_wait_loadcnt 0x3
	v_add_f64_e32 v[25:26], v[25:26], v[27:28]
	v_add_f64_e32 v[21:22], v[21:22], v[29:30]
	s_wait_loadcnt 0x0
	v_add_f64_e32 v[23:24], v[23:24], v[31:32]
	s_mov_b32 s70, s44
	s_mov_b32 s73, s47
	v_add_f64_e32 v[13:14], v[13:14], v[15:16]
	s_delay_alu instid0(VALU_DEP_4) | instskip(NEXT) | instid1(VALU_DEP_2)
	v_add_f64_e32 v[25:26], v[25:26], v[35:36]
	v_add_f64_e32 v[13:14], v[13:14], v[17:18]
	s_delay_alu instid0(VALU_DEP_2) | instskip(NEXT) | instid1(VALU_DEP_2)
	v_add_f64_e32 v[25:26], v[33:34], v[25:26]
	v_add_f64_e32 v[13:14], v[13:14], v[19:20]
	s_delay_alu instid0(VALU_DEP_2) | instskip(SKIP_1) | instid1(VALU_DEP_2)
	v_mul_f64_e32 v[27:28], s[44:45], v[25:26]
	v_cmp_nlt_f64_e64 s0, 0x4090cc00, v[25:26]
	v_rndne_f64_e32 v[27:28], v[27:28]
	s_delay_alu instid0(VALU_DEP_1) | instskip(SKIP_1) | instid1(VALU_DEP_2)
	v_fma_f64 v[33:34], v[27:28], s[46:47], -v[25:26]
	v_cvt_i32_f64_e32 v2, v[27:28]
	v_fma_f64 v[33:34], v[27:28], s[48:49], v[33:34]
	s_delay_alu instid0(VALU_DEP_1) | instskip(NEXT) | instid1(VALU_DEP_1)
	v_fma_f64 v[35:36], v[33:34], s[52:53], s[50:51]
	v_fma_f64 v[35:36], v[33:34], v[35:36], s[54:55]
	s_delay_alu instid0(VALU_DEP_1) | instskip(NEXT) | instid1(VALU_DEP_1)
	v_fma_f64 v[35:36], v[33:34], v[35:36], s[56:57]
	;; [unrolled: 3-line block ×5, first 2 shown]
	v_fma_f64 v[35:36], v[33:34], v[35:36], 1.0
	s_delay_alu instid0(VALU_DEP_1) | instskip(NEXT) | instid1(VALU_DEP_1)
	v_fma_f64 v[27:28], v[33:34], v[35:36], 1.0
	v_ldexp_f64 v[27:28], v[27:28], v2
	s_delay_alu instid0(VALU_DEP_1) | instskip(NEXT) | instid1(VALU_DEP_1)
	v_add_f64_e32 v[27:28], 1.0, v[27:28]
	v_div_scale_f64 v[33:34], null, v[27:28], v[27:28], 1.0
	v_div_scale_f64 v[39:40], vcc_lo, 1.0, v[27:28], 1.0
	s_delay_alu instid0(VALU_DEP_2) | instskip(NEXT) | instid1(TRANS32_DEP_1)
	v_rcp_f64_e32 v[35:36], v[33:34]
	v_fma_f64 v[37:38], -v[33:34], v[35:36], 1.0
	s_delay_alu instid0(VALU_DEP_1) | instskip(NEXT) | instid1(VALU_DEP_1)
	v_fma_f64 v[35:36], v[35:36], v[37:38], v[35:36]
	v_fma_f64 v[37:38], -v[33:34], v[35:36], 1.0
	s_delay_alu instid0(VALU_DEP_1) | instskip(NEXT) | instid1(VALU_DEP_1)
	v_fma_f64 v[35:36], v[35:36], v[37:38], v[35:36]
	v_mul_f64_e32 v[37:38], v[39:40], v[35:36]
	s_delay_alu instid0(VALU_DEP_1) | instskip(SKIP_1) | instid1(VALU_DEP_1)
	v_fma_f64 v[33:34], -v[33:34], v[37:38], v[39:40]
	s_wait_alu 0xfffd
	v_div_fmas_f64 v[33:34], v[33:34], v[35:36], v[37:38]
	v_cmp_ngt_f64_e32 vcc_lo, 0xc0900000, v[25:26]
	s_delay_alu instid0(VALU_DEP_2) | instskip(SKIP_1) | instid1(VALU_DEP_1)
	v_div_fixup_f64 v[27:28], v[33:34], v[27:28], 1.0
	s_wait_alu 0xfffd
	v_cndmask_b32_e32 v2, 0, v28, vcc_lo
	s_and_b32 vcc_lo, s0, vcc_lo
	s_wait_alu 0xfffe
	s_delay_alu instid0(VALU_DEP_2) | instskip(NEXT) | instid1(VALU_DEP_2)
	v_cndmask_b32_e32 v25, 0, v27, vcc_lo
	v_cndmask_b32_e64 v26, 0x3ff00000, v2, s0
	s_delay_alu instid0(VALU_DEP_1) | instskip(NEXT) | instid1(VALU_DEP_1)
	v_fma_f64 v[21:22], v[23:24], v[25:26], v[21:22]
	v_mul_f64_e64 v[27:28], |v[21:22]|, s[70:71]
	v_cmp_nlt_f64_e64 s0, 0x40331000, |v[21:22]|
	s_delay_alu instid0(VALU_DEP_2) | instskip(NEXT) | instid1(VALU_DEP_1)
	v_rndne_f64_e32 v[27:28], v[27:28]
	v_fma_f64 v[29:30], v[27:28], s[72:73], |v[21:22]|
	v_mul_f64_e32 v[31:32], s[74:75], v[27:28]
	v_cvt_i32_f64_e32 v2, v[27:28]
	s_delay_alu instid0(VALU_DEP_3) | instskip(NEXT) | instid1(VALU_DEP_1)
	v_add_f64_e32 v[33:34], 0, v[29:30]
	v_add_f64_e32 v[35:36], v[33:34], v[31:32]
	v_add_f64_e64 v[29:30], v[29:30], -v[33:34]
	s_delay_alu instid0(VALU_DEP_2) | instskip(NEXT) | instid1(VALU_DEP_2)
	v_add_f64_e64 v[33:34], v[33:34], -v[35:36]
	v_add_f64_e32 v[29:30], 0, v[29:30]
	s_delay_alu instid0(VALU_DEP_2) | instskip(NEXT) | instid1(VALU_DEP_1)
	v_add_f64_e32 v[31:32], v[33:34], v[31:32]
	v_add_f64_e32 v[29:30], v[29:30], v[31:32]
	v_mul_f64_e32 v[31:32], s[76:77], v[27:28]
	s_delay_alu instid0(VALU_DEP_2) | instskip(NEXT) | instid1(VALU_DEP_1)
	v_add_f64_e32 v[33:34], v[35:36], v[29:30]
	v_add_f64_e32 v[37:38], v[33:34], v[31:32]
	v_add_f64_e64 v[35:36], v[35:36], -v[33:34]
	s_delay_alu instid0(VALU_DEP_2) | instskip(NEXT) | instid1(VALU_DEP_2)
	v_add_f64_e64 v[33:34], v[33:34], -v[37:38]
	v_add_f64_e32 v[29:30], v[29:30], v[35:36]
	s_delay_alu instid0(VALU_DEP_2) | instskip(NEXT) | instid1(VALU_DEP_1)
	v_add_f64_e32 v[31:32], v[33:34], v[31:32]
	v_add_f64_e32 v[29:30], v[29:30], v[31:32]
	s_delay_alu instid0(VALU_DEP_1) | instskip(NEXT) | instid1(VALU_DEP_1)
	v_add_f64_e32 v[31:32], v[37:38], v[29:30]
	v_fma_f64 v[33:34], v[31:32], s[52:53], s[50:51]
	v_add_f64_e64 v[35:36], v[37:38], -v[31:32]
	v_mul_f64_e32 v[37:38], v[31:32], v[31:32]
	s_delay_alu instid0(VALU_DEP_3) | instskip(NEXT) | instid1(VALU_DEP_3)
	v_fma_f64 v[33:34], v[31:32], v[33:34], s[54:55]
	v_add_f64_e32 v[29:30], v[29:30], v[35:36]
	s_delay_alu instid0(VALU_DEP_3) | instskip(NEXT) | instid1(VALU_DEP_3)
	v_fma_f64 v[35:36], v[31:32], v[31:32], -v[37:38]
	v_fma_f64 v[33:34], v[31:32], v[33:34], s[56:57]
	s_delay_alu instid0(VALU_DEP_3) | instskip(NEXT) | instid1(VALU_DEP_2)
	v_add_f64_e32 v[39:40], v[29:30], v[29:30]
	v_fma_f64 v[33:34], v[31:32], v[33:34], s[58:59]
	s_delay_alu instid0(VALU_DEP_2) | instskip(NEXT) | instid1(VALU_DEP_2)
	v_fma_f64 v[35:36], v[31:32], v[39:40], v[35:36]
	v_fma_f64 v[33:34], v[31:32], v[33:34], s[60:61]
	s_delay_alu instid0(VALU_DEP_2) | instskip(NEXT) | instid1(VALU_DEP_2)
	v_add_f64_e32 v[39:40], v[37:38], v[35:36]
	v_fma_f64 v[33:34], v[31:32], v[33:34], s[62:63]
	s_delay_alu instid0(VALU_DEP_2) | instskip(NEXT) | instid1(VALU_DEP_2)
	v_add_f64_e64 v[37:38], v[39:40], -v[37:38]
	v_fma_f64 v[33:34], v[31:32], v[33:34], s[64:65]
	s_delay_alu instid0(VALU_DEP_2) | instskip(NEXT) | instid1(VALU_DEP_2)
	v_add_f64_e64 v[35:36], v[35:36], -v[37:38]
	v_fma_f64 v[33:34], v[31:32], v[33:34], s[66:67]
	s_delay_alu instid0(VALU_DEP_1) | instskip(NEXT) | instid1(VALU_DEP_1)
	v_fma_f64 v[33:34], v[31:32], v[33:34], s[68:69]
	v_mul_f64_e32 v[41:42], v[39:40], v[33:34]
	s_delay_alu instid0(VALU_DEP_1) | instskip(NEXT) | instid1(VALU_DEP_1)
	v_fma_f64 v[37:38], v[39:40], v[33:34], -v[41:42]
	v_fma_f64 v[33:34], v[35:36], v[33:34], v[37:38]
	s_delay_alu instid0(VALU_DEP_1) | instskip(NEXT) | instid1(VALU_DEP_1)
	v_add_f64_e32 v[35:36], v[41:42], v[33:34]
	v_add_f64_e32 v[37:38], v[31:32], v[35:36]
	v_add_f64_e64 v[39:40], v[35:36], -v[41:42]
	s_delay_alu instid0(VALU_DEP_2) | instskip(NEXT) | instid1(VALU_DEP_2)
	v_add_f64_e64 v[31:32], v[37:38], -v[31:32]
	v_add_f64_e64 v[33:34], v[33:34], -v[39:40]
	s_delay_alu instid0(VALU_DEP_2) | instskip(NEXT) | instid1(VALU_DEP_2)
	v_add_f64_e64 v[31:32], v[35:36], -v[31:32]
	v_add_f64_e32 v[29:30], v[29:30], v[33:34]
	s_delay_alu instid0(VALU_DEP_1) | instskip(NEXT) | instid1(VALU_DEP_1)
	v_add_f64_e32 v[29:30], v[29:30], v[31:32]
	v_add_f64_e32 v[31:32], v[37:38], v[29:30]
	s_delay_alu instid0(VALU_DEP_1) | instskip(SKIP_1) | instid1(VALU_DEP_2)
	v_add_f64_e32 v[33:34], 1.0, v[31:32]
	v_add_f64_e64 v[35:36], v[31:32], -v[37:38]
	v_add_f64_e32 v[37:38], -1.0, v[33:34]
	s_delay_alu instid0(VALU_DEP_2) | instskip(NEXT) | instid1(VALU_DEP_2)
	v_add_f64_e64 v[29:30], v[29:30], -v[35:36]
	v_add_f64_e64 v[31:32], v[31:32], -v[37:38]
	s_delay_alu instid0(VALU_DEP_1) | instskip(NEXT) | instid1(VALU_DEP_1)
	v_add_f64_e32 v[29:30], v[29:30], v[31:32]
	v_add_f64_e32 v[27:28], v[33:34], v[29:30]
	s_delay_alu instid0(VALU_DEP_1) | instskip(SKIP_1) | instid1(VALU_DEP_2)
	v_ldexp_f64 v[31:32], v[27:28], v2
	v_add_f64_e64 v[27:28], v[27:28], -v[33:34]
	v_rcp_f64_e32 v[35:36], v[31:32]
	s_delay_alu instid0(VALU_DEP_1) | instskip(NEXT) | instid1(VALU_DEP_1)
	v_add_f64_e64 v[27:28], v[29:30], -v[27:28]
	v_ldexp_f64 v[27:28], v[27:28], v2
	s_delay_alu instid0(TRANS32_DEP_1) | instskip(NEXT) | instid1(VALU_DEP_1)
	v_fma_f64 v[37:38], -v[31:32], v[35:36], 1.0
	v_fma_f64 v[35:36], v[37:38], v[35:36], v[35:36]
	s_delay_alu instid0(VALU_DEP_1) | instskip(NEXT) | instid1(VALU_DEP_1)
	v_fma_f64 v[37:38], -v[31:32], v[35:36], 1.0
	v_fma_f64 v[33:34], v[37:38], v[35:36], v[35:36]
	s_delay_alu instid0(VALU_DEP_1) | instskip(NEXT) | instid1(VALU_DEP_1)
	v_mul_f64_e32 v[29:30], v[31:32], v[33:34]
	v_fma_f64 v[35:36], v[33:34], v[31:32], -v[29:30]
	s_delay_alu instid0(VALU_DEP_1) | instskip(NEXT) | instid1(VALU_DEP_1)
	v_fma_f64 v[35:36], v[33:34], v[27:28], v[35:36]
	v_add_f64_e32 v[37:38], v[29:30], v[35:36]
	s_delay_alu instid0(VALU_DEP_1) | instskip(SKIP_1) | instid1(VALU_DEP_2)
	v_add_f64_e64 v[39:40], -v[37:38], 1.0
	v_add_f64_e64 v[29:30], v[37:38], -v[29:30]
	v_add_f64_e64 v[41:42], -v[39:40], 1.0
	s_delay_alu instid0(VALU_DEP_2) | instskip(NEXT) | instid1(VALU_DEP_2)
	v_add_f64_e64 v[29:30], v[29:30], -v[35:36]
	v_add_f64_e64 v[35:36], v[41:42], -v[37:38]
	s_delay_alu instid0(VALU_DEP_1) | instskip(NEXT) | instid1(VALU_DEP_1)
	v_add_f64_e32 v[29:30], v[29:30], v[35:36]
	v_add_f64_e32 v[35:36], v[39:40], v[29:30]
	s_delay_alu instid0(VALU_DEP_1) | instskip(SKIP_1) | instid1(VALU_DEP_2)
	v_mul_f64_e32 v[37:38], v[33:34], v[35:36]
	v_add_f64_e64 v[39:40], v[39:40], -v[35:36]
	v_mul_f64_e32 v[41:42], v[31:32], v[37:38]
	s_delay_alu instid0(VALU_DEP_2) | instskip(SKIP_1) | instid1(VALU_DEP_3)
	v_add_f64_e32 v[29:30], v[29:30], v[39:40]
	v_add_f64_e32 v[15:16], v[33:34], v[37:38]
	v_fma_f64 v[43:44], v[37:38], v[31:32], -v[41:42]
	s_delay_alu instid0(VALU_DEP_2) | instskip(NEXT) | instid1(VALU_DEP_2)
	v_add_f64_e64 v[17:18], v[15:16], -v[33:34]
	v_fma_f64 v[43:44], v[37:38], v[27:28], v[43:44]
	s_delay_alu instid0(VALU_DEP_2) | instskip(NEXT) | instid1(VALU_DEP_2)
	v_add_f64_e64 v[17:18], v[37:38], -v[17:18]
	v_add_f64_e32 v[45:46], v[41:42], v[43:44]
	s_delay_alu instid0(VALU_DEP_1) | instskip(SKIP_1) | instid1(VALU_DEP_2)
	v_add_f64_e64 v[47:48], v[35:36], -v[45:46]
	v_add_f64_e64 v[39:40], v[45:46], -v[41:42]
	;; [unrolled: 1-line block ×3, first 2 shown]
	s_delay_alu instid0(VALU_DEP_2) | instskip(NEXT) | instid1(VALU_DEP_2)
	v_add_f64_e64 v[39:40], v[39:40], -v[43:44]
	v_add_f64_e64 v[35:36], v[35:36], -v[45:46]
	s_delay_alu instid0(VALU_DEP_1) | instskip(NEXT) | instid1(VALU_DEP_1)
	v_add_f64_e32 v[29:30], v[29:30], v[35:36]
	v_add_f64_e32 v[29:30], v[39:40], v[29:30]
	s_delay_alu instid0(VALU_DEP_1) | instskip(NEXT) | instid1(VALU_DEP_1)
	v_add_f64_e32 v[29:30], v[47:48], v[29:30]
	v_mul_f64_e32 v[19:20], v[33:34], v[29:30]
	v_mul_f64_e32 v[29:30], s[44:45], v[13:14]
	s_delay_alu instid0(VALU_DEP_2) | instskip(NEXT) | instid1(VALU_DEP_2)
	v_add_f64_e32 v[17:18], v[17:18], v[19:20]
	v_rndne_f64_e32 v[19:20], v[29:30]
	s_delay_alu instid0(VALU_DEP_2) | instskip(NEXT) | instid1(VALU_DEP_2)
	v_add_f64_e32 v[29:30], v[15:16], v[17:18]
	v_fma_f64 v[33:34], v[19:20], s[46:47], -v[13:14]
	v_cvt_i32_f64_e32 v2, v[19:20]
	s_delay_alu instid0(VALU_DEP_3) | instskip(SKIP_1) | instid1(VALU_DEP_4)
	v_add_f64_e32 v[35:36], v[31:32], v[29:30]
	v_add_f64_e64 v[15:16], v[29:30], -v[15:16]
	v_fma_f64 v[33:34], v[19:20], s[48:49], v[33:34]
	v_add_f64_e64 v[41:42], v[31:32], -v[29:30]
	s_delay_alu instid0(VALU_DEP_4) | instskip(NEXT) | instid1(VALU_DEP_4)
	v_add_f64_e64 v[37:38], v[35:36], -v[31:32]
	v_add_f64_e64 v[15:16], v[17:18], -v[15:16]
	s_delay_alu instid0(VALU_DEP_4) | instskip(NEXT) | instid1(VALU_DEP_4)
	v_fma_f64 v[17:18], v[33:34], s[52:53], s[50:51]
	v_add_f64_e64 v[31:32], v[31:32], -v[41:42]
	s_delay_alu instid0(VALU_DEP_4) | instskip(NEXT) | instid1(VALU_DEP_4)
	v_add_f64_e64 v[37:38], v[29:30], -v[37:38]
	v_add_f64_e32 v[39:40], v[27:28], v[15:16]
	s_delay_alu instid0(VALU_DEP_4) | instskip(NEXT) | instid1(VALU_DEP_4)
	v_fma_f64 v[17:18], v[33:34], v[17:18], s[54:55]
	v_add_f64_e64 v[29:30], v[31:32], -v[29:30]
	s_delay_alu instid0(VALU_DEP_3) | instskip(NEXT) | instid1(VALU_DEP_3)
	v_add_f64_e32 v[37:38], v[39:40], v[37:38]
	v_fma_f64 v[17:18], v[33:34], v[17:18], s[56:57]
	s_delay_alu instid0(VALU_DEP_3) | instskip(NEXT) | instid1(VALU_DEP_3)
	v_add_f64_e32 v[27:28], v[27:28], v[29:30]
	v_add_f64_e32 v[39:40], v[35:36], v[37:38]
	s_delay_alu instid0(VALU_DEP_3) | instskip(NEXT) | instid1(VALU_DEP_3)
	v_fma_f64 v[17:18], v[33:34], v[17:18], s[58:59]
	v_add_f64_e64 v[15:16], v[27:28], -v[15:16]
	s_delay_alu instid0(VALU_DEP_3) | instskip(NEXT) | instid1(VALU_DEP_2)
	v_rcp_f64_e32 v[43:44], v[39:40]
	v_fma_f64 v[17:18], v[33:34], v[17:18], s[60:61]
	v_add_f64_e64 v[35:36], v[39:40], -v[35:36]
	s_delay_alu instid0(VALU_DEP_2) | instskip(NEXT) | instid1(TRANS32_DEP_1)
	v_fma_f64 v[17:18], v[33:34], v[17:18], s[62:63]
	v_fma_f64 v[31:32], -v[39:40], v[43:44], 1.0
	s_delay_alu instid0(VALU_DEP_3) | instskip(NEXT) | instid1(VALU_DEP_3)
	v_add_f64_e64 v[19:20], v[37:38], -v[35:36]
	v_fma_f64 v[17:18], v[33:34], v[17:18], s[64:65]
	s_delay_alu instid0(VALU_DEP_3) | instskip(SKIP_1) | instid1(VALU_DEP_3)
	v_fma_f64 v[29:30], v[31:32], v[43:44], v[43:44]
	v_add_f64_e32 v[31:32], v[41:42], v[15:16]
	v_fma_f64 v[17:18], v[33:34], v[17:18], s[66:67]
	s_delay_alu instid0(VALU_DEP_3) | instskip(NEXT) | instid1(VALU_DEP_2)
	v_fma_f64 v[27:28], -v[39:40], v[29:30], 1.0
	v_fma_f64 v[17:18], v[33:34], v[17:18], s[68:69]
	s_delay_alu instid0(VALU_DEP_2) | instskip(NEXT) | instid1(VALU_DEP_2)
	v_fma_f64 v[27:28], v[27:28], v[29:30], v[29:30]
	v_fma_f64 v[17:18], v[33:34], v[17:18], 1.0
	s_delay_alu instid0(VALU_DEP_2) | instskip(NEXT) | instid1(VALU_DEP_2)
	v_mul_f64_e32 v[29:30], v[31:32], v[27:28]
	v_fma_f64 v[17:18], v[33:34], v[17:18], 1.0
	s_delay_alu instid0(VALU_DEP_2) | instskip(NEXT) | instid1(VALU_DEP_2)
	v_mul_f64_e32 v[43:44], v[39:40], v[29:30]
	v_ldexp_f64 v[17:18], v[17:18], v2
	s_delay_alu instid0(VALU_DEP_2) | instskip(NEXT) | instid1(VALU_DEP_2)
	v_fma_f64 v[33:34], v[29:30], v[39:40], -v[43:44]
	v_add_f64_e32 v[17:18], 1.0, v[17:18]
	s_delay_alu instid0(VALU_DEP_2) | instskip(NEXT) | instid1(VALU_DEP_2)
	v_fma_f64 v[19:20], v[29:30], v[19:20], v[33:34]
	v_div_scale_f64 v[35:36], null, v[17:18], v[17:18], 1.0
	s_delay_alu instid0(VALU_DEP_2) | instskip(NEXT) | instid1(VALU_DEP_2)
	v_add_f64_e32 v[33:34], v[43:44], v[19:20]
	v_rcp_f64_e32 v[39:40], v[35:36]
	s_delay_alu instid0(VALU_DEP_1) | instskip(SKIP_1) | instid1(VALU_DEP_2)
	v_add_f64_e64 v[37:38], v[31:32], -v[33:34]
	v_add_f64_e64 v[43:44], v[33:34], -v[43:44]
	;; [unrolled: 1-line block ×3, first 2 shown]
	s_delay_alu instid0(TRANS32_DEP_1) | instskip(SKIP_1) | instid1(VALU_DEP_4)
	v_fma_f64 v[47:48], -v[35:36], v[39:40], 1.0
	v_add_f64_e64 v[31:32], v[31:32], -v[41:42]
	v_add_f64_e64 v[19:20], v[19:20], -v[43:44]
	s_delay_alu instid0(VALU_DEP_4) | instskip(NEXT) | instid1(VALU_DEP_4)
	v_add_f64_e64 v[33:34], v[45:46], -v[33:34]
	v_fma_f64 v[39:40], v[39:40], v[47:48], v[39:40]
	s_delay_alu instid0(VALU_DEP_4) | instskip(NEXT) | instid1(VALU_DEP_3)
	v_add_f64_e64 v[15:16], v[15:16], -v[31:32]
	v_add_f64_e64 v[19:20], v[33:34], -v[19:20]
	s_delay_alu instid0(VALU_DEP_3) | instskip(NEXT) | instid1(VALU_DEP_2)
	v_fma_f64 v[31:32], -v[35:36], v[39:40], 1.0
	v_add_f64_e32 v[15:16], v[15:16], v[19:20]
	v_div_scale_f64 v[19:20], vcc_lo, 1.0, v[17:18], 1.0
	s_delay_alu instid0(VALU_DEP_3) | instskip(NEXT) | instid1(VALU_DEP_3)
	v_fma_f64 v[31:32], v[39:40], v[31:32], v[39:40]
	v_add_f64_e32 v[15:16], v[37:38], v[15:16]
	s_delay_alu instid0(VALU_DEP_2) | instskip(NEXT) | instid1(VALU_DEP_2)
	v_mul_f64_e32 v[33:34], v[19:20], v[31:32]
	v_mul_f64_e32 v[15:16], v[27:28], v[15:16]
	v_mul_lo_u32 v28, s37, v9
	s_delay_alu instid0(VALU_DEP_3) | instskip(NEXT) | instid1(VALU_DEP_3)
	v_fma_f64 v[19:20], -v[35:36], v[33:34], v[19:20]
	v_add_f64_e32 v[15:16], v[29:30], v[15:16]
	s_wait_alu 0xfffd
	s_delay_alu instid0(VALU_DEP_2) | instskip(SKIP_2) | instid1(VALU_DEP_3)
	v_div_fmas_f64 v[19:20], v[19:20], v[31:32], v[33:34]
	v_cmp_gt_f64_e64 vcc_lo, 0x3e400000, |v[21:22]|
	s_wait_alu 0xf1ff
	v_cndmask_b32_e64 v2, 0x3ff00000, v16, s0
	s_delay_alu instid0(VALU_DEP_4) | instskip(NEXT) | instid1(VALU_DEP_4)
	v_cndmask_b32_e64 v27, 0, v15, s0
	v_div_fixup_f64 v[15:16], v[19:20], v[17:18], 1.0
	v_lshlrev_b64_e32 v[17:18], 2, v[9:10]
	v_and_b32_e32 v33, 0x7fffffff, v22
	v_mad_co_u64_u32 v[19:20], null, s36, v9, v[3:4]
	s_wait_alu 0xfffd
	v_cndmask_b32_e32 v9, v27, v21, vcc_lo
	v_mul_lo_u32 v10, s36, v10
	v_add_co_u32 v34, s0, v17, 4
	s_wait_alu 0xf1ff
	v_add_co_ci_u32_e64 v35, null, 0, v18, s0
	v_cndmask_b32_e32 v2, v2, v33, vcc_lo
	v_cmp_ngt_f64_e32 vcc_lo, 0xc0900000, v[13:14]
	v_cmp_nlt_f64_e64 s0, 0x4090cc00, v[13:14]
	v_or_b32_e32 v29, 1, v17
	v_or_b32_e32 v30, 2, v17
	;; [unrolled: 1-line block ×3, first 2 shown]
	v_mul_lo_u32 v31, s4, v18
	v_add3_u32 v33, v28, v20, v10
	v_bfi_b32 v10, 0x7fffffff, v2, v22
	v_mul_lo_u32 v2, v19, s25
	v_mad_co_u64_u32 v[13:14], null, v19, s24, 0
	v_mul_lo_u32 v22, s5, v29
	v_mad_co_u64_u32 v[18:19], null, s4, v29, v[3:4]
	;; [unrolled: 2-line block ×4, first 2 shown]
	v_mul_lo_u32 v32, s4, v35
	v_mul_lo_u32 v35, s5, v34
	v_mad_co_u64_u32 v[29:30], null, s4, v34, v[3:4]
	v_add3_u32 v22, v22, v19, v31
	v_add3_u32 v37, v37, v21, v31
	;; [unrolled: 1-line block ×3, first 2 shown]
	v_mul_lo_u32 v34, v33, s24
	v_mul_lo_u32 v39, v18, s25
	v_mad_co_u64_u32 v[18:19], null, v18, s24, 0
	v_add3_u32 v35, v35, v30, v32
	v_mul_lo_u32 v40, v20, s25
	v_mad_co_u64_u32 v[20:21], null, v20, s24, 0
	v_add3_u32 v14, v14, v2, v34
	v_mul_lo_u32 v2, v22, s24
	v_mul_lo_u32 v41, v27, s25
	s_wait_alu 0xfffd
	v_cndmask_b32_e32 v36, 0, v16, vcc_lo
	s_and_b32 vcc_lo, s0, vcc_lo
	v_mad_co_u64_u32 v[27:28], null, v27, s24, 0
	s_wait_alu 0xfffe
	v_cndmask_b32_e32 v30, 0, v15, vcc_lo
	v_add_f64_e64 v[16:17], v[11:12], -v[9:10]
	v_cndmask_b32_e64 v31, 0x3ff00000, v36, s0
	v_mul_lo_u32 v22, v38, s24
	v_mul_lo_u32 v42, v29, s25
	v_mad_co_u64_u32 v[32:33], null, v29, s24, 0
	v_mul_lo_u32 v29, v35, s24
	v_add3_u32 v19, v19, v39, v2
	v_lshlrev_b64_e32 v[13:14], 3, v[13:14]
	v_add_co_u32 v3, s1, v3, s30
	v_add3_u32 v28, v28, v41, v22
	s_wait_alu 0xf1ff
	v_add_co_ci_u32_e64 v4, null, 0, v4, s1
	v_add3_u32 v33, v33, v42, v29
	v_add_co_u32 v13, s0, s22, v13
	s_wait_alu 0xf1ff
	v_add_co_ci_u32_e64 v14, null, s23, v14, s0
	v_add_co_u32 v5, vcc_lo, v5, s38
	s_wait_alu 0xfffd
	v_add_co_ci_u32_e64 v6, null, s39, v6, vcc_lo
	v_cmp_le_i64_e32 vcc_lo, s[6:7], v[3:4]
	s_or_b32 s31, vcc_lo, s31
	v_fma_f64 v[15:16], v[30:31], v[16:17], v[9:10]
	v_mul_lo_u32 v17, v37, s24
	s_delay_alu instid0(VALU_DEP_1) | instskip(SKIP_1) | instid1(VALU_DEP_2)
	v_add3_u32 v21, v21, v40, v17
	v_lshlrev_b64_e32 v[17:18], 3, v[18:19]
	v_lshlrev_b64_e32 v[19:20], 3, v[20:21]
	;; [unrolled: 1-line block ×4, first 2 shown]
	s_delay_alu instid0(VALU_DEP_4)
	v_add_co_u32 v17, s0, s22, v17
	s_wait_alu 0xf1ff
	v_add_co_ci_u32_e64 v18, null, s23, v18, s0
	v_add_co_u32 v19, s0, s22, v19
	s_wait_alu 0xf1ff
	v_add_co_ci_u32_e64 v20, null, s23, v20, s0
	;; [unrolled: 3-line block ×4, first 2 shown]
	global_store_b64 v[7:8], v[15:16], off
	s_clause 0x1
	global_store_b64 v[13:14], v[25:26], off
	global_store_b64 v[17:18], v[30:31], off
	v_add_co_u32 v7, s0, v7, s40
	s_wait_alu 0xf1ff
	v_add_co_ci_u32_e64 v8, null, s41, v8, s0
	s_clause 0x2
	global_store_b64 v[19:20], v[9:10], off
	global_store_b64 v[21:22], v[11:12], off
	;; [unrolled: 1-line block ×3, first 2 shown]
	s_wait_alu 0xfffe
	s_and_not1_b32 exec_lo, exec_lo, s31
	s_cbranch_execz .LBB34_10
.LBB34_5:                               ; =>This Inner Loop Header: Depth=1
	v_or_b32_e32 v2, s5, v4
                                        ; implicit-def: $vgpr9_vgpr10
	s_mov_b32 s0, exec_lo
	s_delay_alu instid0(VALU_DEP_1)
	v_cmpx_ne_u64_e32 0, v[1:2]
	s_wait_alu 0xfffe
	s_xor_b32 s1, exec_lo, s0
	s_cbranch_execz .LBB34_7
; %bb.6:                                ;   in Loop: Header=BB34_5 Depth=1
	s_mov_b32 s43, s42
	v_ashrrev_i32_e32 v2, 31, v4
	s_wait_alu 0xfffe
	s_add_nc_u64 s[78:79], s[4:5], s[42:43]
	s_wait_alu 0xfffe
	s_xor_b64 s[78:79], s[78:79], s[42:43]
	v_add_co_u32 v9, vcc_lo, v3, v2
	s_wait_alu 0xfffe
	s_cvt_f32_u32 s0, s78
	s_cvt_f32_u32 s26, s79
	s_sub_nc_u64 s[82:83], 0, s[78:79]
	s_wait_alu 0xfffd
	v_add_co_ci_u32_e64 v10, null, v4, v2, vcc_lo
	s_wait_alu 0xfffe
	s_fmamk_f32 s0, s26, 0x4f800000, s0
	v_xor_b32_e32 v15, v9, v2
	s_delay_alu instid0(VALU_DEP_2) | instskip(SKIP_3) | instid1(TRANS32_DEP_1)
	v_xor_b32_e32 v16, v10, v2
	s_wait_alu 0xfffe
	v_s_rcp_f32 s0, s0
	v_xor_b32_e32 v2, s42, v2
	s_mul_f32 s0, s0, 0x5f7ffffc
	s_wait_alu 0xfffe
	s_delay_alu instid0(SALU_CYCLE_2) | instskip(SKIP_1) | instid1(SALU_CYCLE_2)
	s_mul_f32 s26, s0, 0x2f800000
	s_wait_alu 0xfffe
	s_trunc_f32 s26, s26
	s_wait_alu 0xfffe
	s_delay_alu instid0(SALU_CYCLE_2) | instskip(SKIP_2) | instid1(SALU_CYCLE_1)
	s_fmamk_f32 s0, s26, 0xcf800000, s0
	s_cvt_u32_f32 s81, s26
	s_wait_alu 0xfffe
	s_cvt_u32_f32 s80, s0
	s_delay_alu instid0(SALU_CYCLE_3) | instskip(NEXT) | instid1(SALU_CYCLE_1)
	s_mul_u64 s[84:85], s[82:83], s[80:81]
	s_mul_hi_u32 s87, s80, s85
	s_mul_i32 s86, s80, s85
	s_mul_hi_u32 s26, s80, s84
	s_mul_i32 s43, s81, s84
	s_wait_alu 0xfffe
	s_add_nc_u64 s[86:87], s[26:27], s[86:87]
	s_mul_hi_u32 s0, s81, s84
	s_mul_hi_u32 s70, s81, s85
	s_add_co_u32 s26, s86, s43
	s_wait_alu 0xfffe
	s_add_co_ci_u32 s26, s87, s0
	s_mul_i32 s84, s81, s85
	s_add_co_ci_u32 s85, s70, 0
	s_wait_alu 0xfffe
	s_add_nc_u64 s[84:85], s[26:27], s[84:85]
	s_delay_alu instid0(SALU_CYCLE_1) | instskip(SKIP_4) | instid1(SALU_CYCLE_1)
	s_add_co_u32 s80, s80, s84
	s_cselect_b32 s0, -1, 0
	s_wait_alu 0xfffe
	s_cmp_lg_u32 s0, 0
	s_add_co_ci_u32 s81, s81, s85
	s_mul_u64 s[82:83], s[82:83], s[80:81]
	s_delay_alu instid0(SALU_CYCLE_1)
	s_mul_hi_u32 s85, s80, s83
	s_mul_i32 s84, s80, s83
	s_mul_hi_u32 s26, s80, s82
	s_mul_i32 s43, s81, s82
	s_wait_alu 0xfffe
	s_add_nc_u64 s[84:85], s[26:27], s[84:85]
	s_mul_hi_u32 s0, s81, s82
	s_mul_hi_u32 s70, s81, s83
	s_add_co_u32 s26, s84, s43
	s_wait_alu 0xfffe
	s_add_co_ci_u32 s26, s85, s0
	s_mul_i32 s82, s81, s83
	s_add_co_ci_u32 s83, s70, 0
	s_wait_alu 0xfffe
	s_add_nc_u64 s[82:83], s[26:27], s[82:83]
	s_delay_alu instid0(SALU_CYCLE_1)
	s_add_co_u32 s0, s80, s82
	s_cselect_b32 s26, -1, 0
	s_wait_alu 0xfffe
	v_mul_hi_u32 v17, v15, s0
	s_cmp_lg_u32 s26, 0
	v_mad_co_u64_u32 v[11:12], null, v16, s0, 0
	s_add_co_ci_u32 s26, s81, s83
	s_wait_alu 0xfffe
	v_mad_co_u64_u32 v[9:10], null, v15, s26, 0
	v_mad_co_u64_u32 v[13:14], null, v16, s26, 0
	s_delay_alu instid0(VALU_DEP_2) | instskip(SKIP_1) | instid1(VALU_DEP_3)
	v_add_co_u32 v9, vcc_lo, v17, v9
	s_wait_alu 0xfffd
	v_add_co_ci_u32_e64 v10, null, 0, v10, vcc_lo
	s_delay_alu instid0(VALU_DEP_2) | instskip(SKIP_1) | instid1(VALU_DEP_2)
	v_add_co_u32 v9, vcc_lo, v9, v11
	s_wait_alu 0xfffd
	v_add_co_ci_u32_e32 v9, vcc_lo, v10, v12, vcc_lo
	s_wait_alu 0xfffd
	v_add_co_ci_u32_e32 v10, vcc_lo, 0, v14, vcc_lo
	s_delay_alu instid0(VALU_DEP_2) | instskip(SKIP_1) | instid1(VALU_DEP_2)
	v_add_co_u32 v11, vcc_lo, v9, v13
	s_wait_alu 0xfffd
	v_add_co_ci_u32_e64 v12, null, 0, v10, vcc_lo
	s_delay_alu instid0(VALU_DEP_2) | instskip(SKIP_1) | instid1(VALU_DEP_3)
	v_mul_lo_u32 v13, s79, v11
	v_mad_co_u64_u32 v[9:10], null, s78, v11, 0
	v_mul_lo_u32 v14, s78, v12
	s_delay_alu instid0(VALU_DEP_2) | instskip(NEXT) | instid1(VALU_DEP_2)
	v_sub_co_u32 v9, vcc_lo, v15, v9
	v_add3_u32 v10, v10, v14, v13
	v_add_co_u32 v14, s0, v11, 2
	s_wait_alu 0xf1ff
	v_add_co_ci_u32_e64 v15, null, 0, v12, s0
	s_delay_alu instid0(VALU_DEP_3) | instskip(SKIP_3) | instid1(VALU_DEP_3)
	v_sub_nc_u32_e32 v13, v16, v10
	v_sub_co_u32 v17, s0, v9, s78
	s_wait_alu 0xfffd
	v_sub_co_ci_u32_e64 v10, null, v16, v10, vcc_lo
	v_subrev_co_ci_u32_e64 v13, null, s79, v13, vcc_lo
	s_delay_alu instid0(VALU_DEP_3) | instskip(SKIP_1) | instid1(VALU_DEP_2)
	v_cmp_le_u32_e32 vcc_lo, s78, v17
	s_wait_alu 0xf1ff
	v_subrev_co_ci_u32_e64 v13, null, 0, v13, s0
	s_wait_alu 0xfffd
	v_cndmask_b32_e64 v16, 0, -1, vcc_lo
	s_delay_alu instid0(VALU_DEP_2)
	v_cmp_le_u32_e32 vcc_lo, s79, v13
	s_wait_alu 0xfffd
	v_cndmask_b32_e64 v17, 0, -1, vcc_lo
	v_cmp_le_u32_e32 vcc_lo, s78, v9
	s_wait_alu 0xfffd
	v_cndmask_b32_e64 v9, 0, -1, vcc_lo
	;; [unrolled: 3-line block ×3, first 2 shown]
	v_cmp_eq_u32_e32 vcc_lo, s79, v13
	s_wait_alu 0xfffd
	v_cndmask_b32_e32 v13, v17, v16, vcc_lo
	v_add_co_u32 v16, vcc_lo, v11, 1
	s_wait_alu 0xfffd
	v_add_co_ci_u32_e64 v17, null, 0, v12, vcc_lo
	v_cmp_eq_u32_e32 vcc_lo, s79, v10
	s_wait_alu 0xfffd
	v_cndmask_b32_e32 v9, v18, v9, vcc_lo
	v_cmp_ne_u32_e32 vcc_lo, 0, v13
	s_wait_alu 0xfffd
	v_cndmask_b32_e32 v10, v17, v15, vcc_lo
	s_delay_alu instid0(VALU_DEP_3) | instskip(SKIP_2) | instid1(VALU_DEP_2)
	v_cmp_ne_u32_e64 s0, 0, v9
	v_cndmask_b32_e32 v9, v16, v14, vcc_lo
	s_wait_alu 0xf1ff
	v_cndmask_b32_e64 v10, v12, v10, s0
	s_delay_alu instid0(VALU_DEP_2) | instskip(NEXT) | instid1(VALU_DEP_2)
	v_cndmask_b32_e64 v9, v11, v9, s0
	v_xor_b32_e32 v10, v10, v2
	s_delay_alu instid0(VALU_DEP_2) | instskip(NEXT) | instid1(VALU_DEP_1)
	v_xor_b32_e32 v9, v9, v2
	v_sub_co_u32 v9, vcc_lo, v9, v2
	s_wait_alu 0xfffd
	s_delay_alu instid0(VALU_DEP_3)
	v_sub_co_ci_u32_e64 v10, null, v10, v2, vcc_lo
.LBB34_7:                               ;   in Loop: Header=BB34_5 Depth=1
	s_wait_alu 0xfffe
	s_and_not1_saveexec_b32 s0, s1
	s_cbranch_execz .LBB34_2
; %bb.8:                                ;   in Loop: Header=BB34_5 Depth=1
	s_sub_co_i32 s1, 0, s4
	s_wait_alu 0xfffe
	v_mul_lo_u32 v2, s1, v0
	s_delay_alu instid0(VALU_DEP_1) | instskip(NEXT) | instid1(VALU_DEP_1)
	v_mul_hi_u32 v2, v0, v2
	v_add_nc_u32_e32 v2, v0, v2
	s_delay_alu instid0(VALU_DEP_1) | instskip(NEXT) | instid1(VALU_DEP_1)
	v_mul_hi_u32 v2, v3, v2
	v_mul_lo_u32 v9, v2, s4
	v_add_nc_u32_e32 v10, 1, v2
	s_delay_alu instid0(VALU_DEP_2) | instskip(NEXT) | instid1(VALU_DEP_1)
	v_sub_nc_u32_e32 v9, v3, v9
	v_subrev_nc_u32_e32 v11, s4, v9
	v_cmp_le_u32_e32 vcc_lo, s4, v9
	s_wait_alu 0xfffd
	s_delay_alu instid0(VALU_DEP_2) | instskip(NEXT) | instid1(VALU_DEP_1)
	v_dual_cndmask_b32 v9, v9, v11 :: v_dual_cndmask_b32 v2, v2, v10
	v_cmp_le_u32_e32 vcc_lo, s4, v9
	s_delay_alu instid0(VALU_DEP_2) | instskip(SKIP_1) | instid1(VALU_DEP_1)
	v_add_nc_u32_e32 v10, 1, v2
	s_wait_alu 0xfffd
	v_dual_cndmask_b32 v9, v2, v10 :: v_dual_mov_b32 v10, v1
	s_branch .LBB34_2
.LBB34_9:                               ;   in Loop: Header=BB34_5 Depth=1
	v_mov_b32_e32 v17, 0
	v_mov_b32_e32 v33, 0
	v_dual_mov_b32 v31, 0 :: v_dual_mov_b32 v18, 0
	v_dual_mov_b32 v29, 0 :: v_dual_mov_b32 v34, 0
	;; [unrolled: 1-line block ×4, first 2 shown]
	v_mov_b32_e32 v20, 0
	v_mov_b32_e32 v36, 0
	s_branch .LBB34_4
.LBB34_10:
	s_endpgm
	.section	.rodata,"a",@progbits
	.p2align	6, 0x0
	.amdhsa_kernel _ZN2at6native12_GLOBAL__N_16kernel16gru_cell_forwardIddlLi1EEEvNS_4cuda6detail10TensorInfoIT_T1_EES9_S9_S9_S9_S9_S9_S8_S8_
		.amdhsa_group_segment_fixed_size 0
		.amdhsa_private_segment_fixed_size 0
		.amdhsa_kernarg_size 3184
		.amdhsa_user_sgpr_count 2
		.amdhsa_user_sgpr_dispatch_ptr 0
		.amdhsa_user_sgpr_queue_ptr 0
		.amdhsa_user_sgpr_kernarg_segment_ptr 1
		.amdhsa_user_sgpr_dispatch_id 0
		.amdhsa_user_sgpr_private_segment_size 0
		.amdhsa_wavefront_size32 1
		.amdhsa_uses_dynamic_stack 0
		.amdhsa_enable_private_segment 0
		.amdhsa_system_sgpr_workgroup_id_x 1
		.amdhsa_system_sgpr_workgroup_id_y 0
		.amdhsa_system_sgpr_workgroup_id_z 0
		.amdhsa_system_sgpr_workgroup_info 0
		.amdhsa_system_vgpr_workitem_id 0
		.amdhsa_next_free_vgpr 49
		.amdhsa_next_free_sgpr 88
		.amdhsa_reserve_vcc 1
		.amdhsa_float_round_mode_32 0
		.amdhsa_float_round_mode_16_64 0
		.amdhsa_float_denorm_mode_32 3
		.amdhsa_float_denorm_mode_16_64 3
		.amdhsa_fp16_overflow 0
		.amdhsa_workgroup_processor_mode 1
		.amdhsa_memory_ordered 1
		.amdhsa_forward_progress 1
		.amdhsa_inst_pref_size 42
		.amdhsa_round_robin_scheduling 0
		.amdhsa_exception_fp_ieee_invalid_op 0
		.amdhsa_exception_fp_denorm_src 0
		.amdhsa_exception_fp_ieee_div_zero 0
		.amdhsa_exception_fp_ieee_overflow 0
		.amdhsa_exception_fp_ieee_underflow 0
		.amdhsa_exception_fp_ieee_inexact 0
		.amdhsa_exception_int_div_zero 0
	.end_amdhsa_kernel
	.section	.text._ZN2at6native12_GLOBAL__N_16kernel16gru_cell_forwardIddlLi1EEEvNS_4cuda6detail10TensorInfoIT_T1_EES9_S9_S9_S9_S9_S9_S8_S8_,"axG",@progbits,_ZN2at6native12_GLOBAL__N_16kernel16gru_cell_forwardIddlLi1EEEvNS_4cuda6detail10TensorInfoIT_T1_EES9_S9_S9_S9_S9_S9_S8_S8_,comdat
.Lfunc_end34:
	.size	_ZN2at6native12_GLOBAL__N_16kernel16gru_cell_forwardIddlLi1EEEvNS_4cuda6detail10TensorInfoIT_T1_EES9_S9_S9_S9_S9_S9_S8_S8_, .Lfunc_end34-_ZN2at6native12_GLOBAL__N_16kernel16gru_cell_forwardIddlLi1EEEvNS_4cuda6detail10TensorInfoIT_T1_EES9_S9_S9_S9_S9_S9_S8_S8_
                                        ; -- End function
	.set _ZN2at6native12_GLOBAL__N_16kernel16gru_cell_forwardIddlLi1EEEvNS_4cuda6detail10TensorInfoIT_T1_EES9_S9_S9_S9_S9_S9_S8_S8_.num_vgpr, 49
	.set _ZN2at6native12_GLOBAL__N_16kernel16gru_cell_forwardIddlLi1EEEvNS_4cuda6detail10TensorInfoIT_T1_EES9_S9_S9_S9_S9_S9_S8_S8_.num_agpr, 0
	.set _ZN2at6native12_GLOBAL__N_16kernel16gru_cell_forwardIddlLi1EEEvNS_4cuda6detail10TensorInfoIT_T1_EES9_S9_S9_S9_S9_S9_S8_S8_.numbered_sgpr, 88
	.set _ZN2at6native12_GLOBAL__N_16kernel16gru_cell_forwardIddlLi1EEEvNS_4cuda6detail10TensorInfoIT_T1_EES9_S9_S9_S9_S9_S9_S8_S8_.num_named_barrier, 0
	.set _ZN2at6native12_GLOBAL__N_16kernel16gru_cell_forwardIddlLi1EEEvNS_4cuda6detail10TensorInfoIT_T1_EES9_S9_S9_S9_S9_S9_S8_S8_.private_seg_size, 0
	.set _ZN2at6native12_GLOBAL__N_16kernel16gru_cell_forwardIddlLi1EEEvNS_4cuda6detail10TensorInfoIT_T1_EES9_S9_S9_S9_S9_S9_S8_S8_.uses_vcc, 1
	.set _ZN2at6native12_GLOBAL__N_16kernel16gru_cell_forwardIddlLi1EEEvNS_4cuda6detail10TensorInfoIT_T1_EES9_S9_S9_S9_S9_S9_S8_S8_.uses_flat_scratch, 0
	.set _ZN2at6native12_GLOBAL__N_16kernel16gru_cell_forwardIddlLi1EEEvNS_4cuda6detail10TensorInfoIT_T1_EES9_S9_S9_S9_S9_S9_S8_S8_.has_dyn_sized_stack, 0
	.set _ZN2at6native12_GLOBAL__N_16kernel16gru_cell_forwardIddlLi1EEEvNS_4cuda6detail10TensorInfoIT_T1_EES9_S9_S9_S9_S9_S9_S8_S8_.has_recursion, 0
	.set _ZN2at6native12_GLOBAL__N_16kernel16gru_cell_forwardIddlLi1EEEvNS_4cuda6detail10TensorInfoIT_T1_EES9_S9_S9_S9_S9_S9_S8_S8_.has_indirect_call, 0
	.section	.AMDGPU.csdata,"",@progbits
; Kernel info:
; codeLenInByte = 5356
; TotalNumSgprs: 90
; NumVgprs: 49
; ScratchSize: 0
; MemoryBound: 0
; FloatMode: 240
; IeeeMode: 1
; LDSByteSize: 0 bytes/workgroup (compile time only)
; SGPRBlocks: 0
; VGPRBlocks: 6
; NumSGPRsForWavesPerEU: 90
; NumVGPRsForWavesPerEU: 49
; Occupancy: 16
; WaveLimiterHint : 1
; COMPUTE_PGM_RSRC2:SCRATCH_EN: 0
; COMPUTE_PGM_RSRC2:USER_SGPR: 2
; COMPUTE_PGM_RSRC2:TRAP_HANDLER: 0
; COMPUTE_PGM_RSRC2:TGID_X_EN: 1
; COMPUTE_PGM_RSRC2:TGID_Y_EN: 0
; COMPUTE_PGM_RSRC2:TGID_Z_EN: 0
; COMPUTE_PGM_RSRC2:TIDIG_COMP_CNT: 0
	.section	.text._ZN2at6native12_GLOBAL__N_16kernel16gru_cell_forwardIddlLi2EEEvNS_4cuda6detail10TensorInfoIT_T1_EES9_S9_S9_S9_S9_S9_S8_S8_,"axG",@progbits,_ZN2at6native12_GLOBAL__N_16kernel16gru_cell_forwardIddlLi2EEEvNS_4cuda6detail10TensorInfoIT_T1_EES9_S9_S9_S9_S9_S9_S8_S8_,comdat
	.globl	_ZN2at6native12_GLOBAL__N_16kernel16gru_cell_forwardIddlLi2EEEvNS_4cuda6detail10TensorInfoIT_T1_EES9_S9_S9_S9_S9_S9_S8_S8_ ; -- Begin function _ZN2at6native12_GLOBAL__N_16kernel16gru_cell_forwardIddlLi2EEEvNS_4cuda6detail10TensorInfoIT_T1_EES9_S9_S9_S9_S9_S9_S8_S8_
	.p2align	8
	.type	_ZN2at6native12_GLOBAL__N_16kernel16gru_cell_forwardIddlLi2EEEvNS_4cuda6detail10TensorInfoIT_T1_EES9_S9_S9_S9_S9_S9_S8_S8_,@function
_ZN2at6native12_GLOBAL__N_16kernel16gru_cell_forwardIddlLi2EEEvNS_4cuda6detail10TensorInfoIT_T1_EES9_S9_S9_S9_S9_S9_S8_S8_: ; @_ZN2at6native12_GLOBAL__N_16kernel16gru_cell_forwardIddlLi2EEEvNS_4cuda6detail10TensorInfoIT_T1_EES9_S9_S9_S9_S9_S9_S8_S8_
; %bb.0:
	s_clause 0x1
	s_load_b32 s2, s[0:1], 0xb7c
	s_load_b128 s[4:7], s[0:1], 0xb60
	v_mov_b32_e32 v1, 0
	s_mov_b32 s3, exec_lo
	s_wait_kmcnt 0x0
	s_and_b32 s2, s2, 0xffff
	s_delay_alu instid0(VALU_DEP_1) | instid1(SALU_CYCLE_1)
	v_mad_co_u64_u32 v[3:4], null, ttmp9, s2, v[0:1]
	v_mov_b32_e32 v4, v1
	s_delay_alu instid0(VALU_DEP_1)
	v_cmpx_gt_i64_e64 s[6:7], v[3:4]
	s_cbranch_execz .LBB35_62
; %bb.1:
	s_add_nc_u64 s[8:9], s[0:1], 0xb70
	s_load_b64 s[28:29], s[0:1], 0x340
	s_load_b32 s3, s[8:9], 0x0
	s_clause 0x10
	s_load_b64 s[30:31], s[0:1], 0x0
	s_load_b64 s[34:35], s[0:1], 0x10
	s_load_b128 s[8:11], s[0:1], 0xd0
	s_load_b64 s[36:37], s[0:1], 0x1a0
	s_load_b64 s[38:39], s[0:1], 0x680
	;; [unrolled: 1-line block ×5, first 2 shown]
	s_load_b128 s[12:15], s[0:1], 0x270
	s_load_b64 s[46:47], s[0:1], 0x410
	s_load_b64 s[48:49], s[0:1], 0x4e0
	;; [unrolled: 1-line block ×3, first 2 shown]
	s_load_b128 s[16:19], s[0:1], 0x750
	s_load_b64 s[52:53], s[0:1], 0x820
	s_load_b128 s[20:23], s[0:1], 0x8f0
	s_load_b64 s[54:55], s[0:1], 0x9c0
	s_load_b64 s[56:57], s[0:1], 0x9d0
	v_cvt_f32_u32_e32 v0, s4
	s_load_b128 s[24:27], s[0:1], 0xa90
	s_wait_kmcnt 0x0
	s_cmp_lg_u64 s[28:29], 0
	s_mov_b32 s68, 0x652b82fe
	v_cvt_f32_u32_e32 v2, s34
	v_rcp_iflag_f32_e32 v0, v0
	s_mov_b32 s70, 0xfefa39ef
	s_mov_b32 s76, 0x6a5dcb37
	;; [unrolled: 1-line block ×3, first 2 shown]
	v_rcp_iflag_f32_e32 v2, v2
	s_mov_b32 s80, 0x7c89e6b0
	s_mov_b32 s82, 0x14761f6e
	;; [unrolled: 1-line block ×5, first 2 shown]
	v_mul_f32_e32 v0, 0x4f7ffffe, v0
	s_mov_b32 s90, 0x55555511
	s_mov_b32 s92, 11
	s_cselect_b32 s33, -1, 0
	v_mul_f32_e32 v2, 0x4f7ffffe, v2
	v_cvt_u32_f32_e32 v0, v0
	s_mul_i32 s104, s3, s2
	s_mov_b32 s3, 0
	s_lshl_b64 s[58:59], s[4:5], 1
	v_cvt_u32_f32_e32 v35, v2
	s_lshl_b64 s[60:61], s[4:5], 2
	s_sub_nc_u64 s[62:63], 0, s[4:5]
	s_sub_nc_u64 s[64:65], 0, s[40:41]
	;; [unrolled: 1-line block ×3, first 2 shown]
	s_mov_b32 s69, 0xbff71547
	s_mov_b32 s71, 0xbfe62e42
	;; [unrolled: 1-line block ×13, first 2 shown]
	s_mov_b32 vcc_hi, 0
	s_branch .LBB35_3
.LBB35_2:                               ;   in Loop: Header=BB35_3 Depth=1
	s_wait_alu 0xfffe
	s_or_b32 exec_lo, exec_lo, s0
	s_delay_alu instid0(VALU_DEP_1) | instskip(SKIP_3) | instid1(VALU_DEP_2)
	v_mul_lo_u32 v2, v10, s56
	v_mul_lo_u32 v13, v9, s57
	v_mad_co_u64_u32 v[11:12], null, v9, s56, 0
	v_mul_lo_u32 v14, v10, s24
	v_add3_u32 v2, v12, v13, v2
	s_delay_alu instid0(VALU_DEP_3) | instskip(SKIP_2) | instid1(VALU_DEP_3)
	v_sub_co_u32 v5, vcc_lo, v5, v11
	v_mul_lo_u32 v11, v9, s25
	s_wait_alu 0xfffd
	v_sub_co_ci_u32_e64 v2, null, v6, v2, vcc_lo
	s_delay_alu instid0(VALU_DEP_3) | instskip(SKIP_2) | instid1(VALU_DEP_3)
	v_add_co_u32 v10, vcc_lo, v3, v5
	v_mad_co_u64_u32 v[5:6], null, v9, s24, 0
	s_wait_alu 0xfffd
	v_add_co_ci_u32_e64 v2, null, v4, v2, vcc_lo
	s_delay_alu instid0(VALU_DEP_3) | instskip(SKIP_1) | instid1(VALU_DEP_3)
	v_mul_lo_u32 v12, v10, s27
	v_mad_co_u64_u32 v[9:10], null, v10, s26, 0
	v_mul_lo_u32 v2, v2, s26
	v_add3_u32 v6, v6, v11, v14
	v_add_co_u32 v3, vcc_lo, v3, s104
	s_wait_alu 0xfffd
	v_add_co_ci_u32_e64 v4, null, 0, v4, vcc_lo
	s_delay_alu instid0(VALU_DEP_3) | instskip(SKIP_1) | instid1(VALU_DEP_2)
	v_lshlrev_b64_e32 v[5:6], 3, v[5:6]
	v_add3_u32 v10, v10, v12, v2
	v_add_co_u32 v2, vcc_lo, s54, v5
	s_delay_alu instid0(VALU_DEP_2) | instskip(SKIP_1) | instid1(VALU_DEP_4)
	v_lshlrev_b64_e32 v[9:10], 3, v[9:10]
	s_wait_alu 0xfffd
	v_add_co_ci_u32_e64 v6, null, s55, v6, vcc_lo
	v_cmp_le_i64_e32 vcc_lo, s[6:7], v[3:4]
	s_delay_alu instid0(VALU_DEP_3) | instskip(SKIP_1) | instid1(VALU_DEP_3)
	v_add_co_u32 v5, s0, v2, v9
	s_wait_alu 0xf1ff
	v_add_co_ci_u32_e64 v6, null, v6, v10, s0
	s_or_b32 vcc_hi, vcc_lo, vcc_hi
	global_store_b64 v[5:6], v[7:8], off
	s_wait_alu 0xfffe
	s_and_not1_b32 exec_lo, exec_lo, vcc_hi
	s_cbranch_execz .LBB35_62
.LBB35_3:                               ; =>This Inner Loop Header: Depth=1
	v_or_b32_e32 v2, s5, v4
	v_ashrrev_i32_e32 v23, 31, v4
                                        ; implicit-def: $vgpr5_vgpr6
	s_mov_b32 s0, exec_lo
	s_delay_alu instid0(VALU_DEP_2)
	v_cmpx_ne_u64_e32 0, v[1:2]
	s_wait_alu 0xfffe
	s_xor_b32 s94, exec_lo, s0
	s_cbranch_execz .LBB35_5
; %bb.4:                                ;   in Loop: Header=BB35_3 Depth=1
	s_ashr_i32 s102, s5, 31
	s_wait_alu 0xfffe
	s_mov_b32 s103, s102
	s_wait_alu 0xfffe
	s_add_nc_u64 s[0:1], s[4:5], s[102:103]
	s_wait_alu 0xfffe
	s_xor_b64 s[98:99], s[0:1], s[102:103]
	s_wait_alu 0xfffe
	s_cvt_f32_u32 s0, s98
	s_cvt_f32_u32 s1, s99
	s_sub_nc_u64 s[100:101], 0, s[98:99]
	s_wait_alu 0xfffe
	s_delay_alu instid0(SALU_CYCLE_1) | instskip(SKIP_1) | instid1(SALU_CYCLE_2)
	s_fmamk_f32 s0, s1, 0x4f800000, s0
	s_wait_alu 0xfffe
	v_s_rcp_f32 s0, s0
	s_delay_alu instid0(TRANS32_DEP_1) | instskip(SKIP_1) | instid1(SALU_CYCLE_2)
	s_mul_f32 s0, s0, 0x5f7ffffc
	s_wait_alu 0xfffe
	s_mul_f32 s1, s0, 0x2f800000
	s_wait_alu 0xfffe
	s_delay_alu instid0(SALU_CYCLE_2) | instskip(SKIP_1) | instid1(SALU_CYCLE_2)
	s_trunc_f32 s1, s1
	s_wait_alu 0xfffe
	s_fmamk_f32 s0, s1, 0xcf800000, s0
	s_cvt_u32_f32 s1, s1
	s_wait_alu 0xfffe
	s_delay_alu instid0(SALU_CYCLE_1) | instskip(SKIP_1) | instid1(SALU_CYCLE_2)
	s_cvt_u32_f32 s0, s0
	s_wait_alu 0xfffe
	s_mul_u64 s[72:73], s[100:101], s[0:1]
	s_wait_alu 0xfffe
	s_mul_hi_u32 s75, s0, s73
	s_mul_i32 s74, s0, s73
	s_mul_hi_u32 s2, s0, s72
	s_mul_i32 s103, s1, s72
	s_wait_alu 0xfffe
	s_add_nc_u64 s[74:75], s[2:3], s[74:75]
	s_mul_hi_u32 s97, s1, s72
	s_mul_hi_u32 vcc_lo, s1, s73
	s_wait_alu 0xfffe
	s_add_co_u32 s2, s74, s103
	s_add_co_ci_u32 s2, s75, s97
	s_mul_i32 s72, s1, s73
	s_add_co_ci_u32 s73, vcc_lo, 0
	v_add_co_u32 v2, vcc_lo, v3, v23
	s_wait_alu 0xfffe
	s_add_nc_u64 s[72:73], s[2:3], s[72:73]
	s_wait_alu 0xfffd
	v_add_co_ci_u32_e64 v5, null, v4, v23, vcc_lo
	s_wait_alu 0xfffe
	s_add_co_u32 s0, s0, s72
	s_cselect_b32 s2, -1, 0
	v_xor_b32_e32 v2, v2, v23
	s_wait_alu 0xfffe
	s_cmp_lg_u32 s2, 0
	v_xor_b32_e32 v11, v5, v23
	s_add_co_ci_u32 s1, s1, s73
	s_wait_alu 0xfffe
	s_mul_u64 s[72:73], s[100:101], s[0:1]
	s_wait_alu 0xfffe
	s_mul_hi_u32 s75, s0, s73
	s_mul_i32 s74, s0, s73
	s_mul_hi_u32 s2, s0, s72
	s_mul_i32 s100, s1, s72
	s_wait_alu 0xfffe
	s_add_nc_u64 s[74:75], s[2:3], s[74:75]
	s_mul_hi_u32 s97, s1, s72
	s_mul_hi_u32 s101, s1, s73
	s_wait_alu 0xfffe
	s_add_co_u32 s2, s74, s100
	s_add_co_ci_u32 s2, s75, s97
	s_mul_i32 s72, s1, s73
	s_add_co_ci_u32 s73, s101, 0
	s_wait_alu 0xfffe
	s_add_nc_u64 s[72:73], s[2:3], s[72:73]
	s_wait_alu 0xfffe
	s_add_co_u32 s0, s0, s72
	s_cselect_b32 s2, -1, 0
	s_wait_alu 0xfffe
	v_mul_hi_u32 v12, v2, s0
	s_cmp_lg_u32 s2, 0
	v_mad_co_u64_u32 v[7:8], null, v11, s0, 0
	s_add_co_ci_u32 s1, s1, s73
	s_wait_alu 0xfffe
	v_mad_co_u64_u32 v[5:6], null, v2, s1, 0
	v_mad_co_u64_u32 v[9:10], null, v11, s1, 0
	s_delay_alu instid0(VALU_DEP_2) | instskip(SKIP_1) | instid1(VALU_DEP_3)
	v_add_co_u32 v5, vcc_lo, v12, v5
	s_wait_alu 0xfffd
	v_add_co_ci_u32_e64 v6, null, 0, v6, vcc_lo
	s_delay_alu instid0(VALU_DEP_2) | instskip(SKIP_1) | instid1(VALU_DEP_2)
	v_add_co_u32 v5, vcc_lo, v5, v7
	s_wait_alu 0xfffd
	v_add_co_ci_u32_e32 v5, vcc_lo, v6, v8, vcc_lo
	s_wait_alu 0xfffd
	v_add_co_ci_u32_e32 v6, vcc_lo, 0, v10, vcc_lo
	s_delay_alu instid0(VALU_DEP_2) | instskip(SKIP_1) | instid1(VALU_DEP_2)
	v_add_co_u32 v7, vcc_lo, v5, v9
	s_wait_alu 0xfffd
	v_add_co_ci_u32_e64 v8, null, 0, v6, vcc_lo
	s_delay_alu instid0(VALU_DEP_2) | instskip(SKIP_1) | instid1(VALU_DEP_3)
	v_mul_lo_u32 v9, s99, v7
	v_mad_co_u64_u32 v[5:6], null, s98, v7, 0
	v_mul_lo_u32 v10, s98, v8
	s_delay_alu instid0(VALU_DEP_2) | instskip(NEXT) | instid1(VALU_DEP_2)
	v_sub_co_u32 v2, vcc_lo, v2, v5
	v_add3_u32 v6, v6, v10, v9
	s_delay_alu instid0(VALU_DEP_2) | instskip(NEXT) | instid1(VALU_DEP_2)
	v_cmp_le_u32_e64 s1, s98, v2
	v_sub_nc_u32_e32 v9, v11, v6
	s_wait_alu 0xfffd
	v_sub_co_ci_u32_e64 v6, null, v11, v6, vcc_lo
	s_wait_alu 0xf1ff
	v_cndmask_b32_e64 v10, 0, -1, s1
	v_subrev_co_ci_u32_e64 v5, null, s99, v9, vcc_lo
	v_sub_co_u32 v9, s0, v2, s98
	v_cmp_le_u32_e64 s2, s99, v6
	s_wait_alu 0xf1ff
	s_delay_alu instid0(VALU_DEP_3) | instskip(NEXT) | instid1(VALU_DEP_3)
	v_subrev_co_ci_u32_e64 v5, null, 0, v5, s0
	v_cmp_le_u32_e32 vcc_lo, s98, v9
	v_cmp_eq_u32_e64 s1, s99, v6
	v_cndmask_b32_e64 v6, 0, -1, s2
	s_delay_alu instid0(VALU_DEP_4)
	v_cmp_le_u32_e64 s0, s99, v5
	s_wait_alu 0xfffd
	v_cndmask_b32_e64 v2, 0, -1, vcc_lo
	v_cmp_eq_u32_e32 vcc_lo, s99, v5
	s_wait_alu 0xf1ff
	v_cndmask_b32_e64 v6, v6, v10, s1
	v_cndmask_b32_e64 v5, 0, -1, s0
	v_add_co_u32 v9, s0, v7, 2
	s_wait_alu 0xfffd
	s_delay_alu instid0(VALU_DEP_2) | instskip(SKIP_3) | instid1(VALU_DEP_3)
	v_cndmask_b32_e32 v2, v5, v2, vcc_lo
	s_wait_alu 0xf1ff
	v_add_co_ci_u32_e64 v5, null, 0, v8, s0
	v_add_co_u32 v11, vcc_lo, v7, 1
	v_cmp_ne_u32_e64 s0, 0, v2
	s_wait_alu 0xfffd
	v_add_co_ci_u32_e64 v2, null, 0, v8, vcc_lo
	v_cmp_ne_u32_e32 vcc_lo, 0, v6
	s_wait_alu 0xf1ff
	v_cndmask_b32_e64 v6, v11, v9, s0
	s_delay_alu instid0(VALU_DEP_3) | instskip(SKIP_2) | instid1(VALU_DEP_3)
	v_cndmask_b32_e64 v2, v2, v5, s0
	v_xor_b32_e32 v9, s102, v23
	s_wait_alu 0xfffd
	v_cndmask_b32_e32 v5, v7, v6, vcc_lo
	s_delay_alu instid0(VALU_DEP_3) | instskip(NEXT) | instid1(VALU_DEP_2)
	v_cndmask_b32_e32 v2, v8, v2, vcc_lo
	v_xor_b32_e32 v5, v5, v9
	s_delay_alu instid0(VALU_DEP_2) | instskip(NEXT) | instid1(VALU_DEP_2)
	v_xor_b32_e32 v2, v2, v9
	v_sub_co_u32 v5, vcc_lo, v5, v9
	s_wait_alu 0xfffd
	s_delay_alu instid0(VALU_DEP_2)
	v_sub_co_ci_u32_e64 v6, null, v2, v9, vcc_lo
.LBB35_5:                               ;   in Loop: Header=BB35_3 Depth=1
	s_wait_alu 0xfffe
	s_and_not1_saveexec_b32 s0, s94
	s_cbranch_execz .LBB35_7
; %bb.6:                                ;   in Loop: Header=BB35_3 Depth=1
	s_sub_co_i32 s1, 0, s4
	s_wait_alu 0xfffe
	v_mul_lo_u32 v2, s1, v0
	s_delay_alu instid0(VALU_DEP_1) | instskip(NEXT) | instid1(VALU_DEP_1)
	v_mul_hi_u32 v2, v0, v2
	v_add_nc_u32_e32 v2, v0, v2
	s_delay_alu instid0(VALU_DEP_1) | instskip(NEXT) | instid1(VALU_DEP_1)
	v_mul_hi_u32 v2, v3, v2
	v_mul_lo_u32 v5, v2, s4
	v_add_nc_u32_e32 v6, 1, v2
	s_delay_alu instid0(VALU_DEP_2) | instskip(NEXT) | instid1(VALU_DEP_1)
	v_sub_nc_u32_e32 v5, v3, v5
	v_subrev_nc_u32_e32 v7, s4, v5
	v_cmp_le_u32_e32 vcc_lo, s4, v5
	s_wait_alu 0xfffd
	s_delay_alu instid0(VALU_DEP_2) | instskip(NEXT) | instid1(VALU_DEP_1)
	v_dual_cndmask_b32 v5, v5, v7 :: v_dual_cndmask_b32 v2, v2, v6
	v_cmp_le_u32_e32 vcc_lo, s4, v5
	s_delay_alu instid0(VALU_DEP_2) | instskip(SKIP_1) | instid1(VALU_DEP_1)
	v_add_nc_u32_e32 v6, 1, v2
	s_wait_alu 0xfffd
	v_dual_cndmask_b32 v5, v2, v6 :: v_dual_mov_b32 v6, v1
.LBB35_7:                               ;   in Loop: Header=BB35_3 Depth=1
	s_wait_alu 0xfffe
	s_or_b32 exec_lo, exec_lo, s0
	s_delay_alu instid0(VALU_DEP_1) | instskip(NEXT) | instid1(VALU_DEP_2)
	v_mul_lo_u32 v2, s59, v5
	v_mul_lo_u32 v7, s58, v6
	v_mad_co_u64_u32 v[11:12], null, s58, v5, 0
	s_mov_b32 s0, exec_lo
	v_add3_u32 v12, v12, v7, v2
	v_add_co_u32 v25, vcc_lo, v3, v11
                                        ; implicit-def: $vgpr7_vgpr8
	s_wait_alu 0xfffd
	s_delay_alu instid0(VALU_DEP_2) | instskip(NEXT) | instid1(VALU_DEP_1)
	v_add_co_ci_u32_e64 v28, null, v4, v12, vcc_lo
	v_or_b32_e32 v2, s35, v28
	v_ashrrev_i32_e32 v21, 31, v28
	s_delay_alu instid0(VALU_DEP_2)
	v_cmpx_ne_u64_e32 0, v[1:2]
	s_wait_alu 0xfffe
	s_xor_b32 s94, exec_lo, s0
	s_cbranch_execz .LBB35_9
; %bb.8:                                ;   in Loop: Header=BB35_3 Depth=1
	s_ashr_i32 s102, s35, 31
	s_wait_alu 0xfffe
	s_mov_b32 s103, s102
	s_wait_alu 0xfffe
	s_add_nc_u64 s[0:1], s[34:35], s[102:103]
	s_wait_alu 0xfffe
	s_xor_b64 s[98:99], s[0:1], s[102:103]
	s_wait_alu 0xfffe
	s_cvt_f32_u32 s0, s98
	s_cvt_f32_u32 s1, s99
	s_sub_nc_u64 s[72:73], 0, s[98:99]
	s_wait_alu 0xfffe
	s_delay_alu instid0(SALU_CYCLE_1) | instskip(SKIP_1) | instid1(SALU_CYCLE_2)
	s_fmamk_f32 s0, s1, 0x4f800000, s0
	s_wait_alu 0xfffe
	v_s_rcp_f32 s0, s0
	s_delay_alu instid0(TRANS32_DEP_1) | instskip(SKIP_1) | instid1(SALU_CYCLE_2)
	s_mul_f32 s0, s0, 0x5f7ffffc
	s_wait_alu 0xfffe
	s_mul_f32 s1, s0, 0x2f800000
	s_wait_alu 0xfffe
	s_delay_alu instid0(SALU_CYCLE_2) | instskip(SKIP_1) | instid1(SALU_CYCLE_2)
	s_trunc_f32 s1, s1
	s_wait_alu 0xfffe
	s_fmamk_f32 s0, s1, 0xcf800000, s0
	s_cvt_u32_f32 s1, s1
	s_wait_alu 0xfffe
	s_delay_alu instid0(SALU_CYCLE_1) | instskip(SKIP_1) | instid1(SALU_CYCLE_2)
	s_cvt_u32_f32 s0, s0
	s_wait_alu 0xfffe
	s_mul_u64 s[74:75], s[72:73], s[0:1]
	s_wait_alu 0xfffe
	s_mul_hi_u32 s101, s0, s75
	s_mul_i32 s100, s0, s75
	s_mul_hi_u32 s2, s0, s74
	s_mul_i32 s103, s1, s74
	s_wait_alu 0xfffe
	s_add_nc_u64 s[100:101], s[2:3], s[100:101]
	s_mul_hi_u32 s97, s1, s74
	s_mul_hi_u32 vcc_lo, s1, s75
	s_add_co_u32 s2, s100, s103
	s_wait_alu 0xfffe
	s_add_co_ci_u32 s2, s101, s97
	s_mul_i32 s74, s1, s75
	s_add_co_ci_u32 s75, vcc_lo, 0
	v_add_co_u32 v2, vcc_lo, v25, v21
	s_wait_alu 0xfffe
	s_add_nc_u64 s[74:75], s[2:3], s[74:75]
	s_wait_alu 0xfffd
	v_add_co_ci_u32_e64 v7, null, v28, v21, vcc_lo
	s_wait_alu 0xfffe
	s_add_co_u32 s0, s0, s74
	s_cselect_b32 s2, -1, 0
	v_xor_b32_e32 v2, v2, v21
	s_wait_alu 0xfffe
	s_cmp_lg_u32 s2, 0
	v_xor_b32_e32 v15, v7, v21
	s_add_co_ci_u32 s1, s1, s75
	s_wait_alu 0xfffe
	s_mul_u64 s[72:73], s[72:73], s[0:1]
	s_wait_alu 0xfffe
	s_mul_hi_u32 s75, s0, s73
	s_mul_i32 s74, s0, s73
	s_mul_hi_u32 s2, s0, s72
	s_mul_i32 s100, s1, s72
	s_wait_alu 0xfffe
	s_add_nc_u64 s[74:75], s[2:3], s[74:75]
	s_mul_hi_u32 s97, s1, s72
	s_mul_hi_u32 s101, s1, s73
	s_wait_alu 0xfffe
	s_add_co_u32 s2, s74, s100
	s_add_co_ci_u32 s2, s75, s97
	s_mul_i32 s72, s1, s73
	s_add_co_ci_u32 s73, s101, 0
	s_wait_alu 0xfffe
	s_add_nc_u64 s[72:73], s[2:3], s[72:73]
	s_wait_alu 0xfffe
	s_add_co_u32 s0, s0, s72
	s_cselect_b32 s2, -1, 0
	s_wait_alu 0xfffe
	v_mul_hi_u32 v16, v2, s0
	s_cmp_lg_u32 s2, 0
	v_mad_co_u64_u32 v[9:10], null, v15, s0, 0
	s_add_co_ci_u32 s1, s1, s73
	s_wait_alu 0xfffe
	v_mad_co_u64_u32 v[7:8], null, v2, s1, 0
	v_mad_co_u64_u32 v[13:14], null, v15, s1, 0
	s_delay_alu instid0(VALU_DEP_2) | instskip(SKIP_1) | instid1(VALU_DEP_3)
	v_add_co_u32 v7, vcc_lo, v16, v7
	s_wait_alu 0xfffd
	v_add_co_ci_u32_e64 v8, null, 0, v8, vcc_lo
	s_delay_alu instid0(VALU_DEP_2) | instskip(SKIP_1) | instid1(VALU_DEP_2)
	v_add_co_u32 v7, vcc_lo, v7, v9
	s_wait_alu 0xfffd
	v_add_co_ci_u32_e32 v7, vcc_lo, v8, v10, vcc_lo
	s_wait_alu 0xfffd
	v_add_co_ci_u32_e32 v8, vcc_lo, 0, v14, vcc_lo
	s_delay_alu instid0(VALU_DEP_2) | instskip(SKIP_1) | instid1(VALU_DEP_2)
	v_add_co_u32 v9, vcc_lo, v7, v13
	s_wait_alu 0xfffd
	v_add_co_ci_u32_e64 v10, null, 0, v8, vcc_lo
	s_delay_alu instid0(VALU_DEP_2) | instskip(SKIP_1) | instid1(VALU_DEP_3)
	v_mul_lo_u32 v13, s99, v9
	v_mad_co_u64_u32 v[7:8], null, s98, v9, 0
	v_mul_lo_u32 v14, s98, v10
	s_delay_alu instid0(VALU_DEP_2) | instskip(NEXT) | instid1(VALU_DEP_2)
	v_sub_co_u32 v2, vcc_lo, v2, v7
	v_add3_u32 v8, v8, v14, v13
	s_delay_alu instid0(VALU_DEP_2) | instskip(NEXT) | instid1(VALU_DEP_2)
	v_cmp_le_u32_e64 s1, s98, v2
	v_sub_nc_u32_e32 v13, v15, v8
	s_wait_alu 0xfffd
	v_sub_co_ci_u32_e64 v8, null, v15, v8, vcc_lo
	s_wait_alu 0xf1ff
	v_cndmask_b32_e64 v14, 0, -1, s1
	v_subrev_co_ci_u32_e64 v7, null, s99, v13, vcc_lo
	v_sub_co_u32 v13, s0, v2, s98
	v_cmp_le_u32_e64 s2, s99, v8
	s_wait_alu 0xf1ff
	s_delay_alu instid0(VALU_DEP_3) | instskip(NEXT) | instid1(VALU_DEP_3)
	v_subrev_co_ci_u32_e64 v7, null, 0, v7, s0
	v_cmp_le_u32_e32 vcc_lo, s98, v13
	v_cmp_eq_u32_e64 s1, s99, v8
	v_cndmask_b32_e64 v8, 0, -1, s2
	s_delay_alu instid0(VALU_DEP_4)
	v_cmp_le_u32_e64 s0, s99, v7
	s_wait_alu 0xfffd
	v_cndmask_b32_e64 v2, 0, -1, vcc_lo
	v_cmp_eq_u32_e32 vcc_lo, s99, v7
	s_wait_alu 0xf1ff
	v_cndmask_b32_e64 v8, v8, v14, s1
	v_cndmask_b32_e64 v7, 0, -1, s0
	v_add_co_u32 v13, s0, v9, 2
	s_wait_alu 0xfffd
	s_delay_alu instid0(VALU_DEP_2) | instskip(SKIP_3) | instid1(VALU_DEP_3)
	v_cndmask_b32_e32 v2, v7, v2, vcc_lo
	s_wait_alu 0xf1ff
	v_add_co_ci_u32_e64 v7, null, 0, v10, s0
	v_add_co_u32 v15, vcc_lo, v9, 1
	v_cmp_ne_u32_e64 s0, 0, v2
	s_wait_alu 0xfffd
	v_add_co_ci_u32_e64 v2, null, 0, v10, vcc_lo
	v_cmp_ne_u32_e32 vcc_lo, 0, v8
	s_wait_alu 0xf1ff
	v_cndmask_b32_e64 v8, v15, v13, s0
	s_delay_alu instid0(VALU_DEP_3) | instskip(SKIP_2) | instid1(VALU_DEP_2)
	v_cndmask_b32_e64 v2, v2, v7, s0
	v_xor_b32_e32 v13, s102, v21
	s_wait_alu 0xfffd
	v_dual_cndmask_b32 v7, v9, v8 :: v_dual_cndmask_b32 v2, v10, v2
	s_delay_alu instid0(VALU_DEP_1) | instskip(NEXT) | instid1(VALU_DEP_2)
	v_xor_b32_e32 v7, v7, v13
	v_xor_b32_e32 v2, v2, v13
	s_delay_alu instid0(VALU_DEP_2) | instskip(SKIP_1) | instid1(VALU_DEP_2)
	v_sub_co_u32 v7, vcc_lo, v7, v13
	s_wait_alu 0xfffd
	v_sub_co_ci_u32_e64 v8, null, v2, v13, vcc_lo
.LBB35_9:                               ;   in Loop: Header=BB35_3 Depth=1
	s_wait_alu 0xfffe
	s_and_not1_saveexec_b32 s0, s94
	s_cbranch_execz .LBB35_11
; %bb.10:                               ;   in Loop: Header=BB35_3 Depth=1
	s_sub_co_i32 s1, 0, s34
	s_wait_alu 0xfffe
	v_mul_lo_u32 v2, s1, v35
	s_delay_alu instid0(VALU_DEP_1) | instskip(NEXT) | instid1(VALU_DEP_1)
	v_mul_hi_u32 v2, v35, v2
	v_add_nc_u32_e32 v2, v35, v2
	s_delay_alu instid0(VALU_DEP_1) | instskip(NEXT) | instid1(VALU_DEP_1)
	v_mul_hi_u32 v2, v25, v2
	v_mul_lo_u32 v7, v2, s34
	s_delay_alu instid0(VALU_DEP_1) | instskip(NEXT) | instid1(VALU_DEP_1)
	v_sub_nc_u32_e32 v7, v25, v7
	v_subrev_nc_u32_e32 v9, s34, v7
	v_cmp_le_u32_e32 vcc_lo, s34, v7
	s_wait_alu 0xfffd
	s_delay_alu instid0(VALU_DEP_2) | instskip(NEXT) | instid1(VALU_DEP_1)
	v_dual_cndmask_b32 v7, v7, v9 :: v_dual_add_nc_u32 v8, 1, v2
	v_cndmask_b32_e32 v2, v2, v8, vcc_lo
	s_delay_alu instid0(VALU_DEP_2) | instskip(NEXT) | instid1(VALU_DEP_2)
	v_cmp_le_u32_e32 vcc_lo, s34, v7
	v_add_nc_u32_e32 v8, 1, v2
	s_wait_alu 0xfffd
	s_delay_alu instid0(VALU_DEP_1)
	v_dual_cndmask_b32 v7, v2, v8 :: v_dual_mov_b32 v8, v1
.LBB35_11:                              ;   in Loop: Header=BB35_3 Depth=1
	s_wait_alu 0xfffe
	s_or_b32 exec_lo, exec_lo, s0
	s_delay_alu instid0(VALU_DEP_1) | instskip(NEXT) | instid1(VALU_DEP_2)
	v_mul_lo_u32 v2, v8, s34
	v_mul_lo_u32 v13, v7, s35
	v_mad_co_u64_u32 v[9:10], null, v7, s34, 0
	v_mul_lo_u32 v14, v7, s9
	s_mov_b32 s0, exec_lo
	s_delay_alu instid0(VALU_DEP_2) | instskip(SKIP_1) | instid1(VALU_DEP_4)
	v_add3_u32 v2, v10, v13, v2
	v_mul_lo_u32 v13, v8, s8
	v_sub_co_u32 v8, vcc_lo, v11, v9
	s_wait_alu 0xfffd
	s_delay_alu instid0(VALU_DEP_3) | instskip(NEXT) | instid1(VALU_DEP_2)
	v_sub_co_ci_u32_e64 v2, null, v12, v2, vcc_lo
	v_add_co_u32 v9, vcc_lo, v3, v8
	v_mad_co_u64_u32 v[7:8], null, v7, s8, 0
	s_wait_alu 0xfffd
	s_delay_alu instid0(VALU_DEP_3) | instskip(NEXT) | instid1(VALU_DEP_3)
	v_add_co_ci_u32_e64 v2, null, v4, v2, vcc_lo
	v_mul_lo_u32 v15, v9, s11
	v_mad_co_u64_u32 v[9:10], null, v9, s10, 0
	s_delay_alu instid0(VALU_DEP_3) | instskip(SKIP_2) | instid1(VALU_DEP_2)
	v_mul_lo_u32 v2, v2, s10
	v_add3_u32 v8, v8, v14, v13
	v_lshlrev_b64_e32 v[13:14], 1, v[5:6]
	v_lshlrev_b64_e32 v[7:8], 3, v[7:8]
	s_delay_alu instid0(VALU_DEP_4) | instskip(NEXT) | instid1(VALU_DEP_3)
	v_add3_u32 v10, v10, v15, v2
	v_mad_co_u64_u32 v[17:18], null, s4, v13, s[4:5]
	s_delay_alu instid0(VALU_DEP_3) | instskip(NEXT) | instid1(VALU_DEP_3)
	v_add_co_u32 v2, vcc_lo, s30, v7
	v_lshlrev_b64_e32 v[9:10], 3, v[9:10]
	s_wait_alu 0xfffd
	v_add_co_ci_u32_e64 v8, null, s31, v8, vcc_lo
	s_delay_alu instid0(VALU_DEP_2) | instskip(SKIP_1) | instid1(VALU_DEP_2)
	v_add_co_u32 v7, vcc_lo, v2, v9
	s_wait_alu 0xfffd
	v_add_co_ci_u32_e64 v8, null, v8, v10, vcc_lo
	v_alignbit_b32 v2, v6, v5, 31
	v_mul_lo_u32 v9, s5, v13
	v_add_co_u32 v26, vcc_lo, v3, v17
	global_load_b64 v[7:8], v[7:8], off
	v_mul_lo_u32 v2, s4, v2
	s_delay_alu instid0(VALU_DEP_1) | instskip(SKIP_1) | instid1(VALU_DEP_1)
	v_add3_u32 v18, v9, v18, v2
                                        ; implicit-def: $vgpr9_vgpr10
	s_wait_alu 0xfffd
	v_add_co_ci_u32_e64 v29, null, v4, v18, vcc_lo
	s_delay_alu instid0(VALU_DEP_1) | instskip(SKIP_1) | instid1(VALU_DEP_2)
	v_or_b32_e32 v2, s35, v29
	v_ashrrev_i32_e32 v22, 31, v29
	v_cmpx_ne_u64_e32 0, v[1:2]
	s_wait_alu 0xfffe
	s_xor_b32 s94, exec_lo, s0
	s_cbranch_execz .LBB35_13
; %bb.12:                               ;   in Loop: Header=BB35_3 Depth=1
	s_ashr_i32 s102, s35, 31
	s_wait_alu 0xfffe
	s_mov_b32 s103, s102
	s_wait_alu 0xfffe
	s_add_nc_u64 s[0:1], s[34:35], s[102:103]
	s_wait_alu 0xfffe
	s_xor_b64 s[98:99], s[0:1], s[102:103]
	s_wait_alu 0xfffe
	s_cvt_f32_u32 s0, s98
	s_cvt_f32_u32 s1, s99
	s_sub_nc_u64 s[72:73], 0, s[98:99]
	s_wait_alu 0xfffe
	s_delay_alu instid0(SALU_CYCLE_1) | instskip(SKIP_1) | instid1(SALU_CYCLE_2)
	s_fmamk_f32 s0, s1, 0x4f800000, s0
	s_wait_alu 0xfffe
	v_s_rcp_f32 s0, s0
	s_delay_alu instid0(TRANS32_DEP_1) | instskip(SKIP_1) | instid1(SALU_CYCLE_2)
	s_mul_f32 s0, s0, 0x5f7ffffc
	s_wait_alu 0xfffe
	s_mul_f32 s1, s0, 0x2f800000
	s_wait_alu 0xfffe
	s_delay_alu instid0(SALU_CYCLE_2) | instskip(SKIP_1) | instid1(SALU_CYCLE_2)
	s_trunc_f32 s1, s1
	s_wait_alu 0xfffe
	s_fmamk_f32 s0, s1, 0xcf800000, s0
	s_cvt_u32_f32 s1, s1
	s_wait_alu 0xfffe
	s_delay_alu instid0(SALU_CYCLE_1) | instskip(SKIP_1) | instid1(SALU_CYCLE_2)
	s_cvt_u32_f32 s0, s0
	s_wait_alu 0xfffe
	s_mul_u64 s[74:75], s[72:73], s[0:1]
	s_wait_alu 0xfffe
	s_mul_hi_u32 s101, s0, s75
	s_mul_i32 s100, s0, s75
	s_mul_hi_u32 s2, s0, s74
	s_mul_i32 s103, s1, s74
	s_wait_alu 0xfffe
	s_add_nc_u64 s[100:101], s[2:3], s[100:101]
	s_mul_hi_u32 s97, s1, s74
	s_mul_hi_u32 vcc_lo, s1, s75
	s_add_co_u32 s2, s100, s103
	s_wait_alu 0xfffe
	s_add_co_ci_u32 s2, s101, s97
	s_mul_i32 s74, s1, s75
	s_add_co_ci_u32 s75, vcc_lo, 0
	v_add_co_u32 v2, vcc_lo, v26, v22
	s_wait_alu 0xfffe
	s_add_nc_u64 s[74:75], s[2:3], s[74:75]
	s_wait_alu 0xfffd
	v_add_co_ci_u32_e64 v9, null, v29, v22, vcc_lo
	s_wait_alu 0xfffe
	s_add_co_u32 s0, s0, s74
	s_cselect_b32 s2, -1, 0
	v_xor_b32_e32 v2, v2, v22
	s_wait_alu 0xfffe
	s_cmp_lg_u32 s2, 0
	v_xor_b32_e32 v24, v9, v22
	s_add_co_ci_u32 s1, s1, s75
	s_wait_alu 0xfffe
	s_mul_u64 s[72:73], s[72:73], s[0:1]
	s_wait_alu 0xfffe
	s_mul_hi_u32 s75, s0, s73
	s_mul_i32 s74, s0, s73
	s_mul_hi_u32 s2, s0, s72
	s_mul_i32 s100, s1, s72
	s_wait_alu 0xfffe
	s_add_nc_u64 s[74:75], s[2:3], s[74:75]
	s_mul_hi_u32 s97, s1, s72
	s_mul_hi_u32 s101, s1, s73
	s_wait_alu 0xfffe
	s_add_co_u32 s2, s74, s100
	s_add_co_ci_u32 s2, s75, s97
	s_mul_i32 s72, s1, s73
	s_add_co_ci_u32 s73, s101, 0
	s_wait_alu 0xfffe
	s_add_nc_u64 s[72:73], s[2:3], s[72:73]
	s_wait_alu 0xfffe
	s_add_co_u32 s0, s0, s72
	s_cselect_b32 s2, -1, 0
	s_wait_alu 0xfffe
	v_mul_hi_u32 v27, v2, s0
	s_cmp_lg_u32 s2, 0
	v_mad_co_u64_u32 v[15:16], null, v24, s0, 0
	s_add_co_ci_u32 s1, s1, s73
	s_wait_alu 0xfffe
	v_mad_co_u64_u32 v[9:10], null, v2, s1, 0
	v_mad_co_u64_u32 v[19:20], null, v24, s1, 0
	s_delay_alu instid0(VALU_DEP_2) | instskip(SKIP_1) | instid1(VALU_DEP_3)
	v_add_co_u32 v9, vcc_lo, v27, v9
	s_wait_alu 0xfffd
	v_add_co_ci_u32_e64 v10, null, 0, v10, vcc_lo
	s_delay_alu instid0(VALU_DEP_2) | instskip(SKIP_1) | instid1(VALU_DEP_2)
	v_add_co_u32 v9, vcc_lo, v9, v15
	s_wait_alu 0xfffd
	v_add_co_ci_u32_e32 v9, vcc_lo, v10, v16, vcc_lo
	s_wait_alu 0xfffd
	v_add_co_ci_u32_e32 v10, vcc_lo, 0, v20, vcc_lo
	s_delay_alu instid0(VALU_DEP_2) | instskip(SKIP_1) | instid1(VALU_DEP_2)
	v_add_co_u32 v15, vcc_lo, v9, v19
	s_wait_alu 0xfffd
	v_add_co_ci_u32_e64 v16, null, 0, v10, vcc_lo
	s_delay_alu instid0(VALU_DEP_2) | instskip(SKIP_1) | instid1(VALU_DEP_3)
	v_mul_lo_u32 v19, s99, v15
	v_mad_co_u64_u32 v[9:10], null, s98, v15, 0
	v_mul_lo_u32 v20, s98, v16
	s_delay_alu instid0(VALU_DEP_2) | instskip(NEXT) | instid1(VALU_DEP_2)
	v_sub_co_u32 v2, vcc_lo, v2, v9
	v_add3_u32 v10, v10, v20, v19
	s_delay_alu instid0(VALU_DEP_2) | instskip(NEXT) | instid1(VALU_DEP_2)
	v_cmp_le_u32_e64 s1, s98, v2
	v_sub_nc_u32_e32 v19, v24, v10
	s_wait_alu 0xfffd
	v_sub_co_ci_u32_e64 v10, null, v24, v10, vcc_lo
	s_wait_alu 0xf1ff
	v_cndmask_b32_e64 v20, 0, -1, s1
	v_subrev_co_ci_u32_e64 v9, null, s99, v19, vcc_lo
	v_sub_co_u32 v19, s0, v2, s98
	v_cmp_le_u32_e64 s2, s99, v10
	s_wait_alu 0xf1ff
	s_delay_alu instid0(VALU_DEP_3) | instskip(NEXT) | instid1(VALU_DEP_3)
	v_subrev_co_ci_u32_e64 v9, null, 0, v9, s0
	v_cmp_le_u32_e32 vcc_lo, s98, v19
	v_cmp_eq_u32_e64 s1, s99, v10
	v_cndmask_b32_e64 v10, 0, -1, s2
	s_delay_alu instid0(VALU_DEP_4)
	v_cmp_le_u32_e64 s0, s99, v9
	s_wait_alu 0xfffd
	v_cndmask_b32_e64 v2, 0, -1, vcc_lo
	v_cmp_eq_u32_e32 vcc_lo, s99, v9
	s_wait_alu 0xf1ff
	v_cndmask_b32_e64 v10, v10, v20, s1
	v_cndmask_b32_e64 v9, 0, -1, s0
	v_add_co_u32 v19, s0, v15, 2
	s_wait_alu 0xfffd
	s_delay_alu instid0(VALU_DEP_2) | instskip(SKIP_3) | instid1(VALU_DEP_3)
	v_cndmask_b32_e32 v2, v9, v2, vcc_lo
	s_wait_alu 0xf1ff
	v_add_co_ci_u32_e64 v9, null, 0, v16, s0
	v_add_co_u32 v24, vcc_lo, v15, 1
	v_cmp_ne_u32_e64 s0, 0, v2
	s_wait_alu 0xfffd
	v_add_co_ci_u32_e64 v2, null, 0, v16, vcc_lo
	v_cmp_ne_u32_e32 vcc_lo, 0, v10
	s_wait_alu 0xf1ff
	v_cndmask_b32_e64 v10, v24, v19, s0
	s_delay_alu instid0(VALU_DEP_3) | instskip(SKIP_2) | instid1(VALU_DEP_3)
	v_cndmask_b32_e64 v2, v2, v9, s0
	v_xor_b32_e32 v19, s102, v22
	s_wait_alu 0xfffd
	v_cndmask_b32_e32 v9, v15, v10, vcc_lo
	s_delay_alu instid0(VALU_DEP_3) | instskip(NEXT) | instid1(VALU_DEP_2)
	v_cndmask_b32_e32 v2, v16, v2, vcc_lo
	v_xor_b32_e32 v9, v9, v19
	s_delay_alu instid0(VALU_DEP_2) | instskip(NEXT) | instid1(VALU_DEP_2)
	v_xor_b32_e32 v2, v2, v19
	v_sub_co_u32 v9, vcc_lo, v9, v19
	s_wait_alu 0xfffd
	s_delay_alu instid0(VALU_DEP_2)
	v_sub_co_ci_u32_e64 v10, null, v2, v19, vcc_lo
.LBB35_13:                              ;   in Loop: Header=BB35_3 Depth=1
	s_wait_alu 0xfffe
	s_and_not1_saveexec_b32 s0, s94
	s_cbranch_execz .LBB35_15
; %bb.14:                               ;   in Loop: Header=BB35_3 Depth=1
	s_sub_co_i32 s1, 0, s34
	s_wait_alu 0xfffe
	v_mul_lo_u32 v2, s1, v35
	s_delay_alu instid0(VALU_DEP_1) | instskip(NEXT) | instid1(VALU_DEP_1)
	v_mul_hi_u32 v2, v35, v2
	v_add_nc_u32_e32 v2, v35, v2
	s_delay_alu instid0(VALU_DEP_1) | instskip(NEXT) | instid1(VALU_DEP_1)
	v_mul_hi_u32 v2, v26, v2
	v_mul_lo_u32 v9, v2, s34
	v_add_nc_u32_e32 v10, 1, v2
	s_delay_alu instid0(VALU_DEP_2) | instskip(NEXT) | instid1(VALU_DEP_1)
	v_sub_nc_u32_e32 v9, v26, v9
	v_subrev_nc_u32_e32 v15, s34, v9
	v_cmp_le_u32_e32 vcc_lo, s34, v9
	s_wait_alu 0xfffd
	s_delay_alu instid0(VALU_DEP_2) | instskip(NEXT) | instid1(VALU_DEP_1)
	v_dual_cndmask_b32 v9, v9, v15 :: v_dual_cndmask_b32 v2, v2, v10
	v_cmp_le_u32_e32 vcc_lo, s34, v9
	s_delay_alu instid0(VALU_DEP_2) | instskip(SKIP_1) | instid1(VALU_DEP_1)
	v_add_nc_u32_e32 v10, 1, v2
	s_wait_alu 0xfffd
	v_dual_cndmask_b32 v9, v2, v10 :: v_dual_mov_b32 v10, v1
.LBB35_15:                              ;   in Loop: Header=BB35_3 Depth=1
	s_wait_alu 0xfffe
	s_or_b32 exec_lo, exec_lo, s0
	s_delay_alu instid0(VALU_DEP_1) | instskip(NEXT) | instid1(VALU_DEP_2)
	v_mul_lo_u32 v2, v10, s34
	v_mul_lo_u32 v19, v9, s35
	v_mad_co_u64_u32 v[15:16], null, v9, s34, 0
	v_mul_lo_u32 v20, v9, s9
	s_mov_b32 s0, exec_lo
	s_delay_alu instid0(VALU_DEP_2) | instskip(SKIP_1) | instid1(VALU_DEP_4)
	v_add3_u32 v2, v16, v19, v2
	v_mul_lo_u32 v19, v10, s8
	v_sub_co_u32 v10, vcc_lo, v17, v15
	s_wait_alu 0xfffd
	s_delay_alu instid0(VALU_DEP_3) | instskip(NEXT) | instid1(VALU_DEP_2)
	v_sub_co_ci_u32_e64 v2, null, v18, v2, vcc_lo
	v_add_co_u32 v15, vcc_lo, v3, v10
	v_mad_co_u64_u32 v[9:10], null, v9, s8, 0
	s_wait_alu 0xfffd
	s_delay_alu instid0(VALU_DEP_3) | instskip(NEXT) | instid1(VALU_DEP_3)
	v_add_co_ci_u32_e64 v2, null, v4, v2, vcc_lo
	v_mul_lo_u32 v24, v15, s11
	v_mad_co_u64_u32 v[15:16], null, v15, s10, 0
	s_delay_alu instid0(VALU_DEP_3) | instskip(SKIP_1) | instid1(VALU_DEP_1)
	v_mul_lo_u32 v2, v2, s10
	v_add3_u32 v10, v10, v20, v19
	v_lshlrev_b64_e32 v[9:10], 3, v[9:10]
	s_delay_alu instid0(VALU_DEP_3) | instskip(NEXT) | instid1(VALU_DEP_2)
	v_add3_u32 v16, v16, v24, v2
	v_add_co_u32 v2, vcc_lo, s30, v9
	s_delay_alu instid0(VALU_DEP_2) | instskip(SKIP_1) | instid1(VALU_DEP_4)
	v_lshlrev_b64_e32 v[15:16], 3, v[15:16]
	s_wait_alu 0xfffd
	v_add_co_ci_u32_e64 v10, null, s31, v10, vcc_lo
	s_delay_alu instid0(VALU_DEP_2) | instskip(SKIP_1) | instid1(VALU_DEP_2)
	v_add_co_u32 v9, vcc_lo, v2, v15
	s_wait_alu 0xfffd
	v_add_co_ci_u32_e64 v10, null, v10, v16, vcc_lo
	v_add_co_u32 v2, vcc_lo, v13, 2
	s_wait_alu 0xfffd
	v_add_co_ci_u32_e64 v13, null, 0, v14, vcc_lo
	global_load_b64 v[9:10], v[9:10], off
	v_mul_lo_u32 v14, s5, v2
	v_mad_co_u64_u32 v[19:20], null, s4, v2, 0
	v_mul_lo_u32 v13, s4, v13
	s_delay_alu instid0(VALU_DEP_2) | instskip(NEXT) | instid1(VALU_DEP_2)
	v_add_co_u32 v27, vcc_lo, v3, v19
	v_add3_u32 v20, v20, v13, v14
                                        ; implicit-def: $vgpr13_vgpr14
	s_wait_alu 0xfffd
	s_delay_alu instid0(VALU_DEP_1) | instskip(NEXT) | instid1(VALU_DEP_1)
	v_add_co_ci_u32_e64 v30, null, v4, v20, vcc_lo
	v_or_b32_e32 v2, s35, v30
	v_ashrrev_i32_e32 v24, 31, v30
	s_delay_alu instid0(VALU_DEP_2)
	v_cmpx_ne_u64_e32 0, v[1:2]
	s_wait_alu 0xfffe
	s_xor_b32 s94, exec_lo, s0
	s_cbranch_execz .LBB35_17
; %bb.16:                               ;   in Loop: Header=BB35_3 Depth=1
	s_ashr_i32 s102, s35, 31
	s_wait_alu 0xfffe
	s_mov_b32 s103, s102
	s_wait_alu 0xfffe
	s_add_nc_u64 s[0:1], s[34:35], s[102:103]
	s_wait_alu 0xfffe
	s_xor_b64 s[98:99], s[0:1], s[102:103]
	s_wait_alu 0xfffe
	s_cvt_f32_u32 s0, s98
	s_cvt_f32_u32 s1, s99
	s_sub_nc_u64 s[72:73], 0, s[98:99]
	s_wait_alu 0xfffe
	s_delay_alu instid0(SALU_CYCLE_1) | instskip(SKIP_1) | instid1(SALU_CYCLE_2)
	s_fmamk_f32 s0, s1, 0x4f800000, s0
	s_wait_alu 0xfffe
	v_s_rcp_f32 s0, s0
	s_delay_alu instid0(TRANS32_DEP_1) | instskip(SKIP_1) | instid1(SALU_CYCLE_2)
	s_mul_f32 s0, s0, 0x5f7ffffc
	s_wait_alu 0xfffe
	s_mul_f32 s1, s0, 0x2f800000
	s_wait_alu 0xfffe
	s_delay_alu instid0(SALU_CYCLE_2) | instskip(SKIP_1) | instid1(SALU_CYCLE_2)
	s_trunc_f32 s1, s1
	s_wait_alu 0xfffe
	s_fmamk_f32 s0, s1, 0xcf800000, s0
	s_cvt_u32_f32 s1, s1
	s_wait_alu 0xfffe
	s_delay_alu instid0(SALU_CYCLE_1) | instskip(SKIP_1) | instid1(SALU_CYCLE_2)
	s_cvt_u32_f32 s0, s0
	s_wait_alu 0xfffe
	s_mul_u64 s[74:75], s[72:73], s[0:1]
	s_wait_alu 0xfffe
	s_mul_hi_u32 s101, s0, s75
	s_mul_i32 s100, s0, s75
	s_mul_hi_u32 s2, s0, s74
	s_mul_i32 s103, s1, s74
	s_wait_alu 0xfffe
	s_add_nc_u64 s[100:101], s[2:3], s[100:101]
	s_mul_hi_u32 s97, s1, s74
	s_mul_hi_u32 vcc_lo, s1, s75
	s_add_co_u32 s2, s100, s103
	s_wait_alu 0xfffe
	s_add_co_ci_u32 s2, s101, s97
	s_mul_i32 s74, s1, s75
	s_add_co_ci_u32 s75, vcc_lo, 0
	v_add_co_u32 v2, vcc_lo, v27, v24
	s_wait_alu 0xfffe
	s_add_nc_u64 s[74:75], s[2:3], s[74:75]
	s_wait_alu 0xfffd
	v_add_co_ci_u32_e64 v13, null, v30, v24, vcc_lo
	s_wait_alu 0xfffe
	s_add_co_u32 s0, s0, s74
	s_cselect_b32 s2, -1, 0
	v_xor_b32_e32 v2, v2, v24
	s_wait_alu 0xfffe
	s_cmp_lg_u32 s2, 0
	v_xor_b32_e32 v33, v13, v24
	s_add_co_ci_u32 s1, s1, s75
	s_wait_alu 0xfffe
	s_mul_u64 s[72:73], s[72:73], s[0:1]
	s_wait_alu 0xfffe
	s_mul_hi_u32 s75, s0, s73
	s_mul_i32 s74, s0, s73
	s_mul_hi_u32 s2, s0, s72
	s_mul_i32 s100, s1, s72
	s_wait_alu 0xfffe
	s_add_nc_u64 s[74:75], s[2:3], s[74:75]
	s_mul_hi_u32 s97, s1, s72
	s_mul_hi_u32 s101, s1, s73
	s_wait_alu 0xfffe
	s_add_co_u32 s2, s74, s100
	s_add_co_ci_u32 s2, s75, s97
	s_mul_i32 s72, s1, s73
	s_add_co_ci_u32 s73, s101, 0
	s_wait_alu 0xfffe
	s_add_nc_u64 s[72:73], s[2:3], s[72:73]
	s_wait_alu 0xfffe
	s_add_co_u32 s0, s0, s72
	s_cselect_b32 s2, -1, 0
	s_wait_alu 0xfffe
	v_mul_hi_u32 v34, v2, s0
	s_cmp_lg_u32 s2, 0
	v_mad_co_u64_u32 v[15:16], null, v33, s0, 0
	s_add_co_ci_u32 s1, s1, s73
	s_wait_alu 0xfffe
	v_mad_co_u64_u32 v[13:14], null, v2, s1, 0
	v_mad_co_u64_u32 v[31:32], null, v33, s1, 0
	s_delay_alu instid0(VALU_DEP_2) | instskip(SKIP_1) | instid1(VALU_DEP_3)
	v_add_co_u32 v13, vcc_lo, v34, v13
	s_wait_alu 0xfffd
	v_add_co_ci_u32_e64 v14, null, 0, v14, vcc_lo
	s_delay_alu instid0(VALU_DEP_2) | instskip(SKIP_1) | instid1(VALU_DEP_2)
	v_add_co_u32 v13, vcc_lo, v13, v15
	s_wait_alu 0xfffd
	v_add_co_ci_u32_e32 v13, vcc_lo, v14, v16, vcc_lo
	s_wait_alu 0xfffd
	v_add_co_ci_u32_e32 v14, vcc_lo, 0, v32, vcc_lo
	s_delay_alu instid0(VALU_DEP_2) | instskip(SKIP_1) | instid1(VALU_DEP_2)
	v_add_co_u32 v15, vcc_lo, v13, v31
	s_wait_alu 0xfffd
	v_add_co_ci_u32_e64 v16, null, 0, v14, vcc_lo
	s_delay_alu instid0(VALU_DEP_2) | instskip(SKIP_1) | instid1(VALU_DEP_3)
	v_mul_lo_u32 v31, s99, v15
	v_mad_co_u64_u32 v[13:14], null, s98, v15, 0
	v_mul_lo_u32 v32, s98, v16
	s_delay_alu instid0(VALU_DEP_2) | instskip(NEXT) | instid1(VALU_DEP_2)
	v_sub_co_u32 v2, vcc_lo, v2, v13
	v_add3_u32 v14, v14, v32, v31
	s_delay_alu instid0(VALU_DEP_2) | instskip(NEXT) | instid1(VALU_DEP_2)
	v_cmp_le_u32_e64 s1, s98, v2
	v_sub_nc_u32_e32 v31, v33, v14
	s_wait_alu 0xfffd
	v_sub_co_ci_u32_e64 v14, null, v33, v14, vcc_lo
	s_wait_alu 0xf1ff
	v_cndmask_b32_e64 v32, 0, -1, s1
	v_subrev_co_ci_u32_e64 v13, null, s99, v31, vcc_lo
	v_sub_co_u32 v31, s0, v2, s98
	v_cmp_le_u32_e64 s2, s99, v14
	s_wait_alu 0xf1ff
	s_delay_alu instid0(VALU_DEP_3) | instskip(NEXT) | instid1(VALU_DEP_3)
	v_subrev_co_ci_u32_e64 v13, null, 0, v13, s0
	v_cmp_le_u32_e32 vcc_lo, s98, v31
	v_cmp_eq_u32_e64 s1, s99, v14
	v_cndmask_b32_e64 v14, 0, -1, s2
	s_delay_alu instid0(VALU_DEP_4)
	v_cmp_le_u32_e64 s0, s99, v13
	s_wait_alu 0xfffd
	v_cndmask_b32_e64 v2, 0, -1, vcc_lo
	v_cmp_eq_u32_e32 vcc_lo, s99, v13
	s_wait_alu 0xf1ff
	v_cndmask_b32_e64 v14, v14, v32, s1
	v_cndmask_b32_e64 v13, 0, -1, s0
	v_add_co_u32 v31, s0, v15, 2
	s_wait_alu 0xfffd
	s_delay_alu instid0(VALU_DEP_2) | instskip(SKIP_3) | instid1(VALU_DEP_3)
	v_cndmask_b32_e32 v2, v13, v2, vcc_lo
	s_wait_alu 0xf1ff
	v_add_co_ci_u32_e64 v13, null, 0, v16, s0
	v_add_co_u32 v33, vcc_lo, v15, 1
	v_cmp_ne_u32_e64 s0, 0, v2
	s_wait_alu 0xfffd
	v_add_co_ci_u32_e64 v2, null, 0, v16, vcc_lo
	v_cmp_ne_u32_e32 vcc_lo, 0, v14
	s_wait_alu 0xf1ff
	v_cndmask_b32_e64 v14, v33, v31, s0
	s_delay_alu instid0(VALU_DEP_3) | instskip(SKIP_2) | instid1(VALU_DEP_3)
	v_cndmask_b32_e64 v2, v2, v13, s0
	v_xor_b32_e32 v31, s102, v24
	s_wait_alu 0xfffd
	v_cndmask_b32_e32 v13, v15, v14, vcc_lo
	s_delay_alu instid0(VALU_DEP_3) | instskip(NEXT) | instid1(VALU_DEP_2)
	v_cndmask_b32_e32 v2, v16, v2, vcc_lo
	v_xor_b32_e32 v13, v13, v31
	s_delay_alu instid0(VALU_DEP_2) | instskip(NEXT) | instid1(VALU_DEP_2)
	v_xor_b32_e32 v2, v2, v31
	v_sub_co_u32 v13, vcc_lo, v13, v31
	s_wait_alu 0xfffd
	s_delay_alu instid0(VALU_DEP_2)
	v_sub_co_ci_u32_e64 v14, null, v2, v31, vcc_lo
.LBB35_17:                              ;   in Loop: Header=BB35_3 Depth=1
	s_wait_alu 0xfffe
	s_and_not1_saveexec_b32 s0, s94
	s_cbranch_execz .LBB35_19
; %bb.18:                               ;   in Loop: Header=BB35_3 Depth=1
	s_sub_co_i32 s1, 0, s34
	s_wait_alu 0xfffe
	v_mul_lo_u32 v2, s1, v35
	s_delay_alu instid0(VALU_DEP_1) | instskip(NEXT) | instid1(VALU_DEP_1)
	v_mul_hi_u32 v2, v35, v2
	v_add_nc_u32_e32 v2, v35, v2
	s_delay_alu instid0(VALU_DEP_1) | instskip(NEXT) | instid1(VALU_DEP_1)
	v_mul_hi_u32 v2, v27, v2
	v_mul_lo_u32 v13, v2, s34
	v_add_nc_u32_e32 v14, 1, v2
	s_delay_alu instid0(VALU_DEP_2) | instskip(NEXT) | instid1(VALU_DEP_1)
	v_sub_nc_u32_e32 v13, v27, v13
	v_subrev_nc_u32_e32 v15, s34, v13
	v_cmp_le_u32_e32 vcc_lo, s34, v13
	s_wait_alu 0xfffd
	s_delay_alu instid0(VALU_DEP_2) | instskip(NEXT) | instid1(VALU_DEP_1)
	v_dual_cndmask_b32 v13, v13, v15 :: v_dual_cndmask_b32 v2, v2, v14
	v_cmp_le_u32_e32 vcc_lo, s34, v13
	s_delay_alu instid0(VALU_DEP_2) | instskip(SKIP_1) | instid1(VALU_DEP_1)
	v_add_nc_u32_e32 v14, 1, v2
	s_wait_alu 0xfffd
	v_dual_cndmask_b32 v13, v2, v14 :: v_dual_mov_b32 v14, v1
.LBB35_19:                              ;   in Loop: Header=BB35_3 Depth=1
	s_wait_alu 0xfffe
	s_or_b32 exec_lo, exec_lo, s0
	s_delay_alu instid0(VALU_DEP_1) | instskip(NEXT) | instid1(VALU_DEP_2)
	v_mul_lo_u32 v2, v14, s34
	v_mul_lo_u32 v31, v13, s35
	v_mad_co_u64_u32 v[15:16], null, v13, s34, 0
	v_mul_lo_u32 v32, v13, s9
	s_mov_b32 s0, exec_lo
	s_delay_alu instid0(VALU_DEP_2) | instskip(SKIP_1) | instid1(VALU_DEP_4)
	v_add3_u32 v2, v16, v31, v2
	v_mul_lo_u32 v31, v14, s8
	v_sub_co_u32 v14, vcc_lo, v19, v15
	s_wait_alu 0xfffd
	s_delay_alu instid0(VALU_DEP_3) | instskip(NEXT) | instid1(VALU_DEP_2)
	v_sub_co_ci_u32_e64 v2, null, v20, v2, vcc_lo
	v_add_co_u32 v15, vcc_lo, v3, v14
	v_mad_co_u64_u32 v[13:14], null, v13, s8, 0
	s_wait_alu 0xfffd
	s_delay_alu instid0(VALU_DEP_3) | instskip(NEXT) | instid1(VALU_DEP_3)
	v_add_co_ci_u32_e64 v2, null, v4, v2, vcc_lo
	v_mul_lo_u32 v33, v15, s11
	v_mad_co_u64_u32 v[15:16], null, v15, s10, 0
	s_delay_alu instid0(VALU_DEP_3) | instskip(SKIP_1) | instid1(VALU_DEP_1)
	v_mul_lo_u32 v2, v2, s10
	v_add3_u32 v14, v14, v32, v31
	v_lshlrev_b64_e32 v[13:14], 3, v[13:14]
	s_delay_alu instid0(VALU_DEP_3) | instskip(NEXT) | instid1(VALU_DEP_2)
	v_add3_u32 v16, v16, v33, v2
	v_add_co_u32 v2, vcc_lo, s30, v13
	s_delay_alu instid0(VALU_DEP_2) | instskip(SKIP_1) | instid1(VALU_DEP_4)
	v_lshlrev_b64_e32 v[15:16], 3, v[15:16]
	s_wait_alu 0xfffd
	v_add_co_ci_u32_e64 v14, null, s31, v14, vcc_lo
	s_delay_alu instid0(VALU_DEP_2) | instskip(SKIP_1) | instid1(VALU_DEP_2)
	v_add_co_u32 v13, vcc_lo, v2, v15
	s_wait_alu 0xfffd
	v_add_co_ci_u32_e64 v14, null, v14, v16, vcc_lo
	v_or_b32_e32 v2, s45, v28
                                        ; implicit-def: $vgpr15_vgpr16
	global_load_b64 v[13:14], v[13:14], off
	v_cmpx_ne_u64_e32 0, v[1:2]
	s_wait_alu 0xfffe
	s_xor_b32 s94, exec_lo, s0
	s_cbranch_execz .LBB35_21
; %bb.20:                               ;   in Loop: Header=BB35_3 Depth=1
	s_ashr_i32 s102, s45, 31
	s_wait_alu 0xfffe
	s_mov_b32 s103, s102
	s_wait_alu 0xfffe
	s_add_nc_u64 s[0:1], s[44:45], s[102:103]
	s_wait_alu 0xfffe
	s_xor_b64 s[98:99], s[0:1], s[102:103]
	s_wait_alu 0xfffe
	s_cvt_f32_u32 s0, s98
	s_cvt_f32_u32 s1, s99
	s_sub_nc_u64 s[72:73], 0, s[98:99]
	s_wait_alu 0xfffe
	s_delay_alu instid0(SALU_CYCLE_1) | instskip(SKIP_1) | instid1(SALU_CYCLE_2)
	s_fmamk_f32 s0, s1, 0x4f800000, s0
	s_wait_alu 0xfffe
	v_s_rcp_f32 s0, s0
	s_delay_alu instid0(TRANS32_DEP_1) | instskip(SKIP_1) | instid1(SALU_CYCLE_2)
	s_mul_f32 s0, s0, 0x5f7ffffc
	s_wait_alu 0xfffe
	s_mul_f32 s1, s0, 0x2f800000
	s_wait_alu 0xfffe
	s_delay_alu instid0(SALU_CYCLE_2) | instskip(SKIP_1) | instid1(SALU_CYCLE_2)
	s_trunc_f32 s1, s1
	s_wait_alu 0xfffe
	s_fmamk_f32 s0, s1, 0xcf800000, s0
	s_cvt_u32_f32 s1, s1
	s_wait_alu 0xfffe
	s_delay_alu instid0(SALU_CYCLE_1) | instskip(SKIP_1) | instid1(SALU_CYCLE_2)
	s_cvt_u32_f32 s0, s0
	s_wait_alu 0xfffe
	s_mul_u64 s[74:75], s[72:73], s[0:1]
	s_wait_alu 0xfffe
	s_mul_hi_u32 s101, s0, s75
	s_mul_i32 s100, s0, s75
	s_mul_hi_u32 s2, s0, s74
	s_mul_i32 s103, s1, s74
	s_wait_alu 0xfffe
	s_add_nc_u64 s[100:101], s[2:3], s[100:101]
	s_mul_hi_u32 s97, s1, s74
	s_mul_hi_u32 vcc_lo, s1, s75
	s_add_co_u32 s2, s100, s103
	s_wait_alu 0xfffe
	s_add_co_ci_u32 s2, s101, s97
	s_mul_i32 s74, s1, s75
	s_add_co_ci_u32 s75, vcc_lo, 0
	v_add_co_u32 v2, vcc_lo, v25, v21
	s_wait_alu 0xfffe
	s_add_nc_u64 s[74:75], s[2:3], s[74:75]
	s_wait_alu 0xfffd
	v_add_co_ci_u32_e64 v15, null, v28, v21, vcc_lo
	s_wait_alu 0xfffe
	s_add_co_u32 s0, s0, s74
	s_cselect_b32 s2, -1, 0
	v_xor_b32_e32 v2, v2, v21
	s_wait_alu 0xfffe
	s_cmp_lg_u32 s2, 0
	v_xor_b32_e32 v25, v15, v21
	s_add_co_ci_u32 s1, s1, s75
	v_xor_b32_e32 v21, s102, v21
	s_wait_alu 0xfffe
	s_mul_u64 s[72:73], s[72:73], s[0:1]
	s_wait_alu 0xfffe
	s_mul_hi_u32 s75, s0, s73
	s_mul_i32 s74, s0, s73
	s_mul_hi_u32 s2, s0, s72
	s_mul_i32 s100, s1, s72
	s_wait_alu 0xfffe
	s_add_nc_u64 s[74:75], s[2:3], s[74:75]
	s_mul_hi_u32 s97, s1, s72
	s_mul_hi_u32 s101, s1, s73
	s_wait_alu 0xfffe
	s_add_co_u32 s2, s74, s100
	s_add_co_ci_u32 s2, s75, s97
	s_mul_i32 s72, s1, s73
	s_add_co_ci_u32 s73, s101, 0
	s_wait_alu 0xfffe
	s_add_nc_u64 s[72:73], s[2:3], s[72:73]
	s_wait_alu 0xfffe
	s_add_co_u32 s0, s0, s72
	s_cselect_b32 s2, -1, 0
	s_wait_alu 0xfffe
	v_mul_hi_u32 v28, v2, s0
	s_cmp_lg_u32 s2, 0
	v_mad_co_u64_u32 v[31:32], null, v25, s0, 0
	s_add_co_ci_u32 s1, s1, s73
	s_wait_alu 0xfffe
	v_mad_co_u64_u32 v[15:16], null, v2, s1, 0
	v_mad_co_u64_u32 v[33:34], null, v25, s1, 0
	s_delay_alu instid0(VALU_DEP_2) | instskip(SKIP_1) | instid1(VALU_DEP_3)
	v_add_co_u32 v15, vcc_lo, v28, v15
	s_wait_alu 0xfffd
	v_add_co_ci_u32_e64 v16, null, 0, v16, vcc_lo
	s_delay_alu instid0(VALU_DEP_2) | instskip(SKIP_1) | instid1(VALU_DEP_2)
	v_add_co_u32 v15, vcc_lo, v15, v31
	s_wait_alu 0xfffd
	v_add_co_ci_u32_e32 v15, vcc_lo, v16, v32, vcc_lo
	s_wait_alu 0xfffd
	v_add_co_ci_u32_e32 v16, vcc_lo, 0, v34, vcc_lo
	s_delay_alu instid0(VALU_DEP_2) | instskip(SKIP_1) | instid1(VALU_DEP_2)
	v_add_co_u32 v28, vcc_lo, v15, v33
	s_wait_alu 0xfffd
	v_add_co_ci_u32_e64 v31, null, 0, v16, vcc_lo
	s_delay_alu instid0(VALU_DEP_2) | instskip(SKIP_1) | instid1(VALU_DEP_3)
	v_mul_lo_u32 v32, s99, v28
	v_mad_co_u64_u32 v[15:16], null, s98, v28, 0
	v_mul_lo_u32 v33, s98, v31
	s_delay_alu instid0(VALU_DEP_2) | instskip(NEXT) | instid1(VALU_DEP_2)
	v_sub_co_u32 v2, vcc_lo, v2, v15
	v_add3_u32 v16, v16, v33, v32
	s_delay_alu instid0(VALU_DEP_2) | instskip(NEXT) | instid1(VALU_DEP_2)
	v_cmp_le_u32_e64 s1, s98, v2
	v_sub_nc_u32_e32 v32, v25, v16
	s_wait_alu 0xfffd
	v_sub_co_ci_u32_e64 v16, null, v25, v16, vcc_lo
	s_delay_alu instid0(VALU_DEP_2) | instskip(SKIP_1) | instid1(VALU_DEP_3)
	v_subrev_co_ci_u32_e64 v15, null, s99, v32, vcc_lo
	v_sub_co_u32 v32, s0, v2, s98
	v_cmp_le_u32_e64 s2, s99, v16
	s_wait_alu 0xf1ff
	s_delay_alu instid0(VALU_DEP_3) | instskip(NEXT) | instid1(VALU_DEP_3)
	v_subrev_co_ci_u32_e64 v15, null, 0, v15, s0
	v_cmp_le_u32_e32 vcc_lo, s98, v32
	v_cndmask_b32_e64 v32, 0, -1, s1
	v_cmp_eq_u32_e64 s1, s99, v16
	s_delay_alu instid0(VALU_DEP_4)
	v_cmp_le_u32_e64 s0, s99, v15
	v_cndmask_b32_e64 v16, 0, -1, s2
	s_wait_alu 0xfffd
	v_cndmask_b32_e64 v2, 0, -1, vcc_lo
	v_cmp_eq_u32_e32 vcc_lo, s99, v15
	s_wait_alu 0xf1ff
	v_cndmask_b32_e64 v15, 0, -1, s0
	v_add_co_u32 v25, s0, v28, 2
	v_cndmask_b32_e64 v16, v16, v32, s1
	s_wait_alu 0xfffd
	s_delay_alu instid0(VALU_DEP_3) | instskip(SKIP_3) | instid1(VALU_DEP_3)
	v_cndmask_b32_e32 v2, v15, v2, vcc_lo
	s_wait_alu 0xf1ff
	v_add_co_ci_u32_e64 v15, null, 0, v31, s0
	v_add_co_u32 v33, vcc_lo, v28, 1
	v_cmp_ne_u32_e64 s0, 0, v2
	s_wait_alu 0xfffd
	v_add_co_ci_u32_e64 v2, null, 0, v31, vcc_lo
	v_cmp_ne_u32_e32 vcc_lo, 0, v16
	s_wait_alu 0xf1ff
	v_cndmask_b32_e64 v16, v33, v25, s0
	s_delay_alu instid0(VALU_DEP_3) | instskip(SKIP_1) | instid1(VALU_DEP_1)
	v_cndmask_b32_e64 v2, v2, v15, s0
                                        ; implicit-def: $vgpr25
	s_wait_alu 0xfffd
	v_dual_cndmask_b32 v15, v28, v16 :: v_dual_cndmask_b32 v2, v31, v2
	s_delay_alu instid0(VALU_DEP_1) | instskip(NEXT) | instid1(VALU_DEP_2)
	v_xor_b32_e32 v15, v15, v21
	v_xor_b32_e32 v2, v2, v21
	s_delay_alu instid0(VALU_DEP_2) | instskip(SKIP_1) | instid1(VALU_DEP_2)
	v_sub_co_u32 v15, vcc_lo, v15, v21
	s_wait_alu 0xfffd
	v_sub_co_ci_u32_e64 v16, null, v2, v21, vcc_lo
.LBB35_21:                              ;   in Loop: Header=BB35_3 Depth=1
	s_wait_alu 0xfffe
	s_or_saveexec_b32 s0, s94
	v_cvt_f32_u32_e32 v21, s44
	s_wait_alu 0xfffe
	s_xor_b32 exec_lo, exec_lo, s0
	s_cbranch_execz .LBB35_23
; %bb.22:                               ;   in Loop: Header=BB35_3 Depth=1
	s_delay_alu instid0(VALU_DEP_1) | instskip(SKIP_1) | instid1(TRANS32_DEP_1)
	v_rcp_iflag_f32_e32 v2, v21
	s_sub_co_i32 s1, 0, s44
	v_mul_f32_e32 v2, 0x4f7ffffe, v2
	s_delay_alu instid0(VALU_DEP_1) | instskip(SKIP_1) | instid1(VALU_DEP_1)
	v_cvt_u32_f32_e32 v2, v2
	s_wait_alu 0xfffe
	v_mul_lo_u32 v15, s1, v2
	s_delay_alu instid0(VALU_DEP_1) | instskip(NEXT) | instid1(VALU_DEP_1)
	v_mul_hi_u32 v15, v2, v15
	v_add_nc_u32_e32 v2, v2, v15
	s_delay_alu instid0(VALU_DEP_1) | instskip(NEXT) | instid1(VALU_DEP_1)
	v_mul_hi_u32 v2, v25, v2
	v_mul_lo_u32 v15, v2, s44
	v_add_nc_u32_e32 v16, 1, v2
	s_delay_alu instid0(VALU_DEP_2) | instskip(NEXT) | instid1(VALU_DEP_1)
	v_sub_nc_u32_e32 v15, v25, v15
	v_subrev_nc_u32_e32 v25, s44, v15
	v_cmp_le_u32_e32 vcc_lo, s44, v15
	s_wait_alu 0xfffd
	s_delay_alu instid0(VALU_DEP_2) | instskip(NEXT) | instid1(VALU_DEP_1)
	v_dual_cndmask_b32 v15, v15, v25 :: v_dual_cndmask_b32 v2, v2, v16
	v_cmp_le_u32_e32 vcc_lo, s44, v15
	s_delay_alu instid0(VALU_DEP_2) | instskip(SKIP_1) | instid1(VALU_DEP_1)
	v_add_nc_u32_e32 v16, 1, v2
	s_wait_alu 0xfffd
	v_dual_cndmask_b32 v15, v2, v16 :: v_dual_mov_b32 v16, v1
.LBB35_23:                              ;   in Loop: Header=BB35_3 Depth=1
	s_or_b32 exec_lo, exec_lo, s0
	s_delay_alu instid0(VALU_DEP_1) | instskip(NEXT) | instid1(VALU_DEP_2)
	v_mul_lo_u32 v2, v16, s44
	v_mul_lo_u32 v25, v15, s45
	v_mad_co_u64_u32 v[31:32], null, v15, s44, 0
	v_mul_lo_u32 v28, v15, s13
	s_mov_b32 s0, exec_lo
	s_delay_alu instid0(VALU_DEP_2) | instskip(NEXT) | instid1(VALU_DEP_3)
	v_add3_u32 v2, v32, v25, v2
	v_sub_co_u32 v11, vcc_lo, v11, v31
	v_mul_lo_u32 v25, v16, s12
	s_wait_alu 0xfffd
	s_delay_alu instid0(VALU_DEP_3) | instskip(NEXT) | instid1(VALU_DEP_3)
	v_sub_co_ci_u32_e64 v2, null, v12, v2, vcc_lo
	v_add_co_u32 v16, vcc_lo, v3, v11
	v_mad_co_u64_u32 v[11:12], null, v15, s12, 0
	s_wait_alu 0xfffd
	s_delay_alu instid0(VALU_DEP_3) | instskip(NEXT) | instid1(VALU_DEP_3)
	v_add_co_ci_u32_e64 v2, null, v4, v2, vcc_lo
	v_mul_lo_u32 v31, v16, s15
	v_mad_co_u64_u32 v[15:16], null, v16, s14, 0
	s_delay_alu instid0(VALU_DEP_3) | instskip(SKIP_1) | instid1(VALU_DEP_1)
	v_mul_lo_u32 v2, v2, s14
	v_add3_u32 v12, v12, v28, v25
	v_lshlrev_b64_e32 v[11:12], 3, v[11:12]
	s_delay_alu instid0(VALU_DEP_3) | instskip(NEXT) | instid1(VALU_DEP_2)
	v_add3_u32 v16, v16, v31, v2
	v_add_co_u32 v2, vcc_lo, s36, v11
	s_delay_alu instid0(VALU_DEP_2) | instskip(SKIP_1) | instid1(VALU_DEP_4)
	v_lshlrev_b64_e32 v[15:16], 3, v[15:16]
	s_wait_alu 0xfffd
	v_add_co_ci_u32_e64 v12, null, s37, v12, vcc_lo
	s_delay_alu instid0(VALU_DEP_2) | instskip(SKIP_1) | instid1(VALU_DEP_2)
	v_add_co_u32 v11, vcc_lo, v2, v15
	s_wait_alu 0xfffd
	v_add_co_ci_u32_e64 v12, null, v12, v16, vcc_lo
	v_or_b32_e32 v2, s45, v29
	global_load_b64 v[15:16], v[11:12], off
                                        ; implicit-def: $vgpr11_vgpr12
	v_cmpx_ne_u64_e32 0, v[1:2]
	s_wait_alu 0xfffe
	s_xor_b32 s94, exec_lo, s0
	s_cbranch_execz .LBB35_25
; %bb.24:                               ;   in Loop: Header=BB35_3 Depth=1
	s_ashr_i32 s102, s45, 31
	s_wait_alu 0xfffe
	s_mov_b32 s103, s102
	s_wait_alu 0xfffe
	s_add_nc_u64 s[0:1], s[44:45], s[102:103]
	s_wait_alu 0xfffe
	s_xor_b64 s[98:99], s[0:1], s[102:103]
	s_wait_alu 0xfffe
	s_cvt_f32_u32 s0, s98
	s_cvt_f32_u32 s1, s99
	s_sub_nc_u64 s[72:73], 0, s[98:99]
	s_wait_alu 0xfffe
	s_delay_alu instid0(SALU_CYCLE_1) | instskip(SKIP_1) | instid1(SALU_CYCLE_2)
	s_fmamk_f32 s0, s1, 0x4f800000, s0
	s_wait_alu 0xfffe
	v_s_rcp_f32 s0, s0
	s_delay_alu instid0(TRANS32_DEP_1) | instskip(SKIP_1) | instid1(SALU_CYCLE_2)
	s_mul_f32 s0, s0, 0x5f7ffffc
	s_wait_alu 0xfffe
	s_mul_f32 s1, s0, 0x2f800000
	s_wait_alu 0xfffe
	s_delay_alu instid0(SALU_CYCLE_2) | instskip(SKIP_1) | instid1(SALU_CYCLE_2)
	s_trunc_f32 s1, s1
	s_wait_alu 0xfffe
	s_fmamk_f32 s0, s1, 0xcf800000, s0
	s_cvt_u32_f32 s1, s1
	s_wait_alu 0xfffe
	s_delay_alu instid0(SALU_CYCLE_1) | instskip(SKIP_1) | instid1(SALU_CYCLE_2)
	s_cvt_u32_f32 s0, s0
	s_wait_alu 0xfffe
	s_mul_u64 s[74:75], s[72:73], s[0:1]
	s_wait_alu 0xfffe
	s_mul_hi_u32 s101, s0, s75
	s_mul_i32 s100, s0, s75
	s_mul_hi_u32 s2, s0, s74
	s_mul_i32 s103, s1, s74
	s_wait_alu 0xfffe
	s_add_nc_u64 s[100:101], s[2:3], s[100:101]
	s_mul_hi_u32 s97, s1, s74
	s_mul_hi_u32 vcc_lo, s1, s75
	s_add_co_u32 s2, s100, s103
	s_wait_alu 0xfffe
	s_add_co_ci_u32 s2, s101, s97
	s_mul_i32 s74, s1, s75
	s_add_co_ci_u32 s75, vcc_lo, 0
	v_add_co_u32 v2, vcc_lo, v26, v22
	s_wait_alu 0xfffe
	s_add_nc_u64 s[74:75], s[2:3], s[74:75]
	s_wait_alu 0xfffd
	v_add_co_ci_u32_e64 v11, null, v29, v22, vcc_lo
	s_wait_alu 0xfffe
	s_add_co_u32 s0, s0, s74
	s_cselect_b32 s2, -1, 0
	v_xor_b32_e32 v2, v2, v22
	s_wait_alu 0xfffe
	s_cmp_lg_u32 s2, 0
	v_xor_b32_e32 v31, v11, v22
	s_add_co_ci_u32 s1, s1, s75
	v_xor_b32_e32 v22, s102, v22
	s_wait_alu 0xfffe
	s_mul_u64 s[72:73], s[72:73], s[0:1]
	s_wait_alu 0xfffe
	s_mul_hi_u32 s75, s0, s73
	s_mul_i32 s74, s0, s73
	s_mul_hi_u32 s2, s0, s72
	s_mul_i32 s100, s1, s72
	s_wait_alu 0xfffe
	s_add_nc_u64 s[74:75], s[2:3], s[74:75]
	s_mul_hi_u32 s97, s1, s72
	s_mul_hi_u32 s101, s1, s73
	s_wait_alu 0xfffe
	s_add_co_u32 s2, s74, s100
	s_add_co_ci_u32 s2, s75, s97
	s_mul_i32 s72, s1, s73
	s_add_co_ci_u32 s73, s101, 0
	s_wait_alu 0xfffe
	s_add_nc_u64 s[72:73], s[2:3], s[72:73]
	s_wait_alu 0xfffe
	s_add_co_u32 s0, s0, s72
	s_cselect_b32 s2, -1, 0
	s_wait_alu 0xfffe
	v_mul_hi_u32 v32, v2, s0
	s_cmp_lg_u32 s2, 0
	v_mad_co_u64_u32 v[25:26], null, v31, s0, 0
	s_add_co_ci_u32 s1, s1, s73
	s_wait_alu 0xfffe
	v_mad_co_u64_u32 v[11:12], null, v2, s1, 0
	v_mad_co_u64_u32 v[28:29], null, v31, s1, 0
	s_delay_alu instid0(VALU_DEP_2) | instskip(SKIP_1) | instid1(VALU_DEP_3)
	v_add_co_u32 v11, vcc_lo, v32, v11
	s_wait_alu 0xfffd
	v_add_co_ci_u32_e64 v12, null, 0, v12, vcc_lo
	s_delay_alu instid0(VALU_DEP_2) | instskip(SKIP_1) | instid1(VALU_DEP_2)
	v_add_co_u32 v11, vcc_lo, v11, v25
	s_wait_alu 0xfffd
	v_add_co_ci_u32_e32 v11, vcc_lo, v12, v26, vcc_lo
	s_wait_alu 0xfffd
	v_add_co_ci_u32_e32 v12, vcc_lo, 0, v29, vcc_lo
	s_delay_alu instid0(VALU_DEP_2) | instskip(SKIP_1) | instid1(VALU_DEP_2)
	v_add_co_u32 v25, vcc_lo, v11, v28
	s_wait_alu 0xfffd
	v_add_co_ci_u32_e64 v26, null, 0, v12, vcc_lo
	s_delay_alu instid0(VALU_DEP_2) | instskip(SKIP_1) | instid1(VALU_DEP_3)
	v_mul_lo_u32 v28, s99, v25
	v_mad_co_u64_u32 v[11:12], null, s98, v25, 0
	v_mul_lo_u32 v29, s98, v26
	s_delay_alu instid0(VALU_DEP_2) | instskip(NEXT) | instid1(VALU_DEP_2)
	v_sub_co_u32 v2, vcc_lo, v2, v11
	v_add3_u32 v12, v12, v29, v28
	s_delay_alu instid0(VALU_DEP_2) | instskip(NEXT) | instid1(VALU_DEP_2)
	v_cmp_le_u32_e64 s1, s98, v2
	v_sub_nc_u32_e32 v28, v31, v12
	s_wait_alu 0xfffd
	v_sub_co_ci_u32_e64 v12, null, v31, v12, vcc_lo
	s_wait_alu 0xf1ff
	v_cndmask_b32_e64 v29, 0, -1, s1
	v_subrev_co_ci_u32_e64 v11, null, s99, v28, vcc_lo
	v_sub_co_u32 v28, s0, v2, s98
	v_cmp_le_u32_e64 s2, s99, v12
	s_wait_alu 0xf1ff
	s_delay_alu instid0(VALU_DEP_3) | instskip(NEXT) | instid1(VALU_DEP_3)
	v_subrev_co_ci_u32_e64 v11, null, 0, v11, s0
	v_cmp_le_u32_e32 vcc_lo, s98, v28
	v_cmp_eq_u32_e64 s1, s99, v12
	v_cndmask_b32_e64 v12, 0, -1, s2
	s_delay_alu instid0(VALU_DEP_4)
	v_cmp_le_u32_e64 s0, s99, v11
	s_wait_alu 0xfffd
	v_cndmask_b32_e64 v2, 0, -1, vcc_lo
	v_cmp_eq_u32_e32 vcc_lo, s99, v11
	s_wait_alu 0xf1ff
	v_cndmask_b32_e64 v12, v12, v29, s1
	v_cndmask_b32_e64 v11, 0, -1, s0
	v_add_co_u32 v28, s0, v25, 2
	s_wait_alu 0xfffd
	s_delay_alu instid0(VALU_DEP_2) | instskip(SKIP_3) | instid1(VALU_DEP_3)
	v_cndmask_b32_e32 v2, v11, v2, vcc_lo
	s_wait_alu 0xf1ff
	v_add_co_ci_u32_e64 v11, null, 0, v26, s0
	v_add_co_u32 v31, vcc_lo, v25, 1
	v_cmp_ne_u32_e64 s0, 0, v2
	s_wait_alu 0xfffd
	v_add_co_ci_u32_e64 v2, null, 0, v26, vcc_lo
	v_cmp_ne_u32_e32 vcc_lo, 0, v12
	s_wait_alu 0xf1ff
	v_cndmask_b32_e64 v12, v31, v28, s0
	s_delay_alu instid0(VALU_DEP_3) | instskip(SKIP_1) | instid1(VALU_DEP_1)
	v_cndmask_b32_e64 v2, v2, v11, s0
	s_wait_alu 0xfffd
	v_dual_cndmask_b32 v11, v25, v12 :: v_dual_cndmask_b32 v2, v26, v2
                                        ; implicit-def: $vgpr26
	s_delay_alu instid0(VALU_DEP_1) | instskip(NEXT) | instid1(VALU_DEP_2)
	v_xor_b32_e32 v11, v11, v22
	v_xor_b32_e32 v2, v2, v22
	s_delay_alu instid0(VALU_DEP_2) | instskip(SKIP_1) | instid1(VALU_DEP_2)
	v_sub_co_u32 v11, vcc_lo, v11, v22
	s_wait_alu 0xfffd
	v_sub_co_ci_u32_e64 v12, null, v2, v22, vcc_lo
.LBB35_25:                              ;   in Loop: Header=BB35_3 Depth=1
	s_wait_alu 0xfffe
	s_and_not1_saveexec_b32 s0, s94
	s_cbranch_execz .LBB35_27
; %bb.26:                               ;   in Loop: Header=BB35_3 Depth=1
	v_rcp_iflag_f32_e32 v2, v21
	s_sub_co_i32 s1, 0, s44
	s_delay_alu instid0(TRANS32_DEP_1) | instskip(NEXT) | instid1(VALU_DEP_1)
	v_mul_f32_e32 v2, 0x4f7ffffe, v2
	v_cvt_u32_f32_e32 v2, v2
	s_wait_alu 0xfffe
	s_delay_alu instid0(VALU_DEP_1) | instskip(NEXT) | instid1(VALU_DEP_1)
	v_mul_lo_u32 v11, s1, v2
	v_mul_hi_u32 v11, v2, v11
	s_delay_alu instid0(VALU_DEP_1) | instskip(NEXT) | instid1(VALU_DEP_1)
	v_add_nc_u32_e32 v2, v2, v11
	v_mul_hi_u32 v2, v26, v2
	s_delay_alu instid0(VALU_DEP_1) | instskip(SKIP_1) | instid1(VALU_DEP_2)
	v_mul_lo_u32 v11, v2, s44
	v_add_nc_u32_e32 v12, 1, v2
	v_sub_nc_u32_e32 v11, v26, v11
	s_delay_alu instid0(VALU_DEP_1) | instskip(SKIP_2) | instid1(VALU_DEP_2)
	v_subrev_nc_u32_e32 v22, s44, v11
	v_cmp_le_u32_e32 vcc_lo, s44, v11
	s_wait_alu 0xfffd
	v_dual_cndmask_b32 v11, v11, v22 :: v_dual_cndmask_b32 v2, v2, v12
	s_delay_alu instid0(VALU_DEP_1) | instskip(NEXT) | instid1(VALU_DEP_2)
	v_cmp_le_u32_e32 vcc_lo, s44, v11
	v_add_nc_u32_e32 v12, 1, v2
	s_wait_alu 0xfffd
	s_delay_alu instid0(VALU_DEP_1)
	v_dual_cndmask_b32 v11, v2, v12 :: v_dual_mov_b32 v12, v1
.LBB35_27:                              ;   in Loop: Header=BB35_3 Depth=1
	s_wait_alu 0xfffe
	s_or_b32 exec_lo, exec_lo, s0
	s_delay_alu instid0(VALU_DEP_1) | instskip(NEXT) | instid1(VALU_DEP_2)
	v_mul_lo_u32 v2, v12, s44
	v_mul_lo_u32 v22, v11, s45
	v_mad_co_u64_u32 v[25:26], null, v11, s44, 0
	s_mov_b32 s0, exec_lo
	v_add3_u32 v2, v26, v22, v2
	v_mul_lo_u32 v22, v12, s12
	v_sub_co_u32 v12, vcc_lo, v17, v25
	v_mul_lo_u32 v25, v11, s13
	s_wait_alu 0xfffd
	v_sub_co_ci_u32_e64 v2, null, v18, v2, vcc_lo
	s_delay_alu instid0(VALU_DEP_3) | instskip(SKIP_2) | instid1(VALU_DEP_3)
	v_add_co_u32 v17, vcc_lo, v3, v12
	v_mad_co_u64_u32 v[11:12], null, v11, s12, 0
	s_wait_alu 0xfffd
	v_add_co_ci_u32_e64 v2, null, v4, v2, vcc_lo
	s_delay_alu instid0(VALU_DEP_3) | instskip(SKIP_1) | instid1(VALU_DEP_3)
	v_mul_lo_u32 v26, v17, s15
	v_mad_co_u64_u32 v[17:18], null, v17, s14, 0
	v_mul_lo_u32 v2, v2, s14
	v_add3_u32 v12, v12, v25, v22
	s_delay_alu instid0(VALU_DEP_1) | instskip(NEXT) | instid1(VALU_DEP_3)
	v_lshlrev_b64_e32 v[11:12], 3, v[11:12]
	v_add3_u32 v18, v18, v26, v2
	s_delay_alu instid0(VALU_DEP_2) | instskip(NEXT) | instid1(VALU_DEP_2)
	v_add_co_u32 v2, vcc_lo, s36, v11
	v_lshlrev_b64_e32 v[17:18], 3, v[17:18]
	s_wait_alu 0xfffd
	s_delay_alu instid0(VALU_DEP_4) | instskip(NEXT) | instid1(VALU_DEP_2)
	v_add_co_ci_u32_e64 v12, null, s37, v12, vcc_lo
	v_add_co_u32 v11, vcc_lo, v2, v17
	s_wait_alu 0xfffd
	s_delay_alu instid0(VALU_DEP_2)
	v_add_co_ci_u32_e64 v12, null, v12, v18, vcc_lo
	v_or_b32_e32 v2, s45, v30
	global_load_b64 v[17:18], v[11:12], off
                                        ; implicit-def: $vgpr11_vgpr12
	v_cmpx_ne_u64_e32 0, v[1:2]
	s_wait_alu 0xfffe
	s_xor_b32 s94, exec_lo, s0
	s_cbranch_execz .LBB35_29
; %bb.28:                               ;   in Loop: Header=BB35_3 Depth=1
	s_ashr_i32 s102, s45, 31
	s_wait_alu 0xfffe
	s_mov_b32 s103, s102
	s_wait_alu 0xfffe
	s_add_nc_u64 s[0:1], s[44:45], s[102:103]
	s_wait_alu 0xfffe
	s_xor_b64 s[98:99], s[0:1], s[102:103]
	s_wait_alu 0xfffe
	s_cvt_f32_u32 s0, s98
	s_cvt_f32_u32 s1, s99
	s_sub_nc_u64 s[72:73], 0, s[98:99]
	s_wait_alu 0xfffe
	s_delay_alu instid0(SALU_CYCLE_1) | instskip(SKIP_1) | instid1(SALU_CYCLE_2)
	s_fmamk_f32 s0, s1, 0x4f800000, s0
	s_wait_alu 0xfffe
	v_s_rcp_f32 s0, s0
	s_delay_alu instid0(TRANS32_DEP_1) | instskip(SKIP_1) | instid1(SALU_CYCLE_2)
	s_mul_f32 s0, s0, 0x5f7ffffc
	s_wait_alu 0xfffe
	s_mul_f32 s1, s0, 0x2f800000
	s_wait_alu 0xfffe
	s_delay_alu instid0(SALU_CYCLE_2) | instskip(SKIP_1) | instid1(SALU_CYCLE_2)
	s_trunc_f32 s1, s1
	s_wait_alu 0xfffe
	s_fmamk_f32 s0, s1, 0xcf800000, s0
	s_cvt_u32_f32 s1, s1
	s_wait_alu 0xfffe
	s_delay_alu instid0(SALU_CYCLE_1) | instskip(SKIP_1) | instid1(SALU_CYCLE_2)
	s_cvt_u32_f32 s0, s0
	s_wait_alu 0xfffe
	s_mul_u64 s[74:75], s[72:73], s[0:1]
	s_wait_alu 0xfffe
	s_mul_hi_u32 s101, s0, s75
	s_mul_i32 s100, s0, s75
	s_mul_hi_u32 s2, s0, s74
	s_mul_i32 s103, s1, s74
	s_wait_alu 0xfffe
	s_add_nc_u64 s[100:101], s[2:3], s[100:101]
	s_mul_hi_u32 s97, s1, s74
	s_mul_hi_u32 vcc_lo, s1, s75
	s_add_co_u32 s2, s100, s103
	s_wait_alu 0xfffe
	s_add_co_ci_u32 s2, s101, s97
	s_mul_i32 s74, s1, s75
	s_add_co_ci_u32 s75, vcc_lo, 0
	v_add_co_u32 v2, vcc_lo, v27, v24
	s_wait_alu 0xfffe
	s_add_nc_u64 s[74:75], s[2:3], s[74:75]
	s_wait_alu 0xfffd
	v_add_co_ci_u32_e64 v11, null, v30, v24, vcc_lo
	s_wait_alu 0xfffe
	s_add_co_u32 s0, s0, s74
	s_cselect_b32 s2, -1, 0
	v_xor_b32_e32 v2, v2, v24
	s_wait_alu 0xfffe
	s_cmp_lg_u32 s2, 0
	v_xor_b32_e32 v27, v11, v24
	s_add_co_ci_u32 s1, s1, s75
	v_xor_b32_e32 v24, s102, v24
	s_wait_alu 0xfffe
	s_mul_u64 s[72:73], s[72:73], s[0:1]
	s_wait_alu 0xfffe
	s_mul_hi_u32 s75, s0, s73
	s_mul_i32 s74, s0, s73
	s_mul_hi_u32 s2, s0, s72
	s_mul_i32 s100, s1, s72
	s_wait_alu 0xfffe
	s_add_nc_u64 s[74:75], s[2:3], s[74:75]
	s_mul_hi_u32 s97, s1, s72
	s_mul_hi_u32 s101, s1, s73
	s_wait_alu 0xfffe
	s_add_co_u32 s2, s74, s100
	s_add_co_ci_u32 s2, s75, s97
	s_mul_i32 s72, s1, s73
	s_add_co_ci_u32 s73, s101, 0
	s_wait_alu 0xfffe
	s_add_nc_u64 s[72:73], s[2:3], s[72:73]
	s_wait_alu 0xfffe
	s_add_co_u32 s0, s0, s72
	s_cselect_b32 s2, -1, 0
	s_wait_alu 0xfffe
	v_mul_hi_u32 v28, v2, s0
	s_cmp_lg_u32 s2, 0
	v_mad_co_u64_u32 v[21:22], null, v27, s0, 0
	s_add_co_ci_u32 s1, s1, s73
	s_wait_alu 0xfffe
	v_mad_co_u64_u32 v[11:12], null, v2, s1, 0
	v_mad_co_u64_u32 v[25:26], null, v27, s1, 0
	s_delay_alu instid0(VALU_DEP_2) | instskip(SKIP_1) | instid1(VALU_DEP_3)
	v_add_co_u32 v11, vcc_lo, v28, v11
	s_wait_alu 0xfffd
	v_add_co_ci_u32_e64 v12, null, 0, v12, vcc_lo
	s_delay_alu instid0(VALU_DEP_2) | instskip(SKIP_1) | instid1(VALU_DEP_2)
	v_add_co_u32 v11, vcc_lo, v11, v21
	s_wait_alu 0xfffd
	v_add_co_ci_u32_e32 v11, vcc_lo, v12, v22, vcc_lo
	s_wait_alu 0xfffd
	v_add_co_ci_u32_e32 v12, vcc_lo, 0, v26, vcc_lo
	s_delay_alu instid0(VALU_DEP_2) | instskip(SKIP_1) | instid1(VALU_DEP_2)
	v_add_co_u32 v21, vcc_lo, v11, v25
	s_wait_alu 0xfffd
	v_add_co_ci_u32_e64 v22, null, 0, v12, vcc_lo
	s_delay_alu instid0(VALU_DEP_2) | instskip(SKIP_1) | instid1(VALU_DEP_3)
	v_mul_lo_u32 v25, s99, v21
	v_mad_co_u64_u32 v[11:12], null, s98, v21, 0
	v_mul_lo_u32 v26, s98, v22
	s_delay_alu instid0(VALU_DEP_2) | instskip(NEXT) | instid1(VALU_DEP_2)
	v_sub_co_u32 v2, vcc_lo, v2, v11
	v_add3_u32 v12, v12, v26, v25
	s_delay_alu instid0(VALU_DEP_2) | instskip(NEXT) | instid1(VALU_DEP_2)
	v_cmp_le_u32_e64 s1, s98, v2
	v_sub_nc_u32_e32 v25, v27, v12
	s_wait_alu 0xfffd
	v_sub_co_ci_u32_e64 v12, null, v27, v12, vcc_lo
	s_wait_alu 0xf1ff
	v_cndmask_b32_e64 v26, 0, -1, s1
	v_subrev_co_ci_u32_e64 v11, null, s99, v25, vcc_lo
	v_sub_co_u32 v25, s0, v2, s98
	v_cmp_le_u32_e64 s2, s99, v12
	s_wait_alu 0xf1ff
	s_delay_alu instid0(VALU_DEP_3) | instskip(NEXT) | instid1(VALU_DEP_3)
	v_subrev_co_ci_u32_e64 v11, null, 0, v11, s0
	v_cmp_le_u32_e32 vcc_lo, s98, v25
	v_cmp_eq_u32_e64 s1, s99, v12
	v_cndmask_b32_e64 v12, 0, -1, s2
	s_delay_alu instid0(VALU_DEP_4)
	v_cmp_le_u32_e64 s0, s99, v11
	s_wait_alu 0xfffd
	v_cndmask_b32_e64 v2, 0, -1, vcc_lo
	v_cmp_eq_u32_e32 vcc_lo, s99, v11
	s_wait_alu 0xf1ff
	v_cndmask_b32_e64 v12, v12, v26, s1
	v_cndmask_b32_e64 v11, 0, -1, s0
	v_add_co_u32 v25, s0, v21, 2
	s_wait_alu 0xfffd
	s_delay_alu instid0(VALU_DEP_2) | instskip(SKIP_3) | instid1(VALU_DEP_3)
	v_cndmask_b32_e32 v2, v11, v2, vcc_lo
	s_wait_alu 0xf1ff
	v_add_co_ci_u32_e64 v11, null, 0, v22, s0
	v_add_co_u32 v27, vcc_lo, v21, 1
	v_cmp_ne_u32_e64 s0, 0, v2
	s_wait_alu 0xfffd
	v_add_co_ci_u32_e64 v2, null, 0, v22, vcc_lo
	v_cmp_ne_u32_e32 vcc_lo, 0, v12
	s_wait_alu 0xf1ff
	v_cndmask_b32_e64 v12, v27, v25, s0
	s_delay_alu instid0(VALU_DEP_3) | instskip(SKIP_1) | instid1(VALU_DEP_1)
	v_cndmask_b32_e64 v2, v2, v11, s0
                                        ; implicit-def: $vgpr27
	s_wait_alu 0xfffd
	v_dual_cndmask_b32 v11, v21, v12 :: v_dual_cndmask_b32 v2, v22, v2
                                        ; implicit-def: $vgpr21
	s_delay_alu instid0(VALU_DEP_1) | instskip(NEXT) | instid1(VALU_DEP_2)
	v_xor_b32_e32 v11, v11, v24
	v_xor_b32_e32 v2, v2, v24
	s_delay_alu instid0(VALU_DEP_2) | instskip(SKIP_1) | instid1(VALU_DEP_2)
	v_sub_co_u32 v11, vcc_lo, v11, v24
	s_wait_alu 0xfffd
	v_sub_co_ci_u32_e64 v12, null, v2, v24, vcc_lo
.LBB35_29:                              ;   in Loop: Header=BB35_3 Depth=1
	s_wait_alu 0xfffe
	s_and_not1_saveexec_b32 s0, s94
	s_cbranch_execz .LBB35_31
; %bb.30:                               ;   in Loop: Header=BB35_3 Depth=1
	v_rcp_iflag_f32_e32 v2, v21
	s_sub_co_i32 s1, 0, s44
	s_delay_alu instid0(TRANS32_DEP_1) | instskip(NEXT) | instid1(VALU_DEP_1)
	v_mul_f32_e32 v2, 0x4f7ffffe, v2
	v_cvt_u32_f32_e32 v2, v2
	s_wait_alu 0xfffe
	s_delay_alu instid0(VALU_DEP_1) | instskip(NEXT) | instid1(VALU_DEP_1)
	v_mul_lo_u32 v11, s1, v2
	v_mul_hi_u32 v11, v2, v11
	s_delay_alu instid0(VALU_DEP_1) | instskip(NEXT) | instid1(VALU_DEP_1)
	v_add_nc_u32_e32 v2, v2, v11
	v_mul_hi_u32 v2, v27, v2
	s_delay_alu instid0(VALU_DEP_1) | instskip(SKIP_1) | instid1(VALU_DEP_2)
	v_mul_lo_u32 v11, v2, s44
	v_add_nc_u32_e32 v12, 1, v2
	v_sub_nc_u32_e32 v11, v27, v11
	s_delay_alu instid0(VALU_DEP_1) | instskip(SKIP_2) | instid1(VALU_DEP_2)
	v_subrev_nc_u32_e32 v21, s44, v11
	v_cmp_le_u32_e32 vcc_lo, s44, v11
	s_wait_alu 0xfffd
	v_dual_cndmask_b32 v11, v11, v21 :: v_dual_cndmask_b32 v2, v2, v12
	s_delay_alu instid0(VALU_DEP_1) | instskip(NEXT) | instid1(VALU_DEP_2)
	v_cmp_le_u32_e32 vcc_lo, s44, v11
	v_add_nc_u32_e32 v12, 1, v2
	s_wait_alu 0xfffd
	s_delay_alu instid0(VALU_DEP_1)
	v_dual_cndmask_b32 v11, v2, v12 :: v_dual_mov_b32 v12, v1
.LBB35_31:                              ;   in Loop: Header=BB35_3 Depth=1
	s_wait_alu 0xfffe
	s_or_b32 exec_lo, exec_lo, s0
	s_delay_alu instid0(VALU_DEP_1) | instskip(NEXT) | instid1(VALU_DEP_2)
	v_mul_lo_u32 v2, v12, s44
	v_mul_lo_u32 v24, v11, s45
	v_mad_co_u64_u32 v[21:22], null, v11, s44, 0
	s_mov_b32 s0, exec_lo
	v_add3_u32 v2, v22, v24, v2
	v_mul_lo_u32 v22, v12, s12
	v_sub_co_u32 v12, vcc_lo, v19, v21
	v_mul_lo_u32 v21, v11, s13
	s_wait_alu 0xfffd
	v_sub_co_ci_u32_e64 v2, null, v20, v2, vcc_lo
	s_delay_alu instid0(VALU_DEP_3) | instskip(SKIP_2) | instid1(VALU_DEP_3)
	v_add_co_u32 v19, vcc_lo, v3, v12
	v_mad_co_u64_u32 v[11:12], null, v11, s12, 0
	s_wait_alu 0xfffd
	v_add_co_ci_u32_e64 v2, null, v4, v2, vcc_lo
	s_delay_alu instid0(VALU_DEP_3) | instskip(SKIP_1) | instid1(VALU_DEP_3)
	v_mul_lo_u32 v24, v19, s15
	v_mad_co_u64_u32 v[19:20], null, v19, s14, 0
	v_mul_lo_u32 v2, v2, s14
	v_add3_u32 v12, v12, v21, v22
	s_delay_alu instid0(VALU_DEP_1) | instskip(NEXT) | instid1(VALU_DEP_3)
	v_lshlrev_b64_e32 v[11:12], 3, v[11:12]
	v_add3_u32 v20, v20, v24, v2
	s_delay_alu instid0(VALU_DEP_2) | instskip(NEXT) | instid1(VALU_DEP_2)
	v_add_co_u32 v2, vcc_lo, s36, v11
	v_lshlrev_b64_e32 v[19:20], 3, v[19:20]
	s_wait_alu 0xfffd
	s_delay_alu instid0(VALU_DEP_4) | instskip(NEXT) | instid1(VALU_DEP_2)
	v_add_co_ci_u32_e64 v12, null, s37, v12, vcc_lo
	v_add_co_u32 v11, vcc_lo, v2, v19
	s_wait_alu 0xfffd
	s_delay_alu instid0(VALU_DEP_2)
	v_add_co_ci_u32_e64 v12, null, v12, v20, vcc_lo
	v_or_b32_e32 v2, s41, v4
	global_load_b64 v[19:20], v[11:12], off
                                        ; implicit-def: $vgpr11_vgpr12
	v_cmpx_ne_u64_e32 0, v[1:2]
	s_wait_alu 0xfffe
	s_xor_b32 s94, exec_lo, s0
	s_cbranch_execz .LBB35_33
; %bb.32:                               ;   in Loop: Header=BB35_3 Depth=1
	s_ashr_i32 s102, s41, 31
	s_wait_alu 0xfffe
	s_mov_b32 s103, s102
	s_wait_alu 0xfffe
	s_add_nc_u64 s[0:1], s[40:41], s[102:103]
	s_wait_alu 0xfffe
	s_xor_b64 s[98:99], s[0:1], s[102:103]
	s_wait_alu 0xfffe
	s_cvt_f32_u32 s0, s98
	s_cvt_f32_u32 s1, s99
	s_sub_nc_u64 s[72:73], 0, s[98:99]
	s_wait_alu 0xfffe
	s_delay_alu instid0(SALU_CYCLE_1) | instskip(SKIP_1) | instid1(SALU_CYCLE_2)
	s_fmamk_f32 s0, s1, 0x4f800000, s0
	s_wait_alu 0xfffe
	v_s_rcp_f32 s0, s0
	s_delay_alu instid0(TRANS32_DEP_1) | instskip(SKIP_1) | instid1(SALU_CYCLE_2)
	s_mul_f32 s0, s0, 0x5f7ffffc
	s_wait_alu 0xfffe
	s_mul_f32 s1, s0, 0x2f800000
	s_wait_alu 0xfffe
	s_delay_alu instid0(SALU_CYCLE_2) | instskip(SKIP_1) | instid1(SALU_CYCLE_2)
	s_trunc_f32 s1, s1
	s_wait_alu 0xfffe
	s_fmamk_f32 s0, s1, 0xcf800000, s0
	s_cvt_u32_f32 s1, s1
	s_wait_alu 0xfffe
	s_delay_alu instid0(SALU_CYCLE_1) | instskip(SKIP_1) | instid1(SALU_CYCLE_2)
	s_cvt_u32_f32 s0, s0
	s_wait_alu 0xfffe
	s_mul_u64 s[74:75], s[72:73], s[0:1]
	s_wait_alu 0xfffe
	s_mul_hi_u32 s101, s0, s75
	s_mul_i32 s100, s0, s75
	s_mul_hi_u32 s2, s0, s74
	s_mul_i32 s103, s1, s74
	s_wait_alu 0xfffe
	s_add_nc_u64 s[100:101], s[2:3], s[100:101]
	s_mul_hi_u32 s97, s1, s74
	s_mul_hi_u32 vcc_lo, s1, s75
	s_add_co_u32 s2, s100, s103
	s_wait_alu 0xfffe
	s_add_co_ci_u32 s2, s101, s97
	s_mul_i32 s74, s1, s75
	s_add_co_ci_u32 s75, vcc_lo, 0
	v_add_co_u32 v2, vcc_lo, v3, v23
	s_wait_alu 0xfffe
	s_add_nc_u64 s[74:75], s[2:3], s[74:75]
	s_wait_alu 0xfffd
	v_add_co_ci_u32_e64 v11, null, v4, v23, vcc_lo
	s_wait_alu 0xfffe
	s_add_co_u32 s0, s0, s74
	s_cselect_b32 s2, -1, 0
	v_xor_b32_e32 v2, v2, v23
	s_wait_alu 0xfffe
	s_cmp_lg_u32 s2, 0
	v_xor_b32_e32 v26, v11, v23
	s_add_co_ci_u32 s1, s1, s75
	s_wait_alu 0xfffe
	s_mul_u64 s[72:73], s[72:73], s[0:1]
	s_wait_alu 0xfffe
	s_mul_hi_u32 s75, s0, s73
	s_mul_i32 s74, s0, s73
	s_mul_hi_u32 s2, s0, s72
	s_mul_i32 s100, s1, s72
	s_wait_alu 0xfffe
	s_add_nc_u64 s[74:75], s[2:3], s[74:75]
	s_mul_hi_u32 s97, s1, s72
	s_mul_hi_u32 s101, s1, s73
	s_wait_alu 0xfffe
	s_add_co_u32 s2, s74, s100
	s_add_co_ci_u32 s2, s75, s97
	s_mul_i32 s72, s1, s73
	s_add_co_ci_u32 s73, s101, 0
	s_wait_alu 0xfffe
	s_add_nc_u64 s[72:73], s[2:3], s[72:73]
	s_wait_alu 0xfffe
	s_add_co_u32 s0, s0, s72
	s_cselect_b32 s2, -1, 0
	s_wait_alu 0xfffe
	v_mul_hi_u32 v27, v2, s0
	s_cmp_lg_u32 s2, 0
	v_mad_co_u64_u32 v[21:22], null, v26, s0, 0
	s_add_co_ci_u32 s1, s1, s73
	s_wait_alu 0xfffe
	v_mad_co_u64_u32 v[11:12], null, v2, s1, 0
	v_mad_co_u64_u32 v[24:25], null, v26, s1, 0
	s_delay_alu instid0(VALU_DEP_2) | instskip(SKIP_1) | instid1(VALU_DEP_3)
	v_add_co_u32 v11, vcc_lo, v27, v11
	s_wait_alu 0xfffd
	v_add_co_ci_u32_e64 v12, null, 0, v12, vcc_lo
	s_delay_alu instid0(VALU_DEP_2) | instskip(SKIP_1) | instid1(VALU_DEP_2)
	v_add_co_u32 v11, vcc_lo, v11, v21
	s_wait_alu 0xfffd
	v_add_co_ci_u32_e32 v11, vcc_lo, v12, v22, vcc_lo
	s_wait_alu 0xfffd
	v_add_co_ci_u32_e32 v12, vcc_lo, 0, v25, vcc_lo
	s_delay_alu instid0(VALU_DEP_2) | instskip(SKIP_1) | instid1(VALU_DEP_2)
	v_add_co_u32 v21, vcc_lo, v11, v24
	s_wait_alu 0xfffd
	v_add_co_ci_u32_e64 v22, null, 0, v12, vcc_lo
	s_delay_alu instid0(VALU_DEP_2) | instskip(SKIP_1) | instid1(VALU_DEP_3)
	v_mul_lo_u32 v24, s99, v21
	v_mad_co_u64_u32 v[11:12], null, s98, v21, 0
	v_mul_lo_u32 v25, s98, v22
	s_delay_alu instid0(VALU_DEP_2) | instskip(NEXT) | instid1(VALU_DEP_2)
	v_sub_co_u32 v2, vcc_lo, v2, v11
	v_add3_u32 v12, v12, v25, v24
	s_delay_alu instid0(VALU_DEP_2) | instskip(NEXT) | instid1(VALU_DEP_2)
	v_cmp_le_u32_e64 s1, s98, v2
	v_sub_nc_u32_e32 v24, v26, v12
	s_wait_alu 0xfffd
	v_sub_co_ci_u32_e64 v12, null, v26, v12, vcc_lo
	s_wait_alu 0xf1ff
	v_cndmask_b32_e64 v25, 0, -1, s1
	v_subrev_co_ci_u32_e64 v11, null, s99, v24, vcc_lo
	v_sub_co_u32 v24, s0, v2, s98
	v_cmp_le_u32_e64 s2, s99, v12
	s_wait_alu 0xf1ff
	s_delay_alu instid0(VALU_DEP_3) | instskip(NEXT) | instid1(VALU_DEP_3)
	v_subrev_co_ci_u32_e64 v11, null, 0, v11, s0
	v_cmp_le_u32_e32 vcc_lo, s98, v24
	v_cmp_eq_u32_e64 s1, s99, v12
	v_cndmask_b32_e64 v12, 0, -1, s2
	s_delay_alu instid0(VALU_DEP_4)
	v_cmp_le_u32_e64 s0, s99, v11
	s_wait_alu 0xfffd
	v_cndmask_b32_e64 v2, 0, -1, vcc_lo
	v_cmp_eq_u32_e32 vcc_lo, s99, v11
	s_wait_alu 0xf1ff
	v_cndmask_b32_e64 v12, v12, v25, s1
	v_cndmask_b32_e64 v11, 0, -1, s0
	v_add_co_u32 v24, s0, v21, 2
	s_wait_alu 0xfffd
	s_delay_alu instid0(VALU_DEP_2) | instskip(SKIP_3) | instid1(VALU_DEP_3)
	v_cndmask_b32_e32 v2, v11, v2, vcc_lo
	s_wait_alu 0xf1ff
	v_add_co_ci_u32_e64 v11, null, 0, v22, s0
	v_add_co_u32 v26, vcc_lo, v21, 1
	v_cmp_ne_u32_e64 s0, 0, v2
	s_wait_alu 0xfffd
	v_add_co_ci_u32_e64 v2, null, 0, v22, vcc_lo
	v_cmp_ne_u32_e32 vcc_lo, 0, v12
	s_wait_alu 0xf1ff
	v_cndmask_b32_e64 v12, v26, v24, s0
	s_delay_alu instid0(VALU_DEP_3) | instskip(SKIP_2) | instid1(VALU_DEP_2)
	v_cndmask_b32_e64 v2, v2, v11, s0
	v_xor_b32_e32 v24, s102, v23
	s_wait_alu 0xfffd
	v_dual_cndmask_b32 v11, v21, v12 :: v_dual_cndmask_b32 v2, v22, v2
	s_delay_alu instid0(VALU_DEP_1) | instskip(NEXT) | instid1(VALU_DEP_2)
	v_xor_b32_e32 v11, v11, v24
	v_xor_b32_e32 v2, v2, v24
	s_delay_alu instid0(VALU_DEP_2) | instskip(SKIP_1) | instid1(VALU_DEP_2)
	v_sub_co_u32 v11, vcc_lo, v11, v24
	s_wait_alu 0xfffd
	v_sub_co_ci_u32_e64 v12, null, v2, v24, vcc_lo
.LBB35_33:                              ;   in Loop: Header=BB35_3 Depth=1
	s_wait_alu 0xfffe
	s_and_not1_saveexec_b32 s0, s94
	s_cbranch_execz .LBB35_35
; %bb.34:                               ;   in Loop: Header=BB35_3 Depth=1
	v_cvt_f32_u32_e32 v2, s40
	s_sub_co_i32 s1, 0, s40
	s_delay_alu instid0(VALU_DEP_1) | instskip(NEXT) | instid1(TRANS32_DEP_1)
	v_rcp_iflag_f32_e32 v2, v2
	v_mul_f32_e32 v2, 0x4f7ffffe, v2
	s_delay_alu instid0(VALU_DEP_1) | instskip(SKIP_1) | instid1(VALU_DEP_1)
	v_cvt_u32_f32_e32 v2, v2
	s_wait_alu 0xfffe
	v_mul_lo_u32 v11, s1, v2
	s_delay_alu instid0(VALU_DEP_1) | instskip(NEXT) | instid1(VALU_DEP_1)
	v_mul_hi_u32 v11, v2, v11
	v_add_nc_u32_e32 v2, v2, v11
	s_delay_alu instid0(VALU_DEP_1) | instskip(NEXT) | instid1(VALU_DEP_1)
	v_mul_hi_u32 v2, v3, v2
	v_mul_lo_u32 v11, v2, s40
	v_add_nc_u32_e32 v12, 1, v2
	s_delay_alu instid0(VALU_DEP_2) | instskip(NEXT) | instid1(VALU_DEP_1)
	v_sub_nc_u32_e32 v11, v3, v11
	v_subrev_nc_u32_e32 v21, s40, v11
	v_cmp_le_u32_e32 vcc_lo, s40, v11
	s_wait_alu 0xfffd
	s_delay_alu instid0(VALU_DEP_2) | instskip(NEXT) | instid1(VALU_DEP_1)
	v_dual_cndmask_b32 v11, v11, v21 :: v_dual_cndmask_b32 v2, v2, v12
	v_cmp_le_u32_e32 vcc_lo, s40, v11
	s_delay_alu instid0(VALU_DEP_2) | instskip(SKIP_1) | instid1(VALU_DEP_1)
	v_add_nc_u32_e32 v12, 1, v2
	s_wait_alu 0xfffd
	v_dual_cndmask_b32 v11, v2, v12 :: v_dual_mov_b32 v12, v1
.LBB35_35:                              ;   in Loop: Header=BB35_3 Depth=1
	s_wait_alu 0xfffe
	s_or_b32 exec_lo, exec_lo, s0
	s_delay_alu instid0(VALU_DEP_1) | instskip(NEXT) | instid1(VALU_DEP_2)
	v_mad_co_u64_u32 v[21:22], null, s64, v11, v[3:4]
	v_mul_lo_u32 v2, s64, v12
	v_mul_lo_u32 v24, s65, v11
	;; [unrolled: 1-line block ×4, first 2 shown]
	v_mad_co_u64_u32 v[11:12], null, v11, s16, 0
	s_mov_b32 s0, exec_lo
	v_add3_u32 v2, v24, v22, v2
	v_mul_lo_u32 v24, v21, s19
	v_mad_co_u64_u32 v[21:22], null, v21, s18, 0
	v_add3_u32 v12, v12, v26, v25
	s_delay_alu instid0(VALU_DEP_4) | instskip(NEXT) | instid1(VALU_DEP_2)
	v_mul_lo_u32 v2, v2, s18
	v_lshlrev_b64_e32 v[11:12], 3, v[11:12]
	s_delay_alu instid0(VALU_DEP_2) | instskip(NEXT) | instid1(VALU_DEP_2)
	v_add3_u32 v22, v22, v24, v2
	v_add_co_u32 v2, vcc_lo, s38, v11
	s_wait_alu 0xfffd
	s_delay_alu instid0(VALU_DEP_3) | instskip(NEXT) | instid1(VALU_DEP_3)
	v_add_co_ci_u32_e64 v12, null, s39, v12, vcc_lo
	v_lshlrev_b64_e32 v[21:22], 3, v[21:22]
	s_delay_alu instid0(VALU_DEP_1) | instskip(SKIP_1) | instid1(VALU_DEP_2)
	v_add_co_u32 v11, vcc_lo, v2, v21
	s_wait_alu 0xfffd
	v_add_co_ci_u32_e64 v12, null, v12, v22, vcc_lo
	v_or_b32_e32 v2, s43, v4
                                        ; implicit-def: $vgpr21_vgpr22
	global_load_b64 v[11:12], v[11:12], off
	v_cmpx_ne_u64_e32 0, v[1:2]
	s_wait_alu 0xfffe
	s_xor_b32 s94, exec_lo, s0
	s_cbranch_execnz .LBB35_39
; %bb.36:                               ;   in Loop: Header=BB35_3 Depth=1
	s_wait_alu 0xfffe
	s_and_not1_saveexec_b32 s0, s94
	s_cbranch_execnz .LBB35_40
.LBB35_37:                              ;   in Loop: Header=BB35_3 Depth=1
	s_wait_alu 0xfffe
	s_or_b32 exec_lo, exec_lo, s0
	s_delay_alu instid0(SALU_CYCLE_1)
	s_and_not1_b32 vcc_lo, exec_lo, s33
	s_wait_alu 0xfffe
	s_cbranch_vccnz .LBB35_41
.LBB35_38:                              ;   in Loop: Header=BB35_3 Depth=1
	v_sub_co_u32 v26, vcc_lo, 1, v5
	s_wait_alu 0xfffd
	v_sub_co_ci_u32_e64 v27, null, 0, v6, vcc_lo
	v_mad_co_u64_u32 v[23:24], null, s62, v5, v[3:4]
	v_mul_lo_u32 v2, s62, v6
	v_mul_lo_u32 v25, s63, v5
	s_delay_alu instid0(VALU_DEP_4)
	v_mul_lo_u32 v29, s4, v27
	v_mul_lo_u32 v30, s5, v26
	v_mad_co_u64_u32 v[26:27], null, s4, v26, v[3:4]
	v_mul_lo_u32 v28, v23, s47
	v_mul_lo_u32 v39, v23, s51
	v_add3_u32 v2, v25, v24, v2
	v_mad_co_u64_u32 v[24:25], null, v23, s46, 0
	v_add3_u32 v34, v30, v27, v29
	v_sub_co_u32 v29, vcc_lo, 2, v5
	s_wait_alu 0xfffd
	v_sub_co_ci_u32_e64 v30, null, 0, v6, vcc_lo
	v_mul_lo_u32 v31, v2, s46
	s_delay_alu instid0(VALU_DEP_3) | instskip(SKIP_1) | instid1(VALU_DEP_4)
	v_mul_lo_u32 v36, s5, v29
	v_mul_lo_u32 v32, v26, s47
	;; [unrolled: 1-line block ×3, first 2 shown]
	v_mad_co_u64_u32 v[29:30], null, s4, v29, v[3:4]
	v_mul_lo_u32 v2, v2, s50
	v_add3_u32 v25, v25, v28, v31
	v_mul_lo_u32 v31, v34, s46
	v_mad_co_u64_u32 v[27:28], null, v26, s46, 0
	v_add3_u32 v38, v36, v30, v33
	v_mul_lo_u32 v37, v29, s47
	v_lshlrev_b64_e32 v[24:25], 3, v[24:25]
	s_delay_alu instid0(VALU_DEP_3)
	v_mul_lo_u32 v36, v38, s46
	v_add3_u32 v28, v28, v32, v31
	v_mad_co_u64_u32 v[30:31], null, v29, s46, 0
	v_mad_co_u64_u32 v[32:33], null, v23, s50, 0
	v_mul_lo_u32 v23, v34, s50
	v_mul_lo_u32 v34, v26, s51
	v_lshlrev_b64_e32 v[27:28], 3, v[27:28]
	v_add_co_u32 v24, vcc_lo, s28, v24
	v_add3_u32 v31, v31, v37, v36
	v_mad_co_u64_u32 v[36:37], null, v26, s50, 0
	v_add3_u32 v33, v33, v39, v2
	v_mul_lo_u32 v2, v38, s50
	v_mul_lo_u32 v26, v29, s51
	v_mad_co_u64_u32 v[38:39], null, v29, s50, 0
	v_lshlrev_b64_e32 v[30:31], 3, v[30:31]
	v_lshlrev_b64_e32 v[32:33], 3, v[32:33]
	v_add3_u32 v37, v37, v34, v23
	s_wait_alu 0xfffd
	v_add_co_ci_u32_e64 v25, null, s29, v25, vcc_lo
	v_add_co_u32 v27, vcc_lo, s28, v27
	v_add3_u32 v39, v39, v26, v2
	s_wait_alu 0xfffd
	v_add_co_ci_u32_e64 v28, null, s29, v28, vcc_lo
	v_add_co_u32 v29, vcc_lo, s28, v30
	s_wait_alu 0xfffd
	v_add_co_ci_u32_e64 v30, null, s29, v31, vcc_lo
	v_lshlrev_b64_e32 v[36:37], 3, v[36:37]
	v_add_co_u32 v31, vcc_lo, s48, v32
	s_wait_alu 0xfffd
	v_add_co_ci_u32_e64 v32, null, s49, v33, vcc_lo
	v_lshlrev_b64_e32 v[33:34], 3, v[38:39]
	s_delay_alu instid0(VALU_DEP_4) | instskip(SKIP_2) | instid1(VALU_DEP_3)
	v_add_co_u32 v36, vcc_lo, s48, v36
	s_wait_alu 0xfffd
	v_add_co_ci_u32_e64 v37, null, s49, v37, vcc_lo
	v_add_co_u32 v38, vcc_lo, s48, v33
	s_wait_alu 0xfffd
	v_add_co_ci_u32_e64 v39, null, s49, v34, vcc_lo
	s_clause 0x2
	global_load_b64 v[33:34], v[24:25], off
	global_load_b64 v[23:24], v[27:28], off
	;; [unrolled: 1-line block ×3, first 2 shown]
	s_clause 0x2
	global_load_b64 v[31:32], v[31:32], off
	global_load_b64 v[25:26], v[36:37], off
	;; [unrolled: 1-line block ×3, first 2 shown]
	s_branch .LBB35_42
.LBB35_39:                              ;   in Loop: Header=BB35_3 Depth=1
	s_ashr_i32 s102, s43, 31
	s_wait_alu 0xfffe
	s_mov_b32 s103, s102
	s_wait_alu 0xfffe
	s_add_nc_u64 s[0:1], s[42:43], s[102:103]
	s_wait_alu 0xfffe
	s_xor_b64 s[98:99], s[0:1], s[102:103]
	s_wait_alu 0xfffe
	s_cvt_f32_u32 s0, s98
	s_cvt_f32_u32 s1, s99
	s_sub_nc_u64 s[72:73], 0, s[98:99]
	s_wait_alu 0xfffe
	s_delay_alu instid0(SALU_CYCLE_1) | instskip(SKIP_1) | instid1(SALU_CYCLE_2)
	s_fmamk_f32 s0, s1, 0x4f800000, s0
	s_wait_alu 0xfffe
	v_s_rcp_f32 s0, s0
	s_delay_alu instid0(TRANS32_DEP_1) | instskip(SKIP_1) | instid1(SALU_CYCLE_2)
	s_mul_f32 s0, s0, 0x5f7ffffc
	s_wait_alu 0xfffe
	s_mul_f32 s1, s0, 0x2f800000
	s_wait_alu 0xfffe
	s_delay_alu instid0(SALU_CYCLE_2) | instskip(SKIP_1) | instid1(SALU_CYCLE_2)
	s_trunc_f32 s1, s1
	s_wait_alu 0xfffe
	s_fmamk_f32 s0, s1, 0xcf800000, s0
	s_cvt_u32_f32 s1, s1
	s_wait_alu 0xfffe
	s_delay_alu instid0(SALU_CYCLE_1) | instskip(SKIP_1) | instid1(SALU_CYCLE_2)
	s_cvt_u32_f32 s0, s0
	s_wait_alu 0xfffe
	s_mul_u64 s[74:75], s[72:73], s[0:1]
	s_wait_alu 0xfffe
	s_mul_hi_u32 s101, s0, s75
	s_mul_i32 s100, s0, s75
	s_mul_hi_u32 s2, s0, s74
	s_mul_i32 s103, s1, s74
	s_wait_alu 0xfffe
	s_add_nc_u64 s[100:101], s[2:3], s[100:101]
	s_mul_hi_u32 s97, s1, s74
	s_mul_hi_u32 vcc_lo, s1, s75
	s_add_co_u32 s2, s100, s103
	s_wait_alu 0xfffe
	s_add_co_ci_u32 s2, s101, s97
	s_mul_i32 s74, s1, s75
	s_add_co_ci_u32 s75, vcc_lo, 0
	v_add_co_u32 v2, vcc_lo, v3, v23
	s_wait_alu 0xfffe
	s_add_nc_u64 s[74:75], s[2:3], s[74:75]
	s_wait_alu 0xfffd
	v_add_co_ci_u32_e64 v21, null, v4, v23, vcc_lo
	s_wait_alu 0xfffe
	s_add_co_u32 s0, s0, s74
	s_cselect_b32 s2, -1, 0
	v_xor_b32_e32 v2, v2, v23
	s_wait_alu 0xfffe
	s_cmp_lg_u32 s2, 0
	v_xor_b32_e32 v28, v21, v23
	s_add_co_ci_u32 s1, s1, s75
	v_xor_b32_e32 v23, s102, v23
	s_wait_alu 0xfffe
	s_mul_u64 s[72:73], s[72:73], s[0:1]
	s_wait_alu 0xfffe
	s_mul_hi_u32 s75, s0, s73
	s_mul_i32 s74, s0, s73
	s_mul_hi_u32 s2, s0, s72
	s_mul_i32 s100, s1, s72
	s_wait_alu 0xfffe
	s_add_nc_u64 s[74:75], s[2:3], s[74:75]
	s_mul_hi_u32 s97, s1, s72
	s_mul_hi_u32 s101, s1, s73
	s_wait_alu 0xfffe
	s_add_co_u32 s2, s74, s100
	s_add_co_ci_u32 s2, s75, s97
	s_mul_i32 s72, s1, s73
	s_add_co_ci_u32 s73, s101, 0
	s_wait_alu 0xfffe
	s_add_nc_u64 s[72:73], s[2:3], s[72:73]
	s_wait_alu 0xfffe
	s_add_co_u32 s0, s0, s72
	s_cselect_b32 s2, -1, 0
	s_wait_alu 0xfffe
	v_mul_hi_u32 v29, v2, s0
	s_cmp_lg_u32 s2, 0
	v_mad_co_u64_u32 v[24:25], null, v28, s0, 0
	s_add_co_ci_u32 s1, s1, s73
	s_wait_alu 0xfffe
	v_mad_co_u64_u32 v[21:22], null, v2, s1, 0
	v_mad_co_u64_u32 v[26:27], null, v28, s1, 0
	s_delay_alu instid0(VALU_DEP_2) | instskip(SKIP_1) | instid1(VALU_DEP_3)
	v_add_co_u32 v21, vcc_lo, v29, v21
	s_wait_alu 0xfffd
	v_add_co_ci_u32_e64 v22, null, 0, v22, vcc_lo
	s_delay_alu instid0(VALU_DEP_2) | instskip(SKIP_1) | instid1(VALU_DEP_2)
	v_add_co_u32 v21, vcc_lo, v21, v24
	s_wait_alu 0xfffd
	v_add_co_ci_u32_e32 v21, vcc_lo, v22, v25, vcc_lo
	s_wait_alu 0xfffd
	v_add_co_ci_u32_e32 v22, vcc_lo, 0, v27, vcc_lo
	s_delay_alu instid0(VALU_DEP_2) | instskip(SKIP_1) | instid1(VALU_DEP_2)
	v_add_co_u32 v24, vcc_lo, v21, v26
	s_wait_alu 0xfffd
	v_add_co_ci_u32_e64 v25, null, 0, v22, vcc_lo
	s_delay_alu instid0(VALU_DEP_2) | instskip(SKIP_1) | instid1(VALU_DEP_3)
	v_mul_lo_u32 v26, s99, v24
	v_mad_co_u64_u32 v[21:22], null, s98, v24, 0
	v_mul_lo_u32 v27, s98, v25
	s_delay_alu instid0(VALU_DEP_2) | instskip(NEXT) | instid1(VALU_DEP_2)
	v_sub_co_u32 v2, vcc_lo, v2, v21
	v_add3_u32 v22, v22, v27, v26
	s_delay_alu instid0(VALU_DEP_2) | instskip(NEXT) | instid1(VALU_DEP_2)
	v_cmp_le_u32_e64 s1, s98, v2
	v_sub_nc_u32_e32 v26, v28, v22
	s_wait_alu 0xfffd
	v_sub_co_ci_u32_e64 v22, null, v28, v22, vcc_lo
	s_wait_alu 0xf1ff
	v_cndmask_b32_e64 v27, 0, -1, s1
	v_subrev_co_ci_u32_e64 v21, null, s99, v26, vcc_lo
	v_sub_co_u32 v26, s0, v2, s98
	v_cmp_le_u32_e64 s2, s99, v22
	s_wait_alu 0xf1ff
	s_delay_alu instid0(VALU_DEP_3) | instskip(NEXT) | instid1(VALU_DEP_3)
	v_subrev_co_ci_u32_e64 v21, null, 0, v21, s0
	v_cmp_le_u32_e32 vcc_lo, s98, v26
	v_cmp_eq_u32_e64 s1, s99, v22
	v_cndmask_b32_e64 v22, 0, -1, s2
	s_delay_alu instid0(VALU_DEP_4)
	v_cmp_le_u32_e64 s0, s99, v21
	s_wait_alu 0xfffd
	v_cndmask_b32_e64 v2, 0, -1, vcc_lo
	v_cmp_eq_u32_e32 vcc_lo, s99, v21
	s_wait_alu 0xf1ff
	v_cndmask_b32_e64 v22, v22, v27, s1
	v_cndmask_b32_e64 v21, 0, -1, s0
	v_add_co_u32 v26, s0, v24, 2
	s_wait_alu 0xfffd
	s_delay_alu instid0(VALU_DEP_2) | instskip(SKIP_3) | instid1(VALU_DEP_3)
	v_cndmask_b32_e32 v2, v21, v2, vcc_lo
	s_wait_alu 0xf1ff
	v_add_co_ci_u32_e64 v21, null, 0, v25, s0
	v_add_co_u32 v28, vcc_lo, v24, 1
	v_cmp_ne_u32_e64 s0, 0, v2
	s_wait_alu 0xfffd
	v_add_co_ci_u32_e64 v2, null, 0, v25, vcc_lo
	v_cmp_ne_u32_e32 vcc_lo, 0, v22
	s_wait_alu 0xf1ff
	v_cndmask_b32_e64 v22, v28, v26, s0
	s_delay_alu instid0(VALU_DEP_3) | instskip(SKIP_1) | instid1(VALU_DEP_2)
	v_cndmask_b32_e64 v2, v2, v21, s0
	s_wait_alu 0xfffd
	v_cndmask_b32_e32 v21, v24, v22, vcc_lo
	s_delay_alu instid0(VALU_DEP_2) | instskip(NEXT) | instid1(VALU_DEP_2)
	v_cndmask_b32_e32 v2, v25, v2, vcc_lo
	v_xor_b32_e32 v21, v21, v23
	s_delay_alu instid0(VALU_DEP_2) | instskip(NEXT) | instid1(VALU_DEP_2)
	v_xor_b32_e32 v2, v2, v23
	v_sub_co_u32 v21, vcc_lo, v21, v23
	s_wait_alu 0xfffd
	s_delay_alu instid0(VALU_DEP_2)
	v_sub_co_ci_u32_e64 v22, null, v2, v23, vcc_lo
	s_and_not1_saveexec_b32 s0, s94
	s_cbranch_execz .LBB35_37
.LBB35_40:                              ;   in Loop: Header=BB35_3 Depth=1
	v_cvt_f32_u32_e32 v2, s42
	s_sub_co_i32 s1, 0, s42
	s_delay_alu instid0(VALU_DEP_1) | instskip(NEXT) | instid1(TRANS32_DEP_1)
	v_rcp_iflag_f32_e32 v2, v2
	v_mul_f32_e32 v2, 0x4f7ffffe, v2
	s_delay_alu instid0(VALU_DEP_1) | instskip(SKIP_1) | instid1(VALU_DEP_1)
	v_cvt_u32_f32_e32 v2, v2
	s_wait_alu 0xfffe
	v_mul_lo_u32 v21, s1, v2
	s_delay_alu instid0(VALU_DEP_1) | instskip(NEXT) | instid1(VALU_DEP_1)
	v_mul_hi_u32 v21, v2, v21
	v_add_nc_u32_e32 v2, v2, v21
	s_delay_alu instid0(VALU_DEP_1) | instskip(NEXT) | instid1(VALU_DEP_1)
	v_mul_hi_u32 v2, v3, v2
	v_mul_lo_u32 v21, v2, s42
	v_add_nc_u32_e32 v22, 1, v2
	s_delay_alu instid0(VALU_DEP_2) | instskip(NEXT) | instid1(VALU_DEP_1)
	v_sub_nc_u32_e32 v21, v3, v21
	v_subrev_nc_u32_e32 v23, s42, v21
	v_cmp_le_u32_e32 vcc_lo, s42, v21
	s_wait_alu 0xfffd
	s_delay_alu instid0(VALU_DEP_2) | instskip(NEXT) | instid1(VALU_DEP_1)
	v_dual_cndmask_b32 v21, v21, v23 :: v_dual_cndmask_b32 v2, v2, v22
	v_cmp_le_u32_e32 vcc_lo, s42, v21
	s_delay_alu instid0(VALU_DEP_2) | instskip(SKIP_1) | instid1(VALU_DEP_1)
	v_add_nc_u32_e32 v22, 1, v2
	s_wait_alu 0xfffd
	v_dual_cndmask_b32 v21, v2, v22 :: v_dual_mov_b32 v22, v1
	s_or_b32 exec_lo, exec_lo, s0
	s_delay_alu instid0(SALU_CYCLE_1)
	s_and_not1_b32 vcc_lo, exec_lo, s33
	s_wait_alu 0xfffe
	s_cbranch_vccz .LBB35_38
.LBB35_41:                              ;   in Loop: Header=BB35_3 Depth=1
	v_mov_b32_e32 v23, 0
	v_mov_b32_e32 v31, 0
	v_dual_mov_b32 v29, 0 :: v_dual_mov_b32 v24, 0
	v_dual_mov_b32 v27, 0 :: v_dual_mov_b32 v32, 0
	v_dual_mov_b32 v25, 0 :: v_dual_mov_b32 v30, 0
	v_dual_mov_b32 v33, 0 :: v_dual_mov_b32 v28, 0
	v_mov_b32_e32 v26, 0
	v_mov_b32_e32 v34, 0
.LBB35_42:                              ;   in Loop: Header=BB35_3 Depth=1
	s_wait_loadcnt 0x3
	v_add_f64_e32 v[7:8], v[7:8], v[15:16]
	s_mov_b32 s72, 0x3b39803f
	s_mov_b32 s73, 0xbc7abc9e
	s_mov_b32 s74, 0xfca7ab0c
	s_mov_b32 s75, 0x3e928af3
	v_add_f64_e32 v[13:14], v[13:14], v[27:28]
	s_mov_b32 s94, s68
	s_mov_b32 s97, s71
	s_wait_loadcnt 0x2
	v_add_f64_e32 v[9:10], v[9:10], v[17:18]
	s_delay_alu instid0(VALU_DEP_3) | instskip(NEXT) | instid1(VALU_DEP_2)
	v_add_f64_e32 v[7:8], v[7:8], v[33:34]
	v_add_f64_e32 v[9:10], v[9:10], v[23:24]
	s_delay_alu instid0(VALU_DEP_2) | instskip(SKIP_1) | instid1(VALU_DEP_2)
	v_add_f64_e32 v[7:8], v[31:32], v[7:8]
	s_wait_loadcnt 0x1
	v_add_f64_e32 v[25:26], v[9:10], v[25:26]
	s_delay_alu instid0(VALU_DEP_2) | instskip(SKIP_1) | instid1(VALU_DEP_2)
	v_mul_f64_e32 v[15:16], s[68:69], v[7:8]
	v_cmp_nlt_f64_e64 s0, 0x4090cc00, v[7:8]
	v_rndne_f64_e32 v[15:16], v[15:16]
	s_delay_alu instid0(VALU_DEP_1) | instskip(SKIP_2) | instid1(VALU_DEP_2)
	v_fma_f64 v[31:32], v[15:16], s[70:71], -v[7:8]
	v_cvt_i32_f64_e32 v2, v[15:16]
	s_wait_alu 0xfffe
	v_fma_f64 v[31:32], v[15:16], s[72:73], v[31:32]
	s_delay_alu instid0(VALU_DEP_1) | instskip(NEXT) | instid1(VALU_DEP_1)
	v_fma_f64 v[33:34], v[31:32], s[76:77], s[74:75]
	v_fma_f64 v[33:34], v[31:32], v[33:34], s[78:79]
	s_delay_alu instid0(VALU_DEP_1) | instskip(NEXT) | instid1(VALU_DEP_1)
	v_fma_f64 v[33:34], v[31:32], v[33:34], s[80:81]
	;; [unrolled: 3-line block ×5, first 2 shown]
	v_fma_f64 v[33:34], v[31:32], v[33:34], 1.0
	s_delay_alu instid0(VALU_DEP_1) | instskip(NEXT) | instid1(VALU_DEP_1)
	v_fma_f64 v[15:16], v[31:32], v[33:34], 1.0
	v_ldexp_f64 v[15:16], v[15:16], v2
	s_delay_alu instid0(VALU_DEP_1) | instskip(NEXT) | instid1(VALU_DEP_1)
	v_add_f64_e32 v[15:16], 1.0, v[15:16]
	v_div_scale_f64 v[31:32], null, v[15:16], v[15:16], 1.0
	v_div_scale_f64 v[38:39], vcc_lo, 1.0, v[15:16], 1.0
	s_delay_alu instid0(VALU_DEP_2) | instskip(NEXT) | instid1(TRANS32_DEP_1)
	v_rcp_f64_e32 v[33:34], v[31:32]
	v_fma_f64 v[36:37], -v[31:32], v[33:34], 1.0
	s_delay_alu instid0(VALU_DEP_1) | instskip(NEXT) | instid1(VALU_DEP_1)
	v_fma_f64 v[33:34], v[33:34], v[36:37], v[33:34]
	v_fma_f64 v[36:37], -v[31:32], v[33:34], 1.0
	s_delay_alu instid0(VALU_DEP_1) | instskip(NEXT) | instid1(VALU_DEP_1)
	v_fma_f64 v[33:34], v[33:34], v[36:37], v[33:34]
	v_mul_f64_e32 v[36:37], v[38:39], v[33:34]
	s_delay_alu instid0(VALU_DEP_1) | instskip(SKIP_1) | instid1(VALU_DEP_1)
	v_fma_f64 v[31:32], -v[31:32], v[36:37], v[38:39]
	s_wait_alu 0xfffd
	v_div_fmas_f64 v[31:32], v[31:32], v[33:34], v[36:37]
	v_cmp_ngt_f64_e32 vcc_lo, 0xc0900000, v[7:8]
	s_wait_loadcnt 0x0
	v_add_f64_e32 v[7:8], v[19:20], v[29:30]
	s_delay_alu instid0(VALU_DEP_3) | instskip(SKIP_1) | instid1(VALU_DEP_1)
	v_div_fixup_f64 v[15:16], v[31:32], v[15:16], 1.0
	s_wait_alu 0xfffd
	v_cndmask_b32_e32 v2, 0, v16, vcc_lo
	s_and_b32 vcc_lo, s0, vcc_lo
	s_wait_alu 0xfffe
	s_delay_alu instid0(VALU_DEP_2) | instskip(NEXT) | instid1(VALU_DEP_2)
	v_cndmask_b32_e32 v19, 0, v15, vcc_lo
	v_cndmask_b32_e64 v20, 0x3ff00000, v2, s0
	s_mov_b32 s0, 0xf278e000
	s_mov_b32 s1, 0xbd53de6a
	s_delay_alu instid0(VALU_DEP_1) | instskip(NEXT) | instid1(VALU_DEP_1)
	v_fma_f64 v[13:14], v[7:8], v[19:20], v[13:14]
	v_mul_f64_e64 v[15:16], |v[13:14]|, s[94:95]
	s_delay_alu instid0(VALU_DEP_1) | instskip(NEXT) | instid1(VALU_DEP_1)
	v_rndne_f64_e32 v[15:16], v[15:16]
	v_fma_f64 v[27:28], v[15:16], s[96:97], |v[13:14]|
	s_wait_alu 0xfffe
	v_mul_f64_e32 v[29:30], s[0:1], v[15:16]
	s_mov_b32 s0, 0xf97b57a0
	s_mov_b32 s1, 0xbac9cc01
	v_cvt_i32_f64_e32 v2, v[15:16]
	s_delay_alu instid0(VALU_DEP_3) | instskip(NEXT) | instid1(VALU_DEP_1)
	v_add_f64_e32 v[31:32], 0, v[27:28]
	v_add_f64_e32 v[33:34], v[31:32], v[29:30]
	v_add_f64_e64 v[27:28], v[27:28], -v[31:32]
	s_delay_alu instid0(VALU_DEP_2) | instskip(NEXT) | instid1(VALU_DEP_2)
	v_add_f64_e64 v[31:32], v[31:32], -v[33:34]
	v_add_f64_e32 v[27:28], 0, v[27:28]
	s_delay_alu instid0(VALU_DEP_2) | instskip(NEXT) | instid1(VALU_DEP_1)
	v_add_f64_e32 v[29:30], v[31:32], v[29:30]
	v_add_f64_e32 v[27:28], v[27:28], v[29:30]
	s_wait_alu 0xfffe
	v_mul_f64_e32 v[29:30], s[0:1], v[15:16]
	v_cmp_nlt_f64_e64 s0, 0x40331000, |v[13:14]|
	s_delay_alu instid0(VALU_DEP_3) | instskip(NEXT) | instid1(VALU_DEP_1)
	v_add_f64_e32 v[31:32], v[33:34], v[27:28]
	v_add_f64_e32 v[36:37], v[31:32], v[29:30]
	v_add_f64_e64 v[33:34], v[33:34], -v[31:32]
	s_delay_alu instid0(VALU_DEP_2) | instskip(NEXT) | instid1(VALU_DEP_2)
	v_add_f64_e64 v[31:32], v[31:32], -v[36:37]
	v_add_f64_e32 v[27:28], v[27:28], v[33:34]
	s_delay_alu instid0(VALU_DEP_2) | instskip(NEXT) | instid1(VALU_DEP_1)
	v_add_f64_e32 v[29:30], v[31:32], v[29:30]
	v_add_f64_e32 v[27:28], v[27:28], v[29:30]
	s_delay_alu instid0(VALU_DEP_1) | instskip(NEXT) | instid1(VALU_DEP_1)
	v_add_f64_e32 v[29:30], v[36:37], v[27:28]
	v_fma_f64 v[31:32], v[29:30], s[76:77], s[74:75]
	v_add_f64_e64 v[33:34], v[36:37], -v[29:30]
	v_mul_f64_e32 v[36:37], v[29:30], v[29:30]
	s_delay_alu instid0(VALU_DEP_3) | instskip(NEXT) | instid1(VALU_DEP_3)
	v_fma_f64 v[31:32], v[29:30], v[31:32], s[78:79]
	v_add_f64_e32 v[27:28], v[27:28], v[33:34]
	s_delay_alu instid0(VALU_DEP_3) | instskip(NEXT) | instid1(VALU_DEP_3)
	v_fma_f64 v[33:34], v[29:30], v[29:30], -v[36:37]
	v_fma_f64 v[31:32], v[29:30], v[31:32], s[80:81]
	s_delay_alu instid0(VALU_DEP_3) | instskip(NEXT) | instid1(VALU_DEP_2)
	v_add_f64_e32 v[38:39], v[27:28], v[27:28]
	v_fma_f64 v[31:32], v[29:30], v[31:32], s[82:83]
	s_delay_alu instid0(VALU_DEP_2) | instskip(NEXT) | instid1(VALU_DEP_2)
	v_fma_f64 v[33:34], v[29:30], v[38:39], v[33:34]
	v_fma_f64 v[31:32], v[29:30], v[31:32], s[84:85]
	s_delay_alu instid0(VALU_DEP_2) | instskip(NEXT) | instid1(VALU_DEP_2)
	v_add_f64_e32 v[38:39], v[36:37], v[33:34]
	v_fma_f64 v[31:32], v[29:30], v[31:32], s[86:87]
	s_delay_alu instid0(VALU_DEP_2) | instskip(NEXT) | instid1(VALU_DEP_2)
	v_add_f64_e64 v[36:37], v[38:39], -v[36:37]
	v_fma_f64 v[31:32], v[29:30], v[31:32], s[88:89]
	s_delay_alu instid0(VALU_DEP_2) | instskip(NEXT) | instid1(VALU_DEP_2)
	v_add_f64_e64 v[33:34], v[33:34], -v[36:37]
	v_fma_f64 v[31:32], v[29:30], v[31:32], s[90:91]
	s_delay_alu instid0(VALU_DEP_1) | instskip(NEXT) | instid1(VALU_DEP_1)
	v_fma_f64 v[31:32], v[29:30], v[31:32], s[92:93]
	v_mul_f64_e32 v[40:41], v[38:39], v[31:32]
	s_delay_alu instid0(VALU_DEP_1) | instskip(NEXT) | instid1(VALU_DEP_1)
	v_fma_f64 v[36:37], v[38:39], v[31:32], -v[40:41]
	v_fma_f64 v[31:32], v[33:34], v[31:32], v[36:37]
	s_delay_alu instid0(VALU_DEP_1) | instskip(NEXT) | instid1(VALU_DEP_1)
	v_add_f64_e32 v[33:34], v[40:41], v[31:32]
	v_add_f64_e32 v[36:37], v[29:30], v[33:34]
	v_add_f64_e64 v[38:39], v[33:34], -v[40:41]
	s_delay_alu instid0(VALU_DEP_2) | instskip(NEXT) | instid1(VALU_DEP_2)
	v_add_f64_e64 v[29:30], v[36:37], -v[29:30]
	v_add_f64_e64 v[31:32], v[31:32], -v[38:39]
	s_delay_alu instid0(VALU_DEP_2) | instskip(NEXT) | instid1(VALU_DEP_2)
	v_add_f64_e64 v[29:30], v[33:34], -v[29:30]
	v_add_f64_e32 v[27:28], v[27:28], v[31:32]
	s_delay_alu instid0(VALU_DEP_1) | instskip(NEXT) | instid1(VALU_DEP_1)
	v_add_f64_e32 v[27:28], v[27:28], v[29:30]
	v_add_f64_e32 v[29:30], v[36:37], v[27:28]
	s_delay_alu instid0(VALU_DEP_1) | instskip(SKIP_1) | instid1(VALU_DEP_2)
	v_add_f64_e32 v[31:32], 1.0, v[29:30]
	v_add_f64_e64 v[33:34], v[29:30], -v[36:37]
	v_add_f64_e32 v[36:37], -1.0, v[31:32]
	s_delay_alu instid0(VALU_DEP_2) | instskip(NEXT) | instid1(VALU_DEP_2)
	v_add_f64_e64 v[27:28], v[27:28], -v[33:34]
	v_add_f64_e64 v[29:30], v[29:30], -v[36:37]
	s_delay_alu instid0(VALU_DEP_1) | instskip(NEXT) | instid1(VALU_DEP_1)
	v_add_f64_e32 v[27:28], v[27:28], v[29:30]
	v_add_f64_e32 v[15:16], v[31:32], v[27:28]
	s_delay_alu instid0(VALU_DEP_1) | instskip(SKIP_1) | instid1(VALU_DEP_2)
	v_ldexp_f64 v[29:30], v[15:16], v2
	v_add_f64_e64 v[15:16], v[15:16], -v[31:32]
	v_rcp_f64_e32 v[33:34], v[29:30]
	s_delay_alu instid0(VALU_DEP_1) | instskip(NEXT) | instid1(VALU_DEP_1)
	v_add_f64_e64 v[15:16], v[27:28], -v[15:16]
	v_ldexp_f64 v[15:16], v[15:16], v2
	s_delay_alu instid0(TRANS32_DEP_1) | instskip(NEXT) | instid1(VALU_DEP_1)
	v_fma_f64 v[36:37], -v[29:30], v[33:34], 1.0
	v_fma_f64 v[33:34], v[36:37], v[33:34], v[33:34]
	s_delay_alu instid0(VALU_DEP_1) | instskip(NEXT) | instid1(VALU_DEP_1)
	v_fma_f64 v[36:37], -v[29:30], v[33:34], 1.0
	v_fma_f64 v[31:32], v[36:37], v[33:34], v[33:34]
	s_delay_alu instid0(VALU_DEP_1) | instskip(NEXT) | instid1(VALU_DEP_1)
	v_mul_f64_e32 v[27:28], v[29:30], v[31:32]
	v_fma_f64 v[33:34], v[31:32], v[29:30], -v[27:28]
	s_delay_alu instid0(VALU_DEP_1) | instskip(NEXT) | instid1(VALU_DEP_1)
	v_fma_f64 v[33:34], v[31:32], v[15:16], v[33:34]
	v_add_f64_e32 v[36:37], v[27:28], v[33:34]
	s_delay_alu instid0(VALU_DEP_1) | instskip(SKIP_1) | instid1(VALU_DEP_2)
	v_add_f64_e64 v[38:39], -v[36:37], 1.0
	v_add_f64_e64 v[27:28], v[36:37], -v[27:28]
	v_add_f64_e64 v[40:41], -v[38:39], 1.0
	s_delay_alu instid0(VALU_DEP_2) | instskip(NEXT) | instid1(VALU_DEP_2)
	v_add_f64_e64 v[27:28], v[27:28], -v[33:34]
	v_add_f64_e64 v[33:34], v[40:41], -v[36:37]
	s_delay_alu instid0(VALU_DEP_1) | instskip(NEXT) | instid1(VALU_DEP_1)
	v_add_f64_e32 v[27:28], v[27:28], v[33:34]
	v_add_f64_e32 v[33:34], v[38:39], v[27:28]
	s_delay_alu instid0(VALU_DEP_1) | instskip(SKIP_1) | instid1(VALU_DEP_2)
	v_mul_f64_e32 v[36:37], v[31:32], v[33:34]
	v_add_f64_e64 v[38:39], v[38:39], -v[33:34]
	v_mul_f64_e32 v[40:41], v[29:30], v[36:37]
	s_delay_alu instid0(VALU_DEP_2) | instskip(SKIP_1) | instid1(VALU_DEP_3)
	v_add_f64_e32 v[27:28], v[27:28], v[38:39]
	v_add_f64_e32 v[17:18], v[31:32], v[36:37]
	v_fma_f64 v[42:43], v[36:37], v[29:30], -v[40:41]
	s_delay_alu instid0(VALU_DEP_2) | instskip(NEXT) | instid1(VALU_DEP_2)
	v_add_f64_e64 v[23:24], v[17:18], -v[31:32]
	v_fma_f64 v[42:43], v[36:37], v[15:16], v[42:43]
	s_delay_alu instid0(VALU_DEP_2) | instskip(NEXT) | instid1(VALU_DEP_2)
	v_add_f64_e64 v[9:10], v[36:37], -v[23:24]
	v_add_f64_e32 v[44:45], v[40:41], v[42:43]
	s_delay_alu instid0(VALU_DEP_1) | instskip(SKIP_1) | instid1(VALU_DEP_2)
	v_add_f64_e64 v[46:47], v[33:34], -v[44:45]
	v_add_f64_e64 v[38:39], v[44:45], -v[40:41]
	;; [unrolled: 1-line block ×3, first 2 shown]
	s_delay_alu instid0(VALU_DEP_2) | instskip(NEXT) | instid1(VALU_DEP_2)
	v_add_f64_e64 v[38:39], v[38:39], -v[42:43]
	v_add_f64_e64 v[33:34], v[33:34], -v[44:45]
	s_delay_alu instid0(VALU_DEP_1) | instskip(NEXT) | instid1(VALU_DEP_1)
	v_add_f64_e32 v[27:28], v[27:28], v[33:34]
	v_add_f64_e32 v[27:28], v[38:39], v[27:28]
	s_delay_alu instid0(VALU_DEP_1) | instskip(NEXT) | instid1(VALU_DEP_1)
	v_add_f64_e32 v[27:28], v[46:47], v[27:28]
	v_mul_f64_e32 v[23:24], v[31:32], v[27:28]
	v_mul_f64_e32 v[27:28], s[68:69], v[25:26]
	s_delay_alu instid0(VALU_DEP_2) | instskip(NEXT) | instid1(VALU_DEP_2)
	v_add_f64_e32 v[9:10], v[9:10], v[23:24]
	v_rndne_f64_e32 v[23:24], v[27:28]
	s_delay_alu instid0(VALU_DEP_2) | instskip(NEXT) | instid1(VALU_DEP_2)
	v_add_f64_e32 v[27:28], v[17:18], v[9:10]
	v_fma_f64 v[31:32], v[23:24], s[70:71], -v[25:26]
	v_cvt_i32_f64_e32 v2, v[23:24]
	s_delay_alu instid0(VALU_DEP_3) | instskip(SKIP_1) | instid1(VALU_DEP_4)
	v_add_f64_e32 v[33:34], v[29:30], v[27:28]
	v_add_f64_e64 v[17:18], v[27:28], -v[17:18]
	v_fma_f64 v[31:32], v[23:24], s[72:73], v[31:32]
	v_add_f64_e64 v[40:41], v[29:30], -v[27:28]
	s_delay_alu instid0(VALU_DEP_4) | instskip(NEXT) | instid1(VALU_DEP_4)
	v_add_f64_e64 v[36:37], v[33:34], -v[29:30]
	v_add_f64_e64 v[9:10], v[9:10], -v[17:18]
	s_delay_alu instid0(VALU_DEP_4) | instskip(NEXT) | instid1(VALU_DEP_4)
	v_fma_f64 v[17:18], v[31:32], s[76:77], s[74:75]
	v_add_f64_e64 v[29:30], v[29:30], -v[40:41]
	s_delay_alu instid0(VALU_DEP_4) | instskip(NEXT) | instid1(VALU_DEP_4)
	v_add_f64_e64 v[36:37], v[27:28], -v[36:37]
	v_add_f64_e32 v[38:39], v[15:16], v[9:10]
	s_delay_alu instid0(VALU_DEP_4) | instskip(NEXT) | instid1(VALU_DEP_4)
	v_fma_f64 v[17:18], v[31:32], v[17:18], s[78:79]
	v_add_f64_e64 v[27:28], v[29:30], -v[27:28]
	s_delay_alu instid0(VALU_DEP_3) | instskip(NEXT) | instid1(VALU_DEP_3)
	v_add_f64_e32 v[36:37], v[38:39], v[36:37]
	v_fma_f64 v[17:18], v[31:32], v[17:18], s[80:81]
	s_delay_alu instid0(VALU_DEP_3) | instskip(NEXT) | instid1(VALU_DEP_3)
	v_add_f64_e32 v[15:16], v[15:16], v[27:28]
	v_add_f64_e32 v[38:39], v[33:34], v[36:37]
	s_delay_alu instid0(VALU_DEP_3) | instskip(NEXT) | instid1(VALU_DEP_3)
	v_fma_f64 v[17:18], v[31:32], v[17:18], s[82:83]
	v_add_f64_e64 v[9:10], v[15:16], -v[9:10]
	s_delay_alu instid0(VALU_DEP_3) | instskip(NEXT) | instid1(VALU_DEP_2)
	v_rcp_f64_e32 v[42:43], v[38:39]
	v_fma_f64 v[17:18], v[31:32], v[17:18], s[84:85]
	v_add_f64_e64 v[33:34], v[38:39], -v[33:34]
	s_delay_alu instid0(VALU_DEP_2) | instskip(NEXT) | instid1(TRANS32_DEP_1)
	v_fma_f64 v[17:18], v[31:32], v[17:18], s[86:87]
	v_fma_f64 v[29:30], -v[38:39], v[42:43], 1.0
	s_delay_alu instid0(VALU_DEP_3) | instskip(NEXT) | instid1(VALU_DEP_3)
	v_add_f64_e64 v[23:24], v[36:37], -v[33:34]
	v_fma_f64 v[17:18], v[31:32], v[17:18], s[88:89]
	s_delay_alu instid0(VALU_DEP_3) | instskip(SKIP_1) | instid1(VALU_DEP_3)
	v_fma_f64 v[27:28], v[29:30], v[42:43], v[42:43]
	v_add_f64_e32 v[29:30], v[40:41], v[9:10]
	v_fma_f64 v[17:18], v[31:32], v[17:18], s[90:91]
	s_delay_alu instid0(VALU_DEP_3) | instskip(NEXT) | instid1(VALU_DEP_2)
	v_fma_f64 v[15:16], -v[38:39], v[27:28], 1.0
	v_fma_f64 v[17:18], v[31:32], v[17:18], s[92:93]
	s_delay_alu instid0(VALU_DEP_2) | instskip(NEXT) | instid1(VALU_DEP_2)
	v_fma_f64 v[15:16], v[15:16], v[27:28], v[27:28]
	v_fma_f64 v[17:18], v[31:32], v[17:18], 1.0
	s_delay_alu instid0(VALU_DEP_2) | instskip(NEXT) | instid1(VALU_DEP_2)
	v_mul_f64_e32 v[27:28], v[29:30], v[15:16]
	v_fma_f64 v[17:18], v[31:32], v[17:18], 1.0
	s_delay_alu instid0(VALU_DEP_2) | instskip(NEXT) | instid1(VALU_DEP_2)
	v_mul_f64_e32 v[42:43], v[38:39], v[27:28]
	v_ldexp_f64 v[17:18], v[17:18], v2
	s_delay_alu instid0(VALU_DEP_2) | instskip(NEXT) | instid1(VALU_DEP_2)
	v_fma_f64 v[31:32], v[27:28], v[38:39], -v[42:43]
	v_add_f64_e32 v[17:18], 1.0, v[17:18]
	s_delay_alu instid0(VALU_DEP_2) | instskip(NEXT) | instid1(VALU_DEP_2)
	v_fma_f64 v[23:24], v[27:28], v[23:24], v[31:32]
	v_div_scale_f64 v[33:34], null, v[17:18], v[17:18], 1.0
	s_delay_alu instid0(VALU_DEP_2) | instskip(NEXT) | instid1(VALU_DEP_2)
	v_add_f64_e32 v[31:32], v[42:43], v[23:24]
	v_rcp_f64_e32 v[38:39], v[33:34]
	s_delay_alu instid0(VALU_DEP_1) | instskip(SKIP_1) | instid1(VALU_DEP_2)
	v_add_f64_e64 v[36:37], v[29:30], -v[31:32]
	v_add_f64_e64 v[42:43], v[31:32], -v[42:43]
	;; [unrolled: 1-line block ×3, first 2 shown]
	s_delay_alu instid0(TRANS32_DEP_1) | instskip(SKIP_1) | instid1(VALU_DEP_4)
	v_fma_f64 v[46:47], -v[33:34], v[38:39], 1.0
	v_add_f64_e64 v[29:30], v[29:30], -v[40:41]
	v_add_f64_e64 v[23:24], v[23:24], -v[42:43]
	s_delay_alu instid0(VALU_DEP_4) | instskip(NEXT) | instid1(VALU_DEP_4)
	v_add_f64_e64 v[31:32], v[44:45], -v[31:32]
	v_fma_f64 v[38:39], v[38:39], v[46:47], v[38:39]
	s_delay_alu instid0(VALU_DEP_4) | instskip(NEXT) | instid1(VALU_DEP_3)
	v_add_f64_e64 v[9:10], v[9:10], -v[29:30]
	v_add_f64_e64 v[23:24], v[31:32], -v[23:24]
	s_delay_alu instid0(VALU_DEP_3) | instskip(NEXT) | instid1(VALU_DEP_2)
	v_fma_f64 v[29:30], -v[33:34], v[38:39], 1.0
	v_add_f64_e32 v[9:10], v[9:10], v[23:24]
	v_div_scale_f64 v[23:24], vcc_lo, 1.0, v[17:18], 1.0
	s_delay_alu instid0(VALU_DEP_3) | instskip(NEXT) | instid1(VALU_DEP_3)
	v_fma_f64 v[29:30], v[38:39], v[29:30], v[38:39]
	v_add_f64_e32 v[9:10], v[36:37], v[9:10]
	s_delay_alu instid0(VALU_DEP_2) | instskip(NEXT) | instid1(VALU_DEP_2)
	v_mul_f64_e32 v[31:32], v[23:24], v[29:30]
	v_mul_f64_e32 v[9:10], v[15:16], v[9:10]
	s_delay_alu instid0(VALU_DEP_2) | instskip(SKIP_1) | instid1(VALU_DEP_3)
	v_fma_f64 v[15:16], -v[33:34], v[31:32], v[23:24]
	v_mul_lo_u32 v23, s67, v21
	v_add_f64_e32 v[9:10], v[27:28], v[9:10]
	v_mul_lo_u32 v27, v21, s21
	v_mul_lo_u32 v28, s61, v5
	s_wait_alu 0xfffd
	v_div_fmas_f64 v[15:16], v[15:16], v[29:30], v[31:32]
	v_cmp_gt_f64_e64 vcc_lo, 0x3e400000, |v[13:14]|
	v_mul_lo_u32 v29, s60, v6
	s_wait_alu 0xf1ff
	v_cndmask_b32_e64 v2, 0x3ff00000, v10, s0
	v_cndmask_b32_e64 v9, 0, v9, s0
	v_and_b32_e32 v10, 0x7fffffff, v14
	v_div_fixup_f64 v[15:16], v[15:16], v[17:18], 1.0
	v_cmp_nlt_f64_e64 s0, 0x4090cc00, v[25:26]
	v_mad_co_u64_u32 v[17:18], null, s66, v21, v[3:4]
	s_wait_alu 0xfffd
	v_dual_cndmask_b32 v9, v9, v13 :: v_dual_cndmask_b32 v2, v2, v10
	v_cmp_ngt_f64_e32 vcc_lo, 0xc0900000, v[25:26]
	v_mul_lo_u32 v26, v22, s20
	s_delay_alu instid0(VALU_DEP_4)
	v_mul_lo_u32 v25, v17, s23
	s_wait_alu 0xfffd
	v_cndmask_b32_e32 v16, 0, v16, vcc_lo
	s_and_b32 vcc_lo, s0, vcc_lo
	s_wait_alu 0xfffe
	v_cndmask_b32_e32 v15, 0, v15, vcc_lo
	v_bfi_b32 v10, 0x7fffffff, v2, v14
	v_mul_lo_u32 v2, s66, v22
	v_cndmask_b32_e64 v16, 0x3ff00000, v16, s0
	s_mov_b32 s0, exec_lo
	s_delay_alu instid0(VALU_DEP_3) | instskip(NEXT) | instid1(VALU_DEP_3)
	v_add_f64_e64 v[13:14], v[11:12], -v[9:10]
	v_add3_u32 v2, v23, v18, v2
	s_delay_alu instid0(VALU_DEP_1) | instskip(NEXT) | instid1(VALU_DEP_3)
	v_mul_lo_u32 v2, v2, s22
	v_fma_f64 v[23:24], v[15:16], v[13:14], v[9:10]
	v_mad_co_u64_u32 v[13:14], null, v21, s20, 0
	v_mad_co_u64_u32 v[21:22], null, v17, s22, 0
	v_mad_co_u64_u32 v[17:18], null, s60, v5, 0
	s_delay_alu instid0(VALU_DEP_3) | instskip(NEXT) | instid1(VALU_DEP_3)
	v_add3_u32 v14, v14, v27, v26
	v_add3_u32 v22, v22, v25, v2
	s_delay_alu instid0(VALU_DEP_3) | instskip(NEXT) | instid1(VALU_DEP_3)
	v_add3_u32 v18, v18, v29, v28
	v_lshlrev_b64_e32 v[25:26], 3, v[13:14]
	v_add_co_u32 v13, vcc_lo, v3, v17
	s_delay_alu instid0(VALU_DEP_4) | instskip(SKIP_2) | instid1(VALU_DEP_4)
	v_lshlrev_b64_e32 v[21:22], 3, v[21:22]
	s_wait_alu 0xfffd
	v_add_co_ci_u32_e64 v14, null, v4, v18, vcc_lo
	v_add_co_u32 v25, vcc_lo, s52, v25
	s_wait_alu 0xfffd
	v_add_co_ci_u32_e64 v26, null, s53, v26, vcc_lo
	s_delay_alu instid0(VALU_DEP_3) | instskip(NEXT) | instid1(VALU_DEP_3)
	v_or_b32_e32 v2, s57, v14
	v_add_co_u32 v21, vcc_lo, v25, v21
	s_wait_alu 0xfffd
	s_delay_alu instid0(VALU_DEP_3)
	v_add_co_ci_u32_e64 v22, null, v26, v22, vcc_lo
	global_store_b64 v[21:22], v[23:24], off
                                        ; implicit-def: $vgpr21_vgpr22
	v_cmpx_ne_u64_e32 0, v[1:2]
	s_wait_alu 0xfffe
	s_xor_b32 s94, exec_lo, s0
	s_cbranch_execz .LBB35_44
; %bb.43:                               ;   in Loop: Header=BB35_3 Depth=1
	s_ashr_i32 s102, s57, 31
	v_ashrrev_i32_e32 v2, 31, v14
	s_wait_alu 0xfffe
	s_mov_b32 s103, s102
	s_wait_alu 0xfffe
	s_add_nc_u64 s[0:1], s[56:57], s[102:103]
	s_wait_alu 0xfffe
	s_xor_b64 s[98:99], s[0:1], s[102:103]
	s_wait_alu 0xfffe
	s_cvt_f32_u32 s0, s98
	s_cvt_f32_u32 s1, s99
	s_sub_nc_u64 s[72:73], 0, s[98:99]
	s_wait_alu 0xfffe
	s_delay_alu instid0(SALU_CYCLE_1) | instskip(SKIP_1) | instid1(SALU_CYCLE_2)
	s_fmamk_f32 s0, s1, 0x4f800000, s0
	s_wait_alu 0xfffe
	v_s_rcp_f32 s0, s0
	s_delay_alu instid0(TRANS32_DEP_1) | instskip(SKIP_1) | instid1(SALU_CYCLE_2)
	s_mul_f32 s0, s0, 0x5f7ffffc
	s_wait_alu 0xfffe
	s_mul_f32 s1, s0, 0x2f800000
	s_wait_alu 0xfffe
	s_delay_alu instid0(SALU_CYCLE_2) | instskip(SKIP_1) | instid1(SALU_CYCLE_2)
	s_trunc_f32 s1, s1
	s_wait_alu 0xfffe
	s_fmamk_f32 s0, s1, 0xcf800000, s0
	s_cvt_u32_f32 s1, s1
	s_wait_alu 0xfffe
	s_delay_alu instid0(SALU_CYCLE_1) | instskip(SKIP_1) | instid1(SALU_CYCLE_2)
	s_cvt_u32_f32 s0, s0
	s_wait_alu 0xfffe
	s_mul_u64 s[74:75], s[72:73], s[0:1]
	s_wait_alu 0xfffe
	s_mul_hi_u32 s101, s0, s75
	s_mul_i32 s100, s0, s75
	s_mul_hi_u32 s2, s0, s74
	s_mul_i32 s103, s1, s74
	s_wait_alu 0xfffe
	s_add_nc_u64 s[100:101], s[2:3], s[100:101]
	s_mul_hi_u32 s97, s1, s74
	s_mul_hi_u32 vcc_lo, s1, s75
	s_add_co_u32 s2, s100, s103
	s_wait_alu 0xfffe
	s_add_co_ci_u32 s2, s101, s97
	s_mul_i32 s74, s1, s75
	s_add_co_ci_u32 s75, vcc_lo, 0
	v_add_co_u32 v13, vcc_lo, v13, v2
	s_wait_alu 0xfffe
	s_add_nc_u64 s[74:75], s[2:3], s[74:75]
	s_wait_alu 0xfffd
	v_add_co_ci_u32_e64 v14, null, v14, v2, vcc_lo
	s_wait_alu 0xfffe
	s_add_co_u32 s0, s0, s74
	s_cselect_b32 s2, -1, 0
	v_xor_b32_e32 v25, v13, v2
	s_wait_alu 0xfffe
	s_cmp_lg_u32 s2, 0
	v_xor_b32_e32 v26, v14, v2
	s_add_co_ci_u32 s1, s1, s75
	v_xor_b32_e32 v2, s102, v2
	s_wait_alu 0xfffe
	s_mul_u64 s[72:73], s[72:73], s[0:1]
	s_wait_alu 0xfffe
	s_mul_hi_u32 s75, s0, s73
	s_mul_i32 s74, s0, s73
	s_mul_hi_u32 s2, s0, s72
	s_mul_i32 s100, s1, s72
	s_wait_alu 0xfffe
	s_add_nc_u64 s[74:75], s[2:3], s[74:75]
	s_mul_hi_u32 s97, s1, s72
	s_mul_hi_u32 s101, s1, s73
	s_wait_alu 0xfffe
	s_add_co_u32 s2, s74, s100
	s_add_co_ci_u32 s2, s75, s97
	s_mul_i32 s72, s1, s73
	s_add_co_ci_u32 s73, s101, 0
	s_wait_alu 0xfffe
	s_add_nc_u64 s[72:73], s[2:3], s[72:73]
	s_wait_alu 0xfffe
	s_add_co_u32 s0, s0, s72
	s_cselect_b32 s2, -1, 0
	s_wait_alu 0xfffe
	v_mul_hi_u32 v27, v25, s0
	s_cmp_lg_u32 s2, 0
	v_mad_co_u64_u32 v[21:22], null, v26, s0, 0
	s_add_co_ci_u32 s1, s1, s73
	s_wait_alu 0xfffe
	v_mad_co_u64_u32 v[13:14], null, v25, s1, 0
	v_mad_co_u64_u32 v[23:24], null, v26, s1, 0
	s_delay_alu instid0(VALU_DEP_2) | instskip(SKIP_1) | instid1(VALU_DEP_3)
	v_add_co_u32 v13, vcc_lo, v27, v13
	s_wait_alu 0xfffd
	v_add_co_ci_u32_e64 v14, null, 0, v14, vcc_lo
	s_delay_alu instid0(VALU_DEP_2) | instskip(SKIP_1) | instid1(VALU_DEP_2)
	v_add_co_u32 v13, vcc_lo, v13, v21
	s_wait_alu 0xfffd
	v_add_co_ci_u32_e32 v13, vcc_lo, v14, v22, vcc_lo
	s_wait_alu 0xfffd
	v_add_co_ci_u32_e32 v14, vcc_lo, 0, v24, vcc_lo
	s_delay_alu instid0(VALU_DEP_2) | instskip(SKIP_1) | instid1(VALU_DEP_2)
	v_add_co_u32 v21, vcc_lo, v13, v23
	s_wait_alu 0xfffd
	v_add_co_ci_u32_e64 v22, null, 0, v14, vcc_lo
	s_delay_alu instid0(VALU_DEP_2) | instskip(SKIP_1) | instid1(VALU_DEP_3)
	v_mul_lo_u32 v23, s99, v21
	v_mad_co_u64_u32 v[13:14], null, s98, v21, 0
	v_mul_lo_u32 v24, s98, v22
	s_delay_alu instid0(VALU_DEP_2) | instskip(NEXT) | instid1(VALU_DEP_2)
	v_sub_co_u32 v13, vcc_lo, v25, v13
	v_add3_u32 v14, v14, v24, v23
	s_delay_alu instid0(VALU_DEP_2) | instskip(NEXT) | instid1(VALU_DEP_2)
	v_sub_co_u32 v24, s0, v13, s98
	v_sub_nc_u32_e32 v23, v26, v14
	s_wait_alu 0xfffd
	v_sub_co_ci_u32_e64 v14, null, v26, v14, vcc_lo
	v_cmp_le_u32_e64 s1, s98, v13
	s_delay_alu instid0(VALU_DEP_3) | instskip(SKIP_1) | instid1(VALU_DEP_4)
	v_subrev_co_ci_u32_e64 v23, null, s99, v23, vcc_lo
	v_cmp_le_u32_e32 vcc_lo, s98, v24
	v_cmp_le_u32_e64 s2, s99, v14
	s_wait_alu 0xf1ff
	v_cndmask_b32_e64 v25, 0, -1, s1
	v_subrev_co_ci_u32_e64 v23, null, 0, v23, s0
	s_wait_alu 0xfffd
	v_cndmask_b32_e64 v13, 0, -1, vcc_lo
	v_cmp_eq_u32_e64 s1, s99, v14
	v_cndmask_b32_e64 v14, 0, -1, s2
	v_cmp_le_u32_e64 s0, s99, v23
	v_cmp_eq_u32_e32 vcc_lo, s99, v23
	s_wait_alu 0xf1ff
	s_delay_alu instid0(VALU_DEP_3) | instskip(NEXT) | instid1(VALU_DEP_3)
	v_cndmask_b32_e64 v14, v14, v25, s1
	v_cndmask_b32_e64 v23, 0, -1, s0
	v_add_co_u32 v24, s0, v21, 2
	s_wait_alu 0xfffd
	s_delay_alu instid0(VALU_DEP_2) | instskip(SKIP_3) | instid1(VALU_DEP_3)
	v_cndmask_b32_e32 v13, v23, v13, vcc_lo
	s_wait_alu 0xf1ff
	v_add_co_ci_u32_e64 v23, null, 0, v22, s0
	v_add_co_u32 v26, vcc_lo, v21, 1
	v_cmp_ne_u32_e64 s0, 0, v13
	s_wait_alu 0xfffd
	v_add_co_ci_u32_e64 v13, null, 0, v22, vcc_lo
	v_cmp_ne_u32_e32 vcc_lo, 0, v14
	s_wait_alu 0xf1ff
	v_cndmask_b32_e64 v14, v26, v24, s0
	s_delay_alu instid0(VALU_DEP_3) | instskip(SKIP_1) | instid1(VALU_DEP_1)
	v_cndmask_b32_e64 v13, v13, v23, s0
	s_wait_alu 0xfffd
	v_dual_cndmask_b32 v14, v21, v14 :: v_dual_cndmask_b32 v13, v22, v13
	s_delay_alu instid0(VALU_DEP_1) | instskip(NEXT) | instid1(VALU_DEP_2)
	v_xor_b32_e32 v14, v14, v2
	v_xor_b32_e32 v13, v13, v2
	s_delay_alu instid0(VALU_DEP_2) | instskip(SKIP_1) | instid1(VALU_DEP_2)
	v_sub_co_u32 v21, vcc_lo, v14, v2
	s_wait_alu 0xfffd
	v_sub_co_ci_u32_e64 v22, null, v13, v2, vcc_lo
                                        ; implicit-def: $vgpr13
.LBB35_44:                              ;   in Loop: Header=BB35_3 Depth=1
	s_wait_alu 0xfffe
	s_or_saveexec_b32 s0, s94
	v_cvt_f32_u32_e32 v23, s56
	s_wait_alu 0xfffe
	s_xor_b32 exec_lo, exec_lo, s0
	s_cbranch_execz .LBB35_46
; %bb.45:                               ;   in Loop: Header=BB35_3 Depth=1
	s_delay_alu instid0(VALU_DEP_1) | instskip(SKIP_2) | instid1(TRANS32_DEP_1)
	v_rcp_iflag_f32_e32 v2, v23
	s_sub_co_i32 s1, 0, s56
	v_mov_b32_e32 v22, v1
	v_mul_f32_e32 v2, 0x4f7ffffe, v2
	s_delay_alu instid0(VALU_DEP_1) | instskip(SKIP_1) | instid1(VALU_DEP_1)
	v_cvt_u32_f32_e32 v2, v2
	s_wait_alu 0xfffe
	v_mul_lo_u32 v14, s1, v2
	s_delay_alu instid0(VALU_DEP_1) | instskip(NEXT) | instid1(VALU_DEP_1)
	v_mul_hi_u32 v14, v2, v14
	v_add_nc_u32_e32 v2, v2, v14
	s_delay_alu instid0(VALU_DEP_1) | instskip(NEXT) | instid1(VALU_DEP_1)
	v_mul_hi_u32 v2, v13, v2
	v_mul_lo_u32 v14, v2, s56
	s_delay_alu instid0(VALU_DEP_1) | instskip(SKIP_1) | instid1(VALU_DEP_2)
	v_sub_nc_u32_e32 v13, v13, v14
	v_add_nc_u32_e32 v14, 1, v2
	v_subrev_nc_u32_e32 v21, s56, v13
	v_cmp_le_u32_e32 vcc_lo, s56, v13
	s_wait_alu 0xfffd
	s_delay_alu instid0(VALU_DEP_2) | instskip(NEXT) | instid1(VALU_DEP_1)
	v_dual_cndmask_b32 v13, v13, v21 :: v_dual_cndmask_b32 v2, v2, v14
	v_cmp_le_u32_e32 vcc_lo, s56, v13
	s_delay_alu instid0(VALU_DEP_2) | instskip(SKIP_1) | instid1(VALU_DEP_1)
	v_add_nc_u32_e32 v14, 1, v2
	s_wait_alu 0xfffd
	v_cndmask_b32_e32 v21, v2, v14, vcc_lo
.LBB35_46:                              ;   in Loop: Header=BB35_3 Depth=1
	s_or_b32 exec_lo, exec_lo, s0
	v_mul_lo_u32 v2, v22, s56
	s_delay_alu instid0(VALU_DEP_2) | instskip(SKIP_4) | instid1(VALU_DEP_3)
	v_mul_lo_u32 v13, v21, s57
	v_mad_co_u64_u32 v[24:25], null, v21, s56, 0
	v_mul_lo_u32 v22, v22, s24
	v_mul_lo_u32 v26, v21, s25
	s_mov_b32 s0, exec_lo
	v_add3_u32 v2, v25, v13, v2
	s_delay_alu instid0(VALU_DEP_4)
	v_sub_co_u32 v17, vcc_lo, v17, v24
	v_lshlrev_b64_e32 v[13:14], 2, v[5:6]
	v_alignbit_b32 v5, v6, v5, 30
	s_wait_alu 0xfffd
	v_sub_co_ci_u32_e64 v2, null, v18, v2, vcc_lo
	v_add_co_u32 v24, vcc_lo, v3, v17
	v_mad_co_u64_u32 v[17:18], null, v21, s24, 0
	s_wait_alu 0xfffd
	s_delay_alu instid0(VALU_DEP_3) | instskip(NEXT) | instid1(VALU_DEP_3)
	v_add_co_ci_u32_e64 v2, null, v4, v2, vcc_lo
	v_mul_lo_u32 v28, v24, s27
	v_mad_co_u64_u32 v[24:25], null, v24, s26, 0
	s_delay_alu instid0(VALU_DEP_3)
	v_mul_lo_u32 v2, v2, s26
	v_mul_lo_u32 v21, s4, v5
	;; [unrolled: 1-line block ×3, first 2 shown]
	v_mad_co_u64_u32 v[5:6], null, s4, v13, s[4:5]
	v_add3_u32 v18, v18, v26, v22
	v_add3_u32 v25, v25, v28, v2
	s_delay_alu instid0(VALU_DEP_2) | instskip(NEXT) | instid1(VALU_DEP_4)
	v_lshlrev_b64_e32 v[17:18], 3, v[17:18]
	v_add3_u32 v6, v27, v6, v21
	v_add_co_u32 v21, vcc_lo, v3, v5
	s_delay_alu instid0(VALU_DEP_4) | instskip(SKIP_1) | instid1(VALU_DEP_3)
	v_lshlrev_b64_e32 v[24:25], 3, v[24:25]
	s_wait_alu 0xfffd
	v_add_co_ci_u32_e64 v22, null, v4, v6, vcc_lo
	v_add_co_u32 v17, vcc_lo, s54, v17
	s_wait_alu 0xfffd
	v_add_co_ci_u32_e64 v18, null, s55, v18, vcc_lo
	s_delay_alu instid0(VALU_DEP_3) | instskip(NEXT) | instid1(VALU_DEP_3)
	v_or_b32_e32 v2, s57, v22
	v_add_co_u32 v17, vcc_lo, v17, v24
	s_wait_alu 0xfffd
	s_delay_alu instid0(VALU_DEP_3)
	v_add_co_ci_u32_e64 v18, null, v18, v25, vcc_lo
	global_store_b64 v[17:18], v[19:20], off
                                        ; implicit-def: $vgpr17_vgpr18
	v_cmpx_ne_u64_e32 0, v[1:2]
	s_wait_alu 0xfffe
	s_xor_b32 s94, exec_lo, s0
	s_cbranch_execz .LBB35_48
; %bb.47:                               ;   in Loop: Header=BB35_3 Depth=1
	s_ashr_i32 s102, s57, 31
	v_ashrrev_i32_e32 v2, 31, v22
	s_wait_alu 0xfffe
	s_mov_b32 s103, s102
	s_wait_alu 0xfffe
	s_add_nc_u64 s[0:1], s[56:57], s[102:103]
	s_wait_alu 0xfffe
	s_xor_b64 s[98:99], s[0:1], s[102:103]
	s_wait_alu 0xfffe
	s_cvt_f32_u32 s0, s98
	s_cvt_f32_u32 s1, s99
	s_sub_nc_u64 s[72:73], 0, s[98:99]
	s_wait_alu 0xfffe
	s_delay_alu instid0(SALU_CYCLE_1) | instskip(SKIP_1) | instid1(SALU_CYCLE_2)
	s_fmamk_f32 s0, s1, 0x4f800000, s0
	s_wait_alu 0xfffe
	v_s_rcp_f32 s0, s0
	s_delay_alu instid0(TRANS32_DEP_1) | instskip(SKIP_1) | instid1(SALU_CYCLE_2)
	s_mul_f32 s0, s0, 0x5f7ffffc
	s_wait_alu 0xfffe
	s_mul_f32 s1, s0, 0x2f800000
	s_wait_alu 0xfffe
	s_delay_alu instid0(SALU_CYCLE_2) | instskip(SKIP_1) | instid1(SALU_CYCLE_2)
	s_trunc_f32 s1, s1
	s_wait_alu 0xfffe
	s_fmamk_f32 s0, s1, 0xcf800000, s0
	s_cvt_u32_f32 s1, s1
	s_wait_alu 0xfffe
	s_delay_alu instid0(SALU_CYCLE_1) | instskip(SKIP_1) | instid1(SALU_CYCLE_2)
	s_cvt_u32_f32 s0, s0
	s_wait_alu 0xfffe
	s_mul_u64 s[74:75], s[72:73], s[0:1]
	s_wait_alu 0xfffe
	s_mul_hi_u32 s101, s0, s75
	s_mul_i32 s100, s0, s75
	s_mul_hi_u32 s2, s0, s74
	s_mul_i32 s103, s1, s74
	s_wait_alu 0xfffe
	s_add_nc_u64 s[100:101], s[2:3], s[100:101]
	s_mul_hi_u32 s97, s1, s74
	s_mul_hi_u32 vcc_lo, s1, s75
	s_add_co_u32 s2, s100, s103
	s_wait_alu 0xfffe
	s_add_co_ci_u32 s2, s101, s97
	s_mul_i32 s74, s1, s75
	s_add_co_ci_u32 s75, vcc_lo, 0
	v_add_co_u32 v17, vcc_lo, v21, v2
	s_wait_alu 0xfffe
	s_add_nc_u64 s[74:75], s[2:3], s[74:75]
	s_wait_alu 0xfffd
	v_add_co_ci_u32_e64 v18, null, v22, v2, vcc_lo
	s_wait_alu 0xfffe
	s_add_co_u32 s0, s0, s74
	s_cselect_b32 s2, -1, 0
	v_xor_b32_e32 v24, v17, v2
	s_wait_alu 0xfffe
	s_cmp_lg_u32 s2, 0
	v_xor_b32_e32 v25, v18, v2
	s_add_co_ci_u32 s1, s1, s75
	v_xor_b32_e32 v2, s102, v2
	s_wait_alu 0xfffe
	s_mul_u64 s[72:73], s[72:73], s[0:1]
	s_wait_alu 0xfffe
	s_mul_hi_u32 s75, s0, s73
	s_mul_i32 s74, s0, s73
	s_mul_hi_u32 s2, s0, s72
	s_mul_i32 s100, s1, s72
	s_wait_alu 0xfffe
	s_add_nc_u64 s[74:75], s[2:3], s[74:75]
	s_mul_hi_u32 s97, s1, s72
	s_mul_hi_u32 s101, s1, s73
	s_wait_alu 0xfffe
	s_add_co_u32 s2, s74, s100
	s_add_co_ci_u32 s2, s75, s97
	s_mul_i32 s72, s1, s73
	s_add_co_ci_u32 s73, s101, 0
	s_wait_alu 0xfffe
	s_add_nc_u64 s[72:73], s[2:3], s[72:73]
	s_wait_alu 0xfffe
	s_add_co_u32 s0, s0, s72
	s_cselect_b32 s2, -1, 0
	s_wait_alu 0xfffe
	v_mul_hi_u32 v26, v24, s0
	s_cmp_lg_u32 s2, 0
	v_mad_co_u64_u32 v[19:20], null, v25, s0, 0
	s_add_co_ci_u32 s1, s1, s73
	s_wait_alu 0xfffe
	v_mad_co_u64_u32 v[17:18], null, v24, s1, 0
	v_mad_co_u64_u32 v[21:22], null, v25, s1, 0
	s_delay_alu instid0(VALU_DEP_2) | instskip(SKIP_1) | instid1(VALU_DEP_3)
	v_add_co_u32 v17, vcc_lo, v26, v17
	s_wait_alu 0xfffd
	v_add_co_ci_u32_e64 v18, null, 0, v18, vcc_lo
	s_delay_alu instid0(VALU_DEP_2) | instskip(SKIP_1) | instid1(VALU_DEP_2)
	v_add_co_u32 v17, vcc_lo, v17, v19
	s_wait_alu 0xfffd
	v_add_co_ci_u32_e32 v17, vcc_lo, v18, v20, vcc_lo
	s_wait_alu 0xfffd
	v_add_co_ci_u32_e32 v18, vcc_lo, 0, v22, vcc_lo
	s_delay_alu instid0(VALU_DEP_2) | instskip(SKIP_1) | instid1(VALU_DEP_2)
	v_add_co_u32 v19, vcc_lo, v17, v21
	s_wait_alu 0xfffd
	v_add_co_ci_u32_e64 v20, null, 0, v18, vcc_lo
	s_delay_alu instid0(VALU_DEP_2) | instskip(SKIP_1) | instid1(VALU_DEP_3)
	v_mul_lo_u32 v21, s99, v19
	v_mad_co_u64_u32 v[17:18], null, s98, v19, 0
	v_mul_lo_u32 v22, s98, v20
	s_delay_alu instid0(VALU_DEP_2) | instskip(NEXT) | instid1(VALU_DEP_2)
	v_sub_co_u32 v17, vcc_lo, v24, v17
	v_add3_u32 v18, v18, v22, v21
	s_delay_alu instid0(VALU_DEP_2) | instskip(NEXT) | instid1(VALU_DEP_2)
	v_sub_co_u32 v22, s0, v17, s98
	v_sub_nc_u32_e32 v21, v25, v18
	s_wait_alu 0xfffd
	v_sub_co_ci_u32_e64 v18, null, v25, v18, vcc_lo
	v_cmp_le_u32_e64 s1, s98, v17
	s_delay_alu instid0(VALU_DEP_3) | instskip(SKIP_1) | instid1(VALU_DEP_4)
	v_subrev_co_ci_u32_e64 v21, null, s99, v21, vcc_lo
	v_cmp_le_u32_e32 vcc_lo, s98, v22
	v_cmp_le_u32_e64 s2, s99, v18
	s_wait_alu 0xf1ff
	v_cndmask_b32_e64 v24, 0, -1, s1
	v_subrev_co_ci_u32_e64 v21, null, 0, v21, s0
	s_wait_alu 0xfffd
	v_cndmask_b32_e64 v17, 0, -1, vcc_lo
	v_cmp_eq_u32_e64 s1, s99, v18
	v_cndmask_b32_e64 v18, 0, -1, s2
	v_cmp_le_u32_e64 s0, s99, v21
	v_cmp_eq_u32_e32 vcc_lo, s99, v21
	s_wait_alu 0xf1ff
	s_delay_alu instid0(VALU_DEP_3) | instskip(NEXT) | instid1(VALU_DEP_3)
	v_cndmask_b32_e64 v18, v18, v24, s1
	v_cndmask_b32_e64 v21, 0, -1, s0
	v_add_co_u32 v22, s0, v19, 2
	s_wait_alu 0xfffd
	s_delay_alu instid0(VALU_DEP_2) | instskip(SKIP_3) | instid1(VALU_DEP_3)
	v_cndmask_b32_e32 v17, v21, v17, vcc_lo
	s_wait_alu 0xf1ff
	v_add_co_ci_u32_e64 v21, null, 0, v20, s0
	v_add_co_u32 v25, vcc_lo, v19, 1
	v_cmp_ne_u32_e64 s0, 0, v17
	s_wait_alu 0xfffd
	v_add_co_ci_u32_e64 v17, null, 0, v20, vcc_lo
	v_cmp_ne_u32_e32 vcc_lo, 0, v18
	s_wait_alu 0xf1ff
	v_cndmask_b32_e64 v18, v25, v22, s0
	s_delay_alu instid0(VALU_DEP_3) | instskip(SKIP_1) | instid1(VALU_DEP_1)
	v_cndmask_b32_e64 v17, v17, v21, s0
                                        ; implicit-def: $vgpr21
	s_wait_alu 0xfffd
	v_dual_cndmask_b32 v18, v19, v18 :: v_dual_cndmask_b32 v17, v20, v17
	s_delay_alu instid0(VALU_DEP_1) | instskip(NEXT) | instid1(VALU_DEP_2)
	v_xor_b32_e32 v18, v18, v2
	v_xor_b32_e32 v19, v17, v2
	s_delay_alu instid0(VALU_DEP_2) | instskip(SKIP_1) | instid1(VALU_DEP_2)
	v_sub_co_u32 v17, vcc_lo, v18, v2
	s_wait_alu 0xfffd
	v_sub_co_ci_u32_e64 v18, null, v19, v2, vcc_lo
.LBB35_48:                              ;   in Loop: Header=BB35_3 Depth=1
	s_wait_alu 0xfffe
	s_and_not1_saveexec_b32 s0, s94
	s_cbranch_execz .LBB35_50
; %bb.49:                               ;   in Loop: Header=BB35_3 Depth=1
	v_rcp_iflag_f32_e32 v2, v23
	s_sub_co_i32 s1, 0, s56
	s_delay_alu instid0(TRANS32_DEP_1) | instskip(NEXT) | instid1(VALU_DEP_1)
	v_mul_f32_e32 v2, 0x4f7ffffe, v2
	v_cvt_u32_f32_e32 v2, v2
	s_wait_alu 0xfffe
	s_delay_alu instid0(VALU_DEP_1) | instskip(NEXT) | instid1(VALU_DEP_1)
	v_mul_lo_u32 v17, s1, v2
	v_mul_hi_u32 v17, v2, v17
	s_delay_alu instid0(VALU_DEP_1) | instskip(NEXT) | instid1(VALU_DEP_1)
	v_add_nc_u32_e32 v2, v2, v17
	v_mul_hi_u32 v2, v21, v2
	s_delay_alu instid0(VALU_DEP_1) | instskip(SKIP_1) | instid1(VALU_DEP_2)
	v_mul_lo_u32 v17, v2, s56
	v_add_nc_u32_e32 v18, 1, v2
	v_sub_nc_u32_e32 v17, v21, v17
	s_delay_alu instid0(VALU_DEP_1) | instskip(SKIP_2) | instid1(VALU_DEP_2)
	v_subrev_nc_u32_e32 v19, s56, v17
	v_cmp_le_u32_e32 vcc_lo, s56, v17
	s_wait_alu 0xfffd
	v_dual_cndmask_b32 v17, v17, v19 :: v_dual_cndmask_b32 v2, v2, v18
	s_delay_alu instid0(VALU_DEP_1) | instskip(NEXT) | instid1(VALU_DEP_2)
	v_cmp_le_u32_e32 vcc_lo, s56, v17
	v_add_nc_u32_e32 v18, 1, v2
	s_wait_alu 0xfffd
	s_delay_alu instid0(VALU_DEP_1)
	v_dual_cndmask_b32 v17, v2, v18 :: v_dual_mov_b32 v18, v1
.LBB35_50:                              ;   in Loop: Header=BB35_3 Depth=1
	s_wait_alu 0xfffe
	s_or_b32 exec_lo, exec_lo, s0
	s_delay_alu instid0(VALU_DEP_1) | instskip(NEXT) | instid1(VALU_DEP_2)
	v_mul_lo_u32 v2, v18, s56
	v_mul_lo_u32 v21, v17, s57
	v_mad_co_u64_u32 v[19:20], null, v17, s56, 0
	v_mul_lo_u32 v22, v18, s24
	s_mov_b32 s0, exec_lo
	s_delay_alu instid0(VALU_DEP_2) | instskip(NEXT) | instid1(VALU_DEP_3)
	v_add3_u32 v2, v20, v21, v2
	v_sub_co_u32 v5, vcc_lo, v5, v19
	v_mul_lo_u32 v21, v17, s25
	v_mad_co_u64_u32 v[17:18], null, v17, s24, 0
	s_wait_alu 0xfffd
	v_sub_co_ci_u32_e64 v2, null, v6, v2, vcc_lo
	v_add_co_u32 v5, vcc_lo, v3, v5
	s_wait_alu 0xfffd
	s_delay_alu instid0(VALU_DEP_2)
	v_add_co_ci_u32_e64 v2, null, v4, v2, vcc_lo
	v_add_co_u32 v6, vcc_lo, v13, 2
	s_wait_alu 0xfffd
	v_add_co_ci_u32_e64 v24, null, 0, v14, vcc_lo
	v_mul_lo_u32 v25, v5, s27
	v_mul_lo_u32 v2, v2, s26
	v_mad_co_u64_u32 v[19:20], null, v5, s26, 0
	v_mul_lo_u32 v26, s5, v6
	v_mul_lo_u32 v24, s4, v24
	v_mad_co_u64_u32 v[5:6], null, s4, v6, 0
	v_add3_u32 v18, v18, v21, v22
	v_add3_u32 v20, v20, v25, v2
	s_delay_alu instid0(VALU_DEP_2) | instskip(NEXT) | instid1(VALU_DEP_4)
	v_lshlrev_b64_e32 v[21:22], 3, v[17:18]
	v_add3_u32 v6, v6, v24, v26
	v_add_co_u32 v17, vcc_lo, v3, v5
	s_delay_alu instid0(VALU_DEP_4) | instskip(SKIP_1) | instid1(VALU_DEP_3)
	v_lshlrev_b64_e32 v[19:20], 3, v[19:20]
	s_wait_alu 0xfffd
	v_add_co_ci_u32_e64 v18, null, v4, v6, vcc_lo
	v_add_co_u32 v21, vcc_lo, s54, v21
	s_wait_alu 0xfffd
	v_add_co_ci_u32_e64 v22, null, s55, v22, vcc_lo
	s_delay_alu instid0(VALU_DEP_3) | instskip(NEXT) | instid1(VALU_DEP_3)
	v_or_b32_e32 v2, s57, v18
	v_add_co_u32 v19, vcc_lo, v21, v19
	s_wait_alu 0xfffd
	s_delay_alu instid0(VALU_DEP_3)
	v_add_co_ci_u32_e64 v20, null, v22, v20, vcc_lo
	global_store_b64 v[19:20], v[15:16], off
                                        ; implicit-def: $vgpr15_vgpr16
	v_cmpx_ne_u64_e32 0, v[1:2]
	s_wait_alu 0xfffe
	s_xor_b32 s94, exec_lo, s0
	s_cbranch_execz .LBB35_52
; %bb.51:                               ;   in Loop: Header=BB35_3 Depth=1
	s_ashr_i32 s102, s57, 31
	v_ashrrev_i32_e32 v2, 31, v18
	s_wait_alu 0xfffe
	s_mov_b32 s103, s102
	s_wait_alu 0xfffe
	s_add_nc_u64 s[0:1], s[56:57], s[102:103]
	s_wait_alu 0xfffe
	s_xor_b64 s[98:99], s[0:1], s[102:103]
	s_wait_alu 0xfffe
	s_cvt_f32_u32 s0, s98
	s_cvt_f32_u32 s1, s99
	s_sub_nc_u64 s[72:73], 0, s[98:99]
	s_wait_alu 0xfffe
	s_delay_alu instid0(SALU_CYCLE_1) | instskip(SKIP_1) | instid1(SALU_CYCLE_2)
	s_fmamk_f32 s0, s1, 0x4f800000, s0
	s_wait_alu 0xfffe
	v_s_rcp_f32 s0, s0
	s_delay_alu instid0(TRANS32_DEP_1) | instskip(SKIP_1) | instid1(SALU_CYCLE_2)
	s_mul_f32 s0, s0, 0x5f7ffffc
	s_wait_alu 0xfffe
	s_mul_f32 s1, s0, 0x2f800000
	s_wait_alu 0xfffe
	s_delay_alu instid0(SALU_CYCLE_2) | instskip(SKIP_1) | instid1(SALU_CYCLE_2)
	s_trunc_f32 s1, s1
	s_wait_alu 0xfffe
	s_fmamk_f32 s0, s1, 0xcf800000, s0
	s_cvt_u32_f32 s1, s1
	s_wait_alu 0xfffe
	s_delay_alu instid0(SALU_CYCLE_1) | instskip(SKIP_1) | instid1(SALU_CYCLE_2)
	s_cvt_u32_f32 s0, s0
	s_wait_alu 0xfffe
	s_mul_u64 s[74:75], s[72:73], s[0:1]
	s_wait_alu 0xfffe
	s_mul_hi_u32 s101, s0, s75
	s_mul_i32 s100, s0, s75
	s_mul_hi_u32 s2, s0, s74
	s_mul_i32 s103, s1, s74
	s_wait_alu 0xfffe
	s_add_nc_u64 s[100:101], s[2:3], s[100:101]
	s_mul_hi_u32 s97, s1, s74
	s_mul_hi_u32 vcc_lo, s1, s75
	s_add_co_u32 s2, s100, s103
	s_wait_alu 0xfffe
	s_add_co_ci_u32 s2, s101, s97
	s_mul_i32 s74, s1, s75
	s_add_co_ci_u32 s75, vcc_lo, 0
	v_add_co_u32 v15, vcc_lo, v17, v2
	s_wait_alu 0xfffe
	s_add_nc_u64 s[74:75], s[2:3], s[74:75]
	s_wait_alu 0xfffd
	v_add_co_ci_u32_e64 v16, null, v18, v2, vcc_lo
	s_wait_alu 0xfffe
	s_add_co_u32 s0, s0, s74
	s_cselect_b32 s2, -1, 0
	v_xor_b32_e32 v21, v15, v2
	s_wait_alu 0xfffe
	s_cmp_lg_u32 s2, 0
	v_xor_b32_e32 v22, v16, v2
	s_add_co_ci_u32 s1, s1, s75
	v_xor_b32_e32 v2, s102, v2
	s_wait_alu 0xfffe
	s_mul_u64 s[72:73], s[72:73], s[0:1]
	s_wait_alu 0xfffe
	s_mul_hi_u32 s75, s0, s73
	s_mul_i32 s74, s0, s73
	s_mul_hi_u32 s2, s0, s72
	s_mul_i32 s100, s1, s72
	s_wait_alu 0xfffe
	s_add_nc_u64 s[74:75], s[2:3], s[74:75]
	s_mul_hi_u32 s97, s1, s72
	s_mul_hi_u32 s101, s1, s73
	s_wait_alu 0xfffe
	s_add_co_u32 s2, s74, s100
	s_add_co_ci_u32 s2, s75, s97
	s_mul_i32 s72, s1, s73
	s_add_co_ci_u32 s73, s101, 0
	s_wait_alu 0xfffe
	s_add_nc_u64 s[72:73], s[2:3], s[72:73]
	s_wait_alu 0xfffe
	s_add_co_u32 s0, s0, s72
	s_cselect_b32 s2, -1, 0
	s_wait_alu 0xfffe
	v_mul_hi_u32 v24, v21, s0
	s_cmp_lg_u32 s2, 0
	v_mad_co_u64_u32 v[17:18], null, v22, s0, 0
	s_add_co_ci_u32 s1, s1, s73
	s_wait_alu 0xfffe
	v_mad_co_u64_u32 v[15:16], null, v21, s1, 0
	v_mad_co_u64_u32 v[19:20], null, v22, s1, 0
	s_delay_alu instid0(VALU_DEP_2) | instskip(SKIP_1) | instid1(VALU_DEP_3)
	v_add_co_u32 v15, vcc_lo, v24, v15
	s_wait_alu 0xfffd
	v_add_co_ci_u32_e64 v16, null, 0, v16, vcc_lo
	s_delay_alu instid0(VALU_DEP_2) | instskip(SKIP_1) | instid1(VALU_DEP_2)
	v_add_co_u32 v15, vcc_lo, v15, v17
	s_wait_alu 0xfffd
	v_add_co_ci_u32_e32 v15, vcc_lo, v16, v18, vcc_lo
	s_wait_alu 0xfffd
	v_add_co_ci_u32_e32 v16, vcc_lo, 0, v20, vcc_lo
	s_delay_alu instid0(VALU_DEP_2) | instskip(SKIP_1) | instid1(VALU_DEP_2)
	v_add_co_u32 v17, vcc_lo, v15, v19
	s_wait_alu 0xfffd
	v_add_co_ci_u32_e64 v18, null, 0, v16, vcc_lo
	s_delay_alu instid0(VALU_DEP_2) | instskip(SKIP_1) | instid1(VALU_DEP_3)
	v_mul_lo_u32 v19, s99, v17
	v_mad_co_u64_u32 v[15:16], null, s98, v17, 0
	v_mul_lo_u32 v20, s98, v18
	s_delay_alu instid0(VALU_DEP_2) | instskip(NEXT) | instid1(VALU_DEP_2)
	v_sub_co_u32 v15, vcc_lo, v21, v15
	v_add3_u32 v16, v16, v20, v19
	s_delay_alu instid0(VALU_DEP_2) | instskip(NEXT) | instid1(VALU_DEP_2)
	v_sub_co_u32 v20, s0, v15, s98
	v_sub_nc_u32_e32 v19, v22, v16
	s_wait_alu 0xfffd
	v_sub_co_ci_u32_e64 v16, null, v22, v16, vcc_lo
	v_cmp_le_u32_e64 s1, s98, v15
	s_delay_alu instid0(VALU_DEP_3) | instskip(SKIP_1) | instid1(VALU_DEP_4)
	v_subrev_co_ci_u32_e64 v19, null, s99, v19, vcc_lo
	v_cmp_le_u32_e32 vcc_lo, s98, v20
	v_cmp_le_u32_e64 s2, s99, v16
	s_wait_alu 0xf1ff
	v_cndmask_b32_e64 v21, 0, -1, s1
	v_subrev_co_ci_u32_e64 v19, null, 0, v19, s0
	s_wait_alu 0xfffd
	v_cndmask_b32_e64 v15, 0, -1, vcc_lo
	v_cmp_eq_u32_e64 s1, s99, v16
	v_cndmask_b32_e64 v16, 0, -1, s2
	v_cmp_le_u32_e64 s0, s99, v19
	v_cmp_eq_u32_e32 vcc_lo, s99, v19
	s_wait_alu 0xf1ff
	s_delay_alu instid0(VALU_DEP_3) | instskip(NEXT) | instid1(VALU_DEP_3)
	v_cndmask_b32_e64 v16, v16, v21, s1
	v_cndmask_b32_e64 v19, 0, -1, s0
	v_add_co_u32 v20, s0, v17, 2
	s_wait_alu 0xfffd
	s_delay_alu instid0(VALU_DEP_2) | instskip(SKIP_3) | instid1(VALU_DEP_3)
	v_cndmask_b32_e32 v15, v19, v15, vcc_lo
	s_wait_alu 0xf1ff
	v_add_co_ci_u32_e64 v19, null, 0, v18, s0
	v_add_co_u32 v22, vcc_lo, v17, 1
	v_cmp_ne_u32_e64 s0, 0, v15
	s_wait_alu 0xfffd
	v_add_co_ci_u32_e64 v15, null, 0, v18, vcc_lo
	v_cmp_ne_u32_e32 vcc_lo, 0, v16
	s_wait_alu 0xf1ff
	v_cndmask_b32_e64 v16, v22, v20, s0
	s_delay_alu instid0(VALU_DEP_3) | instskip(SKIP_1) | instid1(VALU_DEP_1)
	v_cndmask_b32_e64 v15, v15, v19, s0
	s_wait_alu 0xfffd
	v_dual_cndmask_b32 v16, v17, v16 :: v_dual_cndmask_b32 v15, v18, v15
	s_delay_alu instid0(VALU_DEP_1) | instskip(NEXT) | instid1(VALU_DEP_2)
	v_xor_b32_e32 v16, v16, v2
	v_xor_b32_e32 v17, v15, v2
	s_delay_alu instid0(VALU_DEP_2) | instskip(SKIP_1) | instid1(VALU_DEP_2)
	v_sub_co_u32 v15, vcc_lo, v16, v2
	s_wait_alu 0xfffd
	v_sub_co_ci_u32_e64 v16, null, v17, v2, vcc_lo
                                        ; implicit-def: $vgpr17
.LBB35_52:                              ;   in Loop: Header=BB35_3 Depth=1
	s_wait_alu 0xfffe
	s_and_not1_saveexec_b32 s0, s94
	s_cbranch_execz .LBB35_54
; %bb.53:                               ;   in Loop: Header=BB35_3 Depth=1
	v_rcp_iflag_f32_e32 v2, v23
	s_sub_co_i32 s1, 0, s56
	s_delay_alu instid0(TRANS32_DEP_1) | instskip(NEXT) | instid1(VALU_DEP_1)
	v_mul_f32_e32 v2, 0x4f7ffffe, v2
	v_cvt_u32_f32_e32 v2, v2
	s_wait_alu 0xfffe
	s_delay_alu instid0(VALU_DEP_1) | instskip(NEXT) | instid1(VALU_DEP_1)
	v_mul_lo_u32 v15, s1, v2
	v_mul_hi_u32 v15, v2, v15
	s_delay_alu instid0(VALU_DEP_1) | instskip(NEXT) | instid1(VALU_DEP_1)
	v_add_nc_u32_e32 v2, v2, v15
	v_mul_hi_u32 v2, v17, v2
	s_delay_alu instid0(VALU_DEP_1) | instskip(SKIP_1) | instid1(VALU_DEP_2)
	v_mul_lo_u32 v15, v2, s56
	v_add_nc_u32_e32 v16, 1, v2
	v_sub_nc_u32_e32 v15, v17, v15
	s_delay_alu instid0(VALU_DEP_1) | instskip(SKIP_2) | instid1(VALU_DEP_2)
	v_subrev_nc_u32_e32 v17, s56, v15
	v_cmp_le_u32_e32 vcc_lo, s56, v15
	s_wait_alu 0xfffd
	v_dual_cndmask_b32 v15, v15, v17 :: v_dual_cndmask_b32 v2, v2, v16
	s_delay_alu instid0(VALU_DEP_1) | instskip(NEXT) | instid1(VALU_DEP_2)
	v_cmp_le_u32_e32 vcc_lo, s56, v15
	v_add_nc_u32_e32 v16, 1, v2
	s_wait_alu 0xfffd
	s_delay_alu instid0(VALU_DEP_1)
	v_dual_cndmask_b32 v15, v2, v16 :: v_dual_mov_b32 v16, v1
.LBB35_54:                              ;   in Loop: Header=BB35_3 Depth=1
	s_wait_alu 0xfffe
	s_or_b32 exec_lo, exec_lo, s0
	s_delay_alu instid0(VALU_DEP_1) | instskip(NEXT) | instid1(VALU_DEP_2)
	v_mul_lo_u32 v2, v16, s56
	v_mul_lo_u32 v19, v15, s57
	v_mad_co_u64_u32 v[17:18], null, v15, s56, 0
	v_mul_lo_u32 v20, v16, s24
	s_mov_b32 s0, exec_lo
	s_delay_alu instid0(VALU_DEP_2) | instskip(NEXT) | instid1(VALU_DEP_3)
	v_add3_u32 v2, v18, v19, v2
	v_sub_co_u32 v5, vcc_lo, v5, v17
	v_mul_lo_u32 v19, v15, s25
	v_mad_co_u64_u32 v[15:16], null, v15, s24, 0
	s_wait_alu 0xfffd
	v_sub_co_ci_u32_e64 v2, null, v6, v2, vcc_lo
	v_add_co_u32 v5, vcc_lo, v3, v5
	s_wait_alu 0xfffd
	s_delay_alu instid0(VALU_DEP_2)
	v_add_co_ci_u32_e64 v2, null, v4, v2, vcc_lo
	v_add_co_u32 v6, vcc_lo, v13, 3
	s_wait_alu 0xfffd
	v_add_co_ci_u32_e64 v21, null, 0, v14, vcc_lo
	v_mul_lo_u32 v22, v5, s27
	v_mul_lo_u32 v2, v2, s26
	v_mad_co_u64_u32 v[17:18], null, v5, s26, 0
	v_mul_lo_u32 v24, s5, v6
	v_mul_lo_u32 v21, s4, v21
	v_mad_co_u64_u32 v[5:6], null, s4, v6, 0
	v_add3_u32 v16, v16, v19, v20
	v_add3_u32 v18, v18, v22, v2
	s_delay_alu instid0(VALU_DEP_2) | instskip(NEXT) | instid1(VALU_DEP_4)
	v_lshlrev_b64_e32 v[19:20], 3, v[15:16]
	v_add3_u32 v6, v6, v21, v24
	v_add_co_u32 v15, vcc_lo, v3, v5
	s_delay_alu instid0(VALU_DEP_4) | instskip(SKIP_1) | instid1(VALU_DEP_3)
	v_lshlrev_b64_e32 v[17:18], 3, v[17:18]
	s_wait_alu 0xfffd
	v_add_co_ci_u32_e64 v16, null, v4, v6, vcc_lo
	v_add_co_u32 v19, vcc_lo, s54, v19
	s_wait_alu 0xfffd
	v_add_co_ci_u32_e64 v20, null, s55, v20, vcc_lo
	s_delay_alu instid0(VALU_DEP_3) | instskip(NEXT) | instid1(VALU_DEP_3)
	v_or_b32_e32 v2, s57, v16
	v_add_co_u32 v17, vcc_lo, v19, v17
	s_wait_alu 0xfffd
	s_delay_alu instid0(VALU_DEP_3)
	v_add_co_ci_u32_e64 v18, null, v20, v18, vcc_lo
	global_store_b64 v[17:18], v[9:10], off
                                        ; implicit-def: $vgpr9_vgpr10
	v_cmpx_ne_u64_e32 0, v[1:2]
	s_wait_alu 0xfffe
	s_xor_b32 s94, exec_lo, s0
	s_cbranch_execz .LBB35_56
; %bb.55:                               ;   in Loop: Header=BB35_3 Depth=1
	s_ashr_i32 s102, s57, 31
	v_ashrrev_i32_e32 v2, 31, v16
	s_wait_alu 0xfffe
	s_mov_b32 s103, s102
	s_wait_alu 0xfffe
	s_add_nc_u64 s[0:1], s[56:57], s[102:103]
	s_wait_alu 0xfffe
	s_xor_b64 s[98:99], s[0:1], s[102:103]
	s_wait_alu 0xfffe
	s_cvt_f32_u32 s0, s98
	s_cvt_f32_u32 s1, s99
	s_sub_nc_u64 s[72:73], 0, s[98:99]
	s_wait_alu 0xfffe
	s_delay_alu instid0(SALU_CYCLE_1) | instskip(SKIP_1) | instid1(SALU_CYCLE_2)
	s_fmamk_f32 s0, s1, 0x4f800000, s0
	s_wait_alu 0xfffe
	v_s_rcp_f32 s0, s0
	s_delay_alu instid0(TRANS32_DEP_1) | instskip(SKIP_1) | instid1(SALU_CYCLE_2)
	s_mul_f32 s0, s0, 0x5f7ffffc
	s_wait_alu 0xfffe
	s_mul_f32 s1, s0, 0x2f800000
	s_wait_alu 0xfffe
	s_delay_alu instid0(SALU_CYCLE_2) | instskip(SKIP_1) | instid1(SALU_CYCLE_2)
	s_trunc_f32 s1, s1
	s_wait_alu 0xfffe
	s_fmamk_f32 s0, s1, 0xcf800000, s0
	s_cvt_u32_f32 s1, s1
	s_wait_alu 0xfffe
	s_delay_alu instid0(SALU_CYCLE_1) | instskip(SKIP_1) | instid1(SALU_CYCLE_2)
	s_cvt_u32_f32 s0, s0
	s_wait_alu 0xfffe
	s_mul_u64 s[74:75], s[72:73], s[0:1]
	s_wait_alu 0xfffe
	s_mul_hi_u32 s101, s0, s75
	s_mul_i32 s100, s0, s75
	s_mul_hi_u32 s2, s0, s74
	s_mul_i32 s103, s1, s74
	s_wait_alu 0xfffe
	s_add_nc_u64 s[100:101], s[2:3], s[100:101]
	s_mul_hi_u32 s97, s1, s74
	s_mul_hi_u32 vcc_lo, s1, s75
	s_add_co_u32 s2, s100, s103
	s_wait_alu 0xfffe
	s_add_co_ci_u32 s2, s101, s97
	s_mul_i32 s74, s1, s75
	s_add_co_ci_u32 s75, vcc_lo, 0
	v_add_co_u32 v9, vcc_lo, v15, v2
	s_wait_alu 0xfffe
	s_add_nc_u64 s[74:75], s[2:3], s[74:75]
	s_wait_alu 0xfffd
	v_add_co_ci_u32_e64 v10, null, v16, v2, vcc_lo
	s_wait_alu 0xfffe
	s_add_co_u32 s0, s0, s74
	s_cselect_b32 s2, -1, 0
	v_xor_b32_e32 v19, v9, v2
	s_wait_alu 0xfffe
	s_cmp_lg_u32 s2, 0
	v_xor_b32_e32 v20, v10, v2
	s_add_co_ci_u32 s1, s1, s75
	v_xor_b32_e32 v2, s102, v2
	s_wait_alu 0xfffe
	s_mul_u64 s[72:73], s[72:73], s[0:1]
	s_wait_alu 0xfffe
	s_mul_hi_u32 s75, s0, s73
	s_mul_i32 s74, s0, s73
	s_mul_hi_u32 s2, s0, s72
	s_mul_i32 s100, s1, s72
	s_wait_alu 0xfffe
	s_add_nc_u64 s[74:75], s[2:3], s[74:75]
	s_mul_hi_u32 s97, s1, s72
	s_mul_hi_u32 s101, s1, s73
	s_wait_alu 0xfffe
	s_add_co_u32 s2, s74, s100
	s_add_co_ci_u32 s2, s75, s97
	s_mul_i32 s72, s1, s73
	s_add_co_ci_u32 s73, s101, 0
	s_wait_alu 0xfffe
	s_add_nc_u64 s[72:73], s[2:3], s[72:73]
	s_wait_alu 0xfffe
	s_add_co_u32 s0, s0, s72
	s_cselect_b32 s2, -1, 0
	s_wait_alu 0xfffe
	v_mul_hi_u32 v21, v19, s0
	s_cmp_lg_u32 s2, 0
	v_mad_co_u64_u32 v[15:16], null, v20, s0, 0
	s_add_co_ci_u32 s1, s1, s73
	s_wait_alu 0xfffe
	v_mad_co_u64_u32 v[9:10], null, v19, s1, 0
	v_mad_co_u64_u32 v[17:18], null, v20, s1, 0
	s_delay_alu instid0(VALU_DEP_2) | instskip(SKIP_1) | instid1(VALU_DEP_3)
	v_add_co_u32 v9, vcc_lo, v21, v9
	s_wait_alu 0xfffd
	v_add_co_ci_u32_e64 v10, null, 0, v10, vcc_lo
	s_delay_alu instid0(VALU_DEP_2) | instskip(SKIP_1) | instid1(VALU_DEP_2)
	v_add_co_u32 v9, vcc_lo, v9, v15
	s_wait_alu 0xfffd
	v_add_co_ci_u32_e32 v9, vcc_lo, v10, v16, vcc_lo
	s_wait_alu 0xfffd
	v_add_co_ci_u32_e32 v10, vcc_lo, 0, v18, vcc_lo
	s_delay_alu instid0(VALU_DEP_2) | instskip(SKIP_1) | instid1(VALU_DEP_2)
	v_add_co_u32 v15, vcc_lo, v9, v17
	s_wait_alu 0xfffd
	v_add_co_ci_u32_e64 v16, null, 0, v10, vcc_lo
	s_delay_alu instid0(VALU_DEP_2) | instskip(SKIP_1) | instid1(VALU_DEP_3)
	v_mul_lo_u32 v17, s99, v15
	v_mad_co_u64_u32 v[9:10], null, s98, v15, 0
	v_mul_lo_u32 v18, s98, v16
	s_delay_alu instid0(VALU_DEP_2) | instskip(NEXT) | instid1(VALU_DEP_2)
	v_sub_co_u32 v9, vcc_lo, v19, v9
	v_add3_u32 v10, v10, v18, v17
	s_delay_alu instid0(VALU_DEP_2) | instskip(NEXT) | instid1(VALU_DEP_2)
	v_sub_co_u32 v18, s0, v9, s98
	v_sub_nc_u32_e32 v17, v20, v10
	s_wait_alu 0xfffd
	v_sub_co_ci_u32_e64 v10, null, v20, v10, vcc_lo
	v_cmp_le_u32_e64 s1, s98, v9
	s_delay_alu instid0(VALU_DEP_3) | instskip(SKIP_1) | instid1(VALU_DEP_4)
	v_subrev_co_ci_u32_e64 v17, null, s99, v17, vcc_lo
	v_cmp_le_u32_e32 vcc_lo, s98, v18
	v_cmp_le_u32_e64 s2, s99, v10
	s_wait_alu 0xf1ff
	v_cndmask_b32_e64 v19, 0, -1, s1
	v_subrev_co_ci_u32_e64 v17, null, 0, v17, s0
	s_wait_alu 0xfffd
	v_cndmask_b32_e64 v9, 0, -1, vcc_lo
	v_cmp_eq_u32_e64 s1, s99, v10
	v_cndmask_b32_e64 v10, 0, -1, s2
	v_cmp_le_u32_e64 s0, s99, v17
	v_cmp_eq_u32_e32 vcc_lo, s99, v17
	s_wait_alu 0xf1ff
	s_delay_alu instid0(VALU_DEP_3) | instskip(NEXT) | instid1(VALU_DEP_3)
	v_cndmask_b32_e64 v10, v10, v19, s1
	v_cndmask_b32_e64 v17, 0, -1, s0
	v_add_co_u32 v18, s0, v15, 2
	s_wait_alu 0xfffd
	s_delay_alu instid0(VALU_DEP_2) | instskip(SKIP_3) | instid1(VALU_DEP_3)
	v_cndmask_b32_e32 v9, v17, v9, vcc_lo
	s_wait_alu 0xf1ff
	v_add_co_ci_u32_e64 v17, null, 0, v16, s0
	v_add_co_u32 v20, vcc_lo, v15, 1
	v_cmp_ne_u32_e64 s0, 0, v9
	s_wait_alu 0xfffd
	v_add_co_ci_u32_e64 v9, null, 0, v16, vcc_lo
	v_cmp_ne_u32_e32 vcc_lo, 0, v10
	s_wait_alu 0xf1ff
	v_cndmask_b32_e64 v10, v20, v18, s0
	s_delay_alu instid0(VALU_DEP_3) | instskip(SKIP_1) | instid1(VALU_DEP_1)
	v_cndmask_b32_e64 v9, v9, v17, s0
	s_wait_alu 0xfffd
	v_dual_cndmask_b32 v10, v15, v10 :: v_dual_cndmask_b32 v9, v16, v9
	s_delay_alu instid0(VALU_DEP_1) | instskip(NEXT) | instid1(VALU_DEP_2)
	v_xor_b32_e32 v10, v10, v2
	v_xor_b32_e32 v15, v9, v2
	s_delay_alu instid0(VALU_DEP_2) | instskip(SKIP_1) | instid1(VALU_DEP_2)
	v_sub_co_u32 v9, vcc_lo, v10, v2
	s_wait_alu 0xfffd
	v_sub_co_ci_u32_e64 v10, null, v15, v2, vcc_lo
                                        ; implicit-def: $vgpr15
.LBB35_56:                              ;   in Loop: Header=BB35_3 Depth=1
	s_wait_alu 0xfffe
	s_and_not1_saveexec_b32 s0, s94
	s_cbranch_execz .LBB35_58
; %bb.57:                               ;   in Loop: Header=BB35_3 Depth=1
	v_rcp_iflag_f32_e32 v2, v23
	s_sub_co_i32 s1, 0, s56
	s_delay_alu instid0(TRANS32_DEP_1) | instskip(NEXT) | instid1(VALU_DEP_1)
	v_mul_f32_e32 v2, 0x4f7ffffe, v2
	v_cvt_u32_f32_e32 v2, v2
	s_wait_alu 0xfffe
	s_delay_alu instid0(VALU_DEP_1) | instskip(NEXT) | instid1(VALU_DEP_1)
	v_mul_lo_u32 v9, s1, v2
	v_mul_hi_u32 v9, v2, v9
	s_delay_alu instid0(VALU_DEP_1) | instskip(NEXT) | instid1(VALU_DEP_1)
	v_add_nc_u32_e32 v2, v2, v9
	v_mul_hi_u32 v2, v15, v2
	s_delay_alu instid0(VALU_DEP_1) | instskip(SKIP_1) | instid1(VALU_DEP_2)
	v_mul_lo_u32 v9, v2, s56
	v_add_nc_u32_e32 v10, 1, v2
	v_sub_nc_u32_e32 v9, v15, v9
	s_delay_alu instid0(VALU_DEP_1) | instskip(SKIP_2) | instid1(VALU_DEP_2)
	v_subrev_nc_u32_e32 v15, s56, v9
	v_cmp_le_u32_e32 vcc_lo, s56, v9
	s_wait_alu 0xfffd
	v_dual_cndmask_b32 v9, v9, v15 :: v_dual_cndmask_b32 v2, v2, v10
	s_delay_alu instid0(VALU_DEP_1) | instskip(NEXT) | instid1(VALU_DEP_2)
	v_cmp_le_u32_e32 vcc_lo, s56, v9
	v_add_nc_u32_e32 v10, 1, v2
	s_wait_alu 0xfffd
	s_delay_alu instid0(VALU_DEP_1)
	v_dual_cndmask_b32 v9, v2, v10 :: v_dual_mov_b32 v10, v1
.LBB35_58:                              ;   in Loop: Header=BB35_3 Depth=1
	s_wait_alu 0xfffe
	s_or_b32 exec_lo, exec_lo, s0
	s_delay_alu instid0(VALU_DEP_1) | instskip(NEXT) | instid1(VALU_DEP_2)
	v_mul_lo_u32 v2, v10, s56
	v_mul_lo_u32 v17, v9, s57
	v_mad_co_u64_u32 v[15:16], null, v9, s56, 0
	v_mul_lo_u32 v18, v10, s24
	s_mov_b32 s0, exec_lo
	s_delay_alu instid0(VALU_DEP_2) | instskip(NEXT) | instid1(VALU_DEP_3)
	v_add3_u32 v2, v16, v17, v2
	v_sub_co_u32 v5, vcc_lo, v5, v15
	v_mul_lo_u32 v16, v9, s25
	v_mad_co_u64_u32 v[9:10], null, v9, s24, 0
	s_wait_alu 0xfffd
	v_sub_co_ci_u32_e64 v2, null, v6, v2, vcc_lo
	v_add_co_u32 v5, vcc_lo, v3, v5
	s_wait_alu 0xfffd
	s_delay_alu instid0(VALU_DEP_2)
	v_add_co_ci_u32_e64 v2, null, v4, v2, vcc_lo
	v_add_co_u32 v6, vcc_lo, v13, 4
	s_wait_alu 0xfffd
	v_add_co_ci_u32_e64 v15, null, 0, v14, vcc_lo
	v_mul_lo_u32 v17, v5, s27
	v_mul_lo_u32 v2, v2, s26
	v_mad_co_u64_u32 v[13:14], null, v5, s26, 0
	v_mul_lo_u32 v19, s5, v6
	v_mul_lo_u32 v15, s4, v15
	v_mad_co_u64_u32 v[5:6], null, s4, v6, 0
	v_add3_u32 v10, v10, v16, v18
	v_add3_u32 v14, v14, v17, v2
	s_delay_alu instid0(VALU_DEP_2) | instskip(NEXT) | instid1(VALU_DEP_4)
	v_lshlrev_b64_e32 v[9:10], 3, v[9:10]
	v_add3_u32 v6, v6, v15, v19
	s_delay_alu instid0(VALU_DEP_3) | instskip(SKIP_2) | instid1(VALU_DEP_3)
	v_lshlrev_b64_e32 v[15:16], 3, v[13:14]
	v_add_co_u32 v13, vcc_lo, v3, v5
	s_wait_alu 0xfffd
	v_add_co_ci_u32_e64 v14, null, v4, v6, vcc_lo
	v_add_co_u32 v9, vcc_lo, s54, v9
	s_wait_alu 0xfffd
	v_add_co_ci_u32_e64 v10, null, s55, v10, vcc_lo
	s_delay_alu instid0(VALU_DEP_3) | instskip(NEXT) | instid1(VALU_DEP_3)
	v_or_b32_e32 v2, s57, v14
	v_add_co_u32 v9, vcc_lo, v9, v15
	s_wait_alu 0xfffd
	s_delay_alu instid0(VALU_DEP_3)
	v_add_co_ci_u32_e64 v10, null, v10, v16, vcc_lo
	global_store_b64 v[9:10], v[11:12], off
                                        ; implicit-def: $vgpr9_vgpr10
	v_cmpx_ne_u64_e32 0, v[1:2]
	s_wait_alu 0xfffe
	s_xor_b32 s94, exec_lo, s0
	s_cbranch_execz .LBB35_60
; %bb.59:                               ;   in Loop: Header=BB35_3 Depth=1
	s_ashr_i32 s102, s57, 31
	v_ashrrev_i32_e32 v2, 31, v14
	s_wait_alu 0xfffe
	s_mov_b32 s103, s102
                                        ; implicit-def: $vgpr23
	s_wait_alu 0xfffe
	s_add_nc_u64 s[0:1], s[56:57], s[102:103]
	s_wait_alu 0xfffe
	s_xor_b64 s[98:99], s[0:1], s[102:103]
	s_wait_alu 0xfffe
	s_cvt_f32_u32 s0, s98
	s_cvt_f32_u32 s1, s99
	s_sub_nc_u64 s[72:73], 0, s[98:99]
	s_wait_alu 0xfffe
	s_delay_alu instid0(SALU_CYCLE_1) | instskip(SKIP_1) | instid1(SALU_CYCLE_2)
	s_fmamk_f32 s0, s1, 0x4f800000, s0
	s_wait_alu 0xfffe
	v_s_rcp_f32 s0, s0
	s_delay_alu instid0(TRANS32_DEP_1) | instskip(SKIP_1) | instid1(SALU_CYCLE_2)
	s_mul_f32 s0, s0, 0x5f7ffffc
	s_wait_alu 0xfffe
	s_mul_f32 s1, s0, 0x2f800000
	s_wait_alu 0xfffe
	s_delay_alu instid0(SALU_CYCLE_2) | instskip(SKIP_1) | instid1(SALU_CYCLE_2)
	s_trunc_f32 s1, s1
	s_wait_alu 0xfffe
	s_fmamk_f32 s0, s1, 0xcf800000, s0
	s_cvt_u32_f32 s1, s1
	s_wait_alu 0xfffe
	s_delay_alu instid0(SALU_CYCLE_1) | instskip(SKIP_1) | instid1(SALU_CYCLE_2)
	s_cvt_u32_f32 s0, s0
	s_wait_alu 0xfffe
	s_mul_u64 s[74:75], s[72:73], s[0:1]
	s_wait_alu 0xfffe
	s_mul_hi_u32 s101, s0, s75
	s_mul_i32 s100, s0, s75
	s_mul_hi_u32 s2, s0, s74
	s_mul_i32 s103, s1, s74
	s_wait_alu 0xfffe
	s_add_nc_u64 s[100:101], s[2:3], s[100:101]
	s_mul_hi_u32 s97, s1, s74
	s_mul_hi_u32 vcc_lo, s1, s75
	s_add_co_u32 s2, s100, s103
	s_wait_alu 0xfffe
	s_add_co_ci_u32 s2, s101, s97
	s_mul_i32 s74, s1, s75
	s_add_co_ci_u32 s75, vcc_lo, 0
	v_add_co_u32 v9, vcc_lo, v13, v2
	s_wait_alu 0xfffe
	s_add_nc_u64 s[74:75], s[2:3], s[74:75]
	s_wait_alu 0xfffd
	v_add_co_ci_u32_e64 v10, null, v14, v2, vcc_lo
	s_wait_alu 0xfffe
	s_add_co_u32 s0, s0, s74
	s_cselect_b32 s2, -1, 0
	v_xor_b32_e32 v15, v9, v2
	s_wait_alu 0xfffe
	s_cmp_lg_u32 s2, 0
	v_xor_b32_e32 v16, v10, v2
	s_add_co_ci_u32 s1, s1, s75
	v_xor_b32_e32 v2, s102, v2
	s_wait_alu 0xfffe
	s_mul_u64 s[72:73], s[72:73], s[0:1]
	s_wait_alu 0xfffe
	s_mul_hi_u32 s75, s0, s73
	s_mul_i32 s74, s0, s73
	s_mul_hi_u32 s2, s0, s72
	s_mul_i32 s100, s1, s72
	s_wait_alu 0xfffe
	s_add_nc_u64 s[74:75], s[2:3], s[74:75]
	s_mul_hi_u32 s97, s1, s72
	s_mul_hi_u32 s101, s1, s73
	s_wait_alu 0xfffe
	s_add_co_u32 s2, s74, s100
	s_add_co_ci_u32 s2, s75, s97
	s_mul_i32 s72, s1, s73
	s_add_co_ci_u32 s73, s101, 0
	s_wait_alu 0xfffe
	s_add_nc_u64 s[72:73], s[2:3], s[72:73]
	s_wait_alu 0xfffe
	s_add_co_u32 s0, s0, s72
	s_cselect_b32 s2, -1, 0
	s_wait_alu 0xfffe
	v_mul_hi_u32 v17, v15, s0
	s_cmp_lg_u32 s2, 0
	v_mad_co_u64_u32 v[11:12], null, v16, s0, 0
	s_add_co_ci_u32 s1, s1, s73
	s_wait_alu 0xfffe
	v_mad_co_u64_u32 v[9:10], null, v15, s1, 0
	v_mad_co_u64_u32 v[13:14], null, v16, s1, 0
	s_delay_alu instid0(VALU_DEP_2) | instskip(SKIP_1) | instid1(VALU_DEP_3)
	v_add_co_u32 v9, vcc_lo, v17, v9
	s_wait_alu 0xfffd
	v_add_co_ci_u32_e64 v10, null, 0, v10, vcc_lo
	s_delay_alu instid0(VALU_DEP_2) | instskip(SKIP_1) | instid1(VALU_DEP_2)
	v_add_co_u32 v9, vcc_lo, v9, v11
	s_wait_alu 0xfffd
	v_add_co_ci_u32_e32 v9, vcc_lo, v10, v12, vcc_lo
	s_wait_alu 0xfffd
	v_add_co_ci_u32_e32 v10, vcc_lo, 0, v14, vcc_lo
	s_delay_alu instid0(VALU_DEP_2) | instskip(SKIP_1) | instid1(VALU_DEP_2)
	v_add_co_u32 v11, vcc_lo, v9, v13
	s_wait_alu 0xfffd
	v_add_co_ci_u32_e64 v12, null, 0, v10, vcc_lo
	s_delay_alu instid0(VALU_DEP_2) | instskip(SKIP_1) | instid1(VALU_DEP_3)
	v_mul_lo_u32 v13, s99, v11
	v_mad_co_u64_u32 v[9:10], null, s98, v11, 0
	v_mul_lo_u32 v14, s98, v12
	s_delay_alu instid0(VALU_DEP_2) | instskip(NEXT) | instid1(VALU_DEP_2)
	v_sub_co_u32 v9, vcc_lo, v15, v9
	v_add3_u32 v10, v10, v14, v13
	s_delay_alu instid0(VALU_DEP_2) | instskip(NEXT) | instid1(VALU_DEP_2)
	v_sub_co_u32 v14, s0, v9, s98
	v_sub_nc_u32_e32 v13, v16, v10
	s_wait_alu 0xfffd
	v_sub_co_ci_u32_e64 v10, null, v16, v10, vcc_lo
	v_cmp_le_u32_e64 s1, s98, v9
	s_delay_alu instid0(VALU_DEP_3) | instskip(SKIP_1) | instid1(VALU_DEP_4)
	v_subrev_co_ci_u32_e64 v13, null, s99, v13, vcc_lo
	v_cmp_le_u32_e32 vcc_lo, s98, v14
	v_cmp_le_u32_e64 s2, s99, v10
	s_wait_alu 0xf1ff
	v_cndmask_b32_e64 v15, 0, -1, s1
	v_subrev_co_ci_u32_e64 v13, null, 0, v13, s0
	s_wait_alu 0xfffd
	v_cndmask_b32_e64 v9, 0, -1, vcc_lo
	v_cmp_eq_u32_e64 s1, s99, v10
	v_cndmask_b32_e64 v10, 0, -1, s2
	v_cmp_le_u32_e64 s0, s99, v13
	v_cmp_eq_u32_e32 vcc_lo, s99, v13
	s_wait_alu 0xf1ff
	s_delay_alu instid0(VALU_DEP_3) | instskip(NEXT) | instid1(VALU_DEP_3)
	v_cndmask_b32_e64 v10, v10, v15, s1
	v_cndmask_b32_e64 v13, 0, -1, s0
	v_add_co_u32 v14, s0, v11, 2
	s_wait_alu 0xfffd
	s_delay_alu instid0(VALU_DEP_2) | instskip(SKIP_3) | instid1(VALU_DEP_3)
	v_cndmask_b32_e32 v9, v13, v9, vcc_lo
	s_wait_alu 0xf1ff
	v_add_co_ci_u32_e64 v13, null, 0, v12, s0
	v_add_co_u32 v16, vcc_lo, v11, 1
	v_cmp_ne_u32_e64 s0, 0, v9
	s_wait_alu 0xfffd
	v_add_co_ci_u32_e64 v9, null, 0, v12, vcc_lo
	v_cmp_ne_u32_e32 vcc_lo, 0, v10
	s_wait_alu 0xf1ff
	v_cndmask_b32_e64 v10, v16, v14, s0
	s_delay_alu instid0(VALU_DEP_3) | instskip(SKIP_1) | instid1(VALU_DEP_1)
	v_cndmask_b32_e64 v9, v9, v13, s0
                                        ; implicit-def: $vgpr13
	s_wait_alu 0xfffd
	v_dual_cndmask_b32 v10, v11, v10 :: v_dual_cndmask_b32 v9, v12, v9
	s_delay_alu instid0(VALU_DEP_1) | instskip(NEXT) | instid1(VALU_DEP_2)
	v_xor_b32_e32 v10, v10, v2
	v_xor_b32_e32 v11, v9, v2
	s_delay_alu instid0(VALU_DEP_2) | instskip(SKIP_1) | instid1(VALU_DEP_2)
	v_sub_co_u32 v9, vcc_lo, v10, v2
	s_wait_alu 0xfffd
	v_sub_co_ci_u32_e64 v10, null, v11, v2, vcc_lo
.LBB35_60:                              ;   in Loop: Header=BB35_3 Depth=1
	s_wait_alu 0xfffe
	s_and_not1_saveexec_b32 s0, s94
	s_cbranch_execz .LBB35_2
; %bb.61:                               ;   in Loop: Header=BB35_3 Depth=1
	v_rcp_iflag_f32_e32 v2, v23
	s_sub_co_i32 s1, 0, s56
	s_delay_alu instid0(TRANS32_DEP_1) | instskip(NEXT) | instid1(VALU_DEP_1)
	v_mul_f32_e32 v2, 0x4f7ffffe, v2
	v_cvt_u32_f32_e32 v2, v2
	s_wait_alu 0xfffe
	s_delay_alu instid0(VALU_DEP_1) | instskip(NEXT) | instid1(VALU_DEP_1)
	v_mul_lo_u32 v9, s1, v2
	v_mul_hi_u32 v9, v2, v9
	s_delay_alu instid0(VALU_DEP_1) | instskip(NEXT) | instid1(VALU_DEP_1)
	v_add_nc_u32_e32 v2, v2, v9
	v_mul_hi_u32 v2, v13, v2
	s_delay_alu instid0(VALU_DEP_1) | instskip(SKIP_1) | instid1(VALU_DEP_2)
	v_mul_lo_u32 v9, v2, s56
	v_add_nc_u32_e32 v10, 1, v2
	v_sub_nc_u32_e32 v9, v13, v9
	s_delay_alu instid0(VALU_DEP_1) | instskip(SKIP_2) | instid1(VALU_DEP_2)
	v_subrev_nc_u32_e32 v11, s56, v9
	v_cmp_le_u32_e32 vcc_lo, s56, v9
	s_wait_alu 0xfffd
	v_dual_cndmask_b32 v9, v9, v11 :: v_dual_cndmask_b32 v2, v2, v10
	s_delay_alu instid0(VALU_DEP_1) | instskip(NEXT) | instid1(VALU_DEP_2)
	v_cmp_le_u32_e32 vcc_lo, s56, v9
	v_add_nc_u32_e32 v10, 1, v2
	s_wait_alu 0xfffd
	s_delay_alu instid0(VALU_DEP_1)
	v_dual_cndmask_b32 v9, v2, v10 :: v_dual_mov_b32 v10, v1
	s_branch .LBB35_2
.LBB35_62:
	s_endpgm
	.section	.rodata,"a",@progbits
	.p2align	6, 0x0
	.amdhsa_kernel _ZN2at6native12_GLOBAL__N_16kernel16gru_cell_forwardIddlLi2EEEvNS_4cuda6detail10TensorInfoIT_T1_EES9_S9_S9_S9_S9_S9_S8_S8_
		.amdhsa_group_segment_fixed_size 0
		.amdhsa_private_segment_fixed_size 0
		.amdhsa_kernarg_size 3184
		.amdhsa_user_sgpr_count 2
		.amdhsa_user_sgpr_dispatch_ptr 0
		.amdhsa_user_sgpr_queue_ptr 0
		.amdhsa_user_sgpr_kernarg_segment_ptr 1
		.amdhsa_user_sgpr_dispatch_id 0
		.amdhsa_user_sgpr_private_segment_size 0
		.amdhsa_wavefront_size32 1
		.amdhsa_uses_dynamic_stack 0
		.amdhsa_enable_private_segment 0
		.amdhsa_system_sgpr_workgroup_id_x 1
		.amdhsa_system_sgpr_workgroup_id_y 0
		.amdhsa_system_sgpr_workgroup_id_z 0
		.amdhsa_system_sgpr_workgroup_info 0
		.amdhsa_system_vgpr_workitem_id 0
		.amdhsa_next_free_vgpr 48
		.amdhsa_next_free_sgpr 105
		.amdhsa_reserve_vcc 1
		.amdhsa_float_round_mode_32 0
		.amdhsa_float_round_mode_16_64 0
		.amdhsa_float_denorm_mode_32 3
		.amdhsa_float_denorm_mode_16_64 3
		.amdhsa_fp16_overflow 0
		.amdhsa_workgroup_processor_mode 1
		.amdhsa_memory_ordered 1
		.amdhsa_forward_progress 1
		.amdhsa_inst_pref_size 159
		.amdhsa_round_robin_scheduling 0
		.amdhsa_exception_fp_ieee_invalid_op 0
		.amdhsa_exception_fp_denorm_src 0
		.amdhsa_exception_fp_ieee_div_zero 0
		.amdhsa_exception_fp_ieee_overflow 0
		.amdhsa_exception_fp_ieee_underflow 0
		.amdhsa_exception_fp_ieee_inexact 0
		.amdhsa_exception_int_div_zero 0
	.end_amdhsa_kernel
	.section	.text._ZN2at6native12_GLOBAL__N_16kernel16gru_cell_forwardIddlLi2EEEvNS_4cuda6detail10TensorInfoIT_T1_EES9_S9_S9_S9_S9_S9_S8_S8_,"axG",@progbits,_ZN2at6native12_GLOBAL__N_16kernel16gru_cell_forwardIddlLi2EEEvNS_4cuda6detail10TensorInfoIT_T1_EES9_S9_S9_S9_S9_S9_S8_S8_,comdat
.Lfunc_end35:
	.size	_ZN2at6native12_GLOBAL__N_16kernel16gru_cell_forwardIddlLi2EEEvNS_4cuda6detail10TensorInfoIT_T1_EES9_S9_S9_S9_S9_S9_S8_S8_, .Lfunc_end35-_ZN2at6native12_GLOBAL__N_16kernel16gru_cell_forwardIddlLi2EEEvNS_4cuda6detail10TensorInfoIT_T1_EES9_S9_S9_S9_S9_S9_S8_S8_
                                        ; -- End function
	.set _ZN2at6native12_GLOBAL__N_16kernel16gru_cell_forwardIddlLi2EEEvNS_4cuda6detail10TensorInfoIT_T1_EES9_S9_S9_S9_S9_S9_S8_S8_.num_vgpr, 48
	.set _ZN2at6native12_GLOBAL__N_16kernel16gru_cell_forwardIddlLi2EEEvNS_4cuda6detail10TensorInfoIT_T1_EES9_S9_S9_S9_S9_S9_S8_S8_.num_agpr, 0
	.set _ZN2at6native12_GLOBAL__N_16kernel16gru_cell_forwardIddlLi2EEEvNS_4cuda6detail10TensorInfoIT_T1_EES9_S9_S9_S9_S9_S9_S8_S8_.numbered_sgpr, 105
	.set _ZN2at6native12_GLOBAL__N_16kernel16gru_cell_forwardIddlLi2EEEvNS_4cuda6detail10TensorInfoIT_T1_EES9_S9_S9_S9_S9_S9_S8_S8_.num_named_barrier, 0
	.set _ZN2at6native12_GLOBAL__N_16kernel16gru_cell_forwardIddlLi2EEEvNS_4cuda6detail10TensorInfoIT_T1_EES9_S9_S9_S9_S9_S9_S8_S8_.private_seg_size, 0
	.set _ZN2at6native12_GLOBAL__N_16kernel16gru_cell_forwardIddlLi2EEEvNS_4cuda6detail10TensorInfoIT_T1_EES9_S9_S9_S9_S9_S9_S8_S8_.uses_vcc, 1
	.set _ZN2at6native12_GLOBAL__N_16kernel16gru_cell_forwardIddlLi2EEEvNS_4cuda6detail10TensorInfoIT_T1_EES9_S9_S9_S9_S9_S9_S8_S8_.uses_flat_scratch, 0
	.set _ZN2at6native12_GLOBAL__N_16kernel16gru_cell_forwardIddlLi2EEEvNS_4cuda6detail10TensorInfoIT_T1_EES9_S9_S9_S9_S9_S9_S8_S8_.has_dyn_sized_stack, 0
	.set _ZN2at6native12_GLOBAL__N_16kernel16gru_cell_forwardIddlLi2EEEvNS_4cuda6detail10TensorInfoIT_T1_EES9_S9_S9_S9_S9_S9_S8_S8_.has_recursion, 0
	.set _ZN2at6native12_GLOBAL__N_16kernel16gru_cell_forwardIddlLi2EEEvNS_4cuda6detail10TensorInfoIT_T1_EES9_S9_S9_S9_S9_S9_S8_S8_.has_indirect_call, 0
	.section	.AMDGPU.csdata,"",@progbits
; Kernel info:
; codeLenInByte = 20352
; TotalNumSgprs: 107
; NumVgprs: 48
; ScratchSize: 0
; MemoryBound: 0
; FloatMode: 240
; IeeeMode: 1
; LDSByteSize: 0 bytes/workgroup (compile time only)
; SGPRBlocks: 0
; VGPRBlocks: 5
; NumSGPRsForWavesPerEU: 107
; NumVGPRsForWavesPerEU: 48
; Occupancy: 16
; WaveLimiterHint : 1
; COMPUTE_PGM_RSRC2:SCRATCH_EN: 0
; COMPUTE_PGM_RSRC2:USER_SGPR: 2
; COMPUTE_PGM_RSRC2:TRAP_HANDLER: 0
; COMPUTE_PGM_RSRC2:TGID_X_EN: 1
; COMPUTE_PGM_RSRC2:TGID_Y_EN: 0
; COMPUTE_PGM_RSRC2:TGID_Z_EN: 0
; COMPUTE_PGM_RSRC2:TIDIG_COMP_CNT: 0
	.section	.text._ZN2at6native12_GLOBAL__N_16kernel16gru_cell_forwardIffiLi1EEEvNS_4cuda6detail10TensorInfoIT_T1_EES9_S9_S9_S9_S9_S9_S8_S8_,"axG",@progbits,_ZN2at6native12_GLOBAL__N_16kernel16gru_cell_forwardIffiLi1EEEvNS_4cuda6detail10TensorInfoIT_T1_EES9_S9_S9_S9_S9_S9_S8_S8_,comdat
	.globl	_ZN2at6native12_GLOBAL__N_16kernel16gru_cell_forwardIffiLi1EEEvNS_4cuda6detail10TensorInfoIT_T1_EES9_S9_S9_S9_S9_S9_S8_S8_ ; -- Begin function _ZN2at6native12_GLOBAL__N_16kernel16gru_cell_forwardIffiLi1EEEvNS_4cuda6detail10TensorInfoIT_T1_EES9_S9_S9_S9_S9_S9_S8_S8_
	.p2align	8
	.type	_ZN2at6native12_GLOBAL__N_16kernel16gru_cell_forwardIffiLi1EEEvNS_4cuda6detail10TensorInfoIT_T1_EES9_S9_S9_S9_S9_S9_S8_S8_,@function
_ZN2at6native12_GLOBAL__N_16kernel16gru_cell_forwardIffiLi1EEEvNS_4cuda6detail10TensorInfoIT_T1_EES9_S9_S9_S9_S9_S9_S8_S8_: ; @_ZN2at6native12_GLOBAL__N_16kernel16gru_cell_forwardIffiLi1EEEvNS_4cuda6detail10TensorInfoIT_T1_EES9_S9_S9_S9_S9_S9_S8_S8_
; %bb.0:
	s_clause 0x1
	s_load_b32 s4, s[0:1], 0x5fc
	s_load_b64 s[2:3], s[0:1], 0x5e8
	s_wait_kmcnt 0x0
	s_and_b32 s25, s4, 0xffff
	s_mov_b32 s4, exec_lo
	v_mad_co_u64_u32 v[0:1], null, ttmp9, s25, v[0:1]
	s_delay_alu instid0(VALU_DEP_1)
	v_cmpx_gt_i32_e64 s3, v0
	s_cbranch_execz .LBB36_10
; %bb.1:
	s_load_b64 s[4:5], s[0:1], 0x1b0
	s_add_nc_u64 s[8:9], s[0:1], 0x5f0
	s_clause 0x4
	s_load_b32 s18, s[0:1], 0x21c
	s_load_b64 s[6:7], s[0:1], 0x288
	s_load_b32 s19, s[0:1], 0x2f4
	s_load_b32 s30, s[0:1], 0x3cc
	;; [unrolled: 1-line block ×4, first 2 shown]
	s_mov_b32 s24, 0
	s_mov_b32 s34, 0xbbbac73d
	s_wait_kmcnt 0x0
	s_cmp_lg_u64 s[4:5], 0
	v_mul_lo_u32 v3, v0, s31
	s_cselect_b32 s20, -1, 0
	s_abs_i32 s21, s2
	s_mul_i32 s25, s26, s25
	s_cvt_f32_u32 s8, s21
	s_sub_co_i32 s33, 0, s21
	s_ashr_i32 s26, s2, 31
	s_lshl_b32 s27, s2, 1
	v_rcp_iflag_f32_e32 v1, s8
	s_clause 0x7
	s_load_b64 s[8:9], s[0:1], 0x360
	s_load_b64 s[10:11], s[0:1], 0x438
	;; [unrolled: 1-line block ×3, first 2 shown]
	s_load_b32 s22, s[0:1], 0x6c
	s_load_b64 s[14:15], s[0:1], 0xd8
	s_load_b32 s23, s[0:1], 0x144
	s_load_b64 s[16:17], s[0:1], 0x510
	s_load_b32 s1, s[0:1], 0x57c
	s_lshl_b32 s28, s2, 2
	s_sub_co_i32 s29, 0, s2
	s_mul_i32 s31, s25, s31
	v_readfirstlane_b32 s0, v1
	v_mul_lo_u32 v1, v0, s30
	s_mul_i32 s30, s25, s30
	s_mul_f32 s0, s0, 0x4f7ffffe
	s_wait_alu 0xfffe
	s_delay_alu instid0(SALU_CYCLE_2) | instskip(SKIP_1) | instid1(SALU_CYCLE_2)
	s_cvt_u32_f32 s0, s0
	s_wait_alu 0xfffe
	s_mul_i32 s33, s33, s0
	s_delay_alu instid0(SALU_CYCLE_1) | instskip(NEXT) | instid1(SALU_CYCLE_1)
	s_mul_hi_u32 s33, s0, s33
	s_add_co_i32 s33, s0, s33
	s_branch .LBB36_3
.LBB36_2:                               ;   in Loop: Header=BB36_3 Depth=1
	s_wait_alu 0xfffe
	s_or_b32 exec_lo, exec_lo, s0
	v_add_f32_e32 v9, v9, v10
	v_bfi_b32 v19, 0x7fffffff, v11, v12
	s_delay_alu instid0(VALU_DEP_2) | instskip(NEXT) | instid1(VALU_DEP_1)
	v_dual_add_f32 v9, v9, v13 :: v_dual_lshlrev_b32 v6, 2, v6
	v_dual_sub_f32 v20, v2, v19 :: v_dual_add_f32 v13, v9, v14
	s_delay_alu instid0(VALU_DEP_1) | instskip(SKIP_1) | instid1(VALU_DEP_1)
	v_cmp_nlt_f32_e32 vcc_lo, 0x42ce8ed0, v13
	v_mul_f32_e32 v9, 0xbfb8aa3b, v13
	v_fma_f32 v10, 0xbfb8aa3b, v13, -v9
	v_rndne_f32_e32 v14, v9
	s_delay_alu instid0(VALU_DEP_1) | instskip(SKIP_1) | instid1(VALU_DEP_2)
	v_dual_fmac_f32 v10, 0xb2a5705f, v13 :: v_dual_sub_f32 v9, v9, v14
	v_cvt_i32_f32_e32 v14, v14
	v_add_f32_e32 v9, v9, v10
	s_delay_alu instid0(VALU_DEP_1) | instskip(SKIP_3) | instid1(VALU_DEP_3)
	v_exp_f32_e32 v15, v9
	v_mad_co_u64_u32 v[9:10], null, s28, v4, v[0:1]
	v_add_nc_u32_e32 v1, s30, v1
	v_ashrrev_i32_e32 v4, 31, v3
	v_mul_lo_u32 v9, v9, s1
	s_delay_alu instid0(TRANS32_DEP_1) | instskip(SKIP_1) | instid1(VALU_DEP_1)
	v_ldexp_f32 v10, v15, v14
	s_wait_alu 0xfffd
	v_cndmask_b32_e32 v10, 0, v10, vcc_lo
	v_cmp_ngt_f32_e32 vcc_lo, 0xc2b17218, v13
	v_lshlrev_b32_e32 v11, 2, v5
	v_lshlrev_b64_e32 v[4:5], 2, v[3:4]
	v_add_nc_u32_e32 v3, s31, v3
	s_wait_alu 0xfffd
	v_cndmask_b32_e32 v10, 0x7f800000, v10, vcc_lo
	v_sub_nc_u32_e32 v6, v6, v11
	s_delay_alu instid0(VALU_DEP_4) | instskip(NEXT) | instid1(VALU_DEP_3)
	v_add_co_u32 v4, vcc_lo, s10, v4
	v_add_f32_e32 v21, 1.0, v10
	s_delay_alu instid0(VALU_DEP_3)
	v_or_b32_e32 v11, 1, v6
	v_or_b32_e32 v13, 2, v6
	;; [unrolled: 1-line block ×3, first 2 shown]
	v_add_nc_u32_e32 v6, 4, v6
	v_div_scale_f32 v22, null, v21, v21, 1.0
	v_mad_co_u64_u32 v[11:12], null, s2, v11, v[0:1]
	v_mad_co_u64_u32 v[12:13], null, s2, v13, v[0:1]
	s_delay_alu instid0(VALU_DEP_3)
	v_rcp_f32_e32 v23, v22
	v_mad_co_u64_u32 v[13:14], null, s2, v14, v[0:1]
	v_mad_co_u64_u32 v[14:15], null, s2, v6, v[0:1]
	v_div_scale_f32 v24, s0, 1.0, v21, 1.0
	v_mul_lo_u32 v11, v11, s1
	v_ashrrev_i32_e32 v10, 31, v9
	v_add_nc_u32_e32 v0, s25, v0
	s_delay_alu instid0(TRANS32_DEP_1)
	v_fma_f32 v6, -v22, v23, 1.0
	v_mul_lo_u32 v15, v12, s1
	s_wait_alu 0xfffd
	v_add_co_ci_u32_e64 v5, null, s11, v5, vcc_lo
	v_lshlrev_b64_e32 v[9:10], 2, v[9:10]
	v_fmac_f32_e32 v23, v6, v23
	v_ashrrev_i32_e32 v12, 31, v11
	v_cmp_le_i32_e32 vcc_lo, s3, v0
	v_mul_lo_u32 v13, v13, s1
	v_mul_lo_u32 v17, v14, s1
	v_mul_f32_e32 v6, v24, v23
	v_lshlrev_b64_e32 v[11:12], 2, v[11:12]
	s_or_b32 s24, vcc_lo, s24
	v_add_co_u32 v9, vcc_lo, s16, v9
	s_delay_alu instid0(VALU_DEP_3) | instskip(SKIP_3) | instid1(VALU_DEP_3)
	v_fma_f32 v25, -v22, v6, v24
	s_wait_alu 0xfffd
	v_add_co_ci_u32_e64 v10, null, s17, v10, vcc_lo
	v_add_co_u32 v11, vcc_lo, s16, v11
	v_fmac_f32_e32 v6, v25, v23
	v_ashrrev_i32_e32 v16, 31, v15
	s_wait_alu 0xfffd
	v_add_co_ci_u32_e64 v12, null, s17, v12, vcc_lo
	s_mov_b32 vcc_lo, s0
	v_fma_f32 v22, -v22, v6, v24
	v_ashrrev_i32_e32 v14, 31, v13
	v_ashrrev_i32_e32 v18, 31, v17
	v_lshlrev_b64_e32 v[15:16], 2, v[15:16]
	s_wait_alu 0xfffe
	v_div_fmas_f32 v6, v22, v23, v6
	v_lshlrev_b64_e32 v[13:14], 2, v[13:14]
	v_lshlrev_b64_e32 v[17:18], 2, v[17:18]
	s_delay_alu instid0(VALU_DEP_4) | instskip(NEXT) | instid1(VALU_DEP_4)
	v_add_co_u32 v15, vcc_lo, s16, v15
	v_div_fixup_f32 v6, v6, v21, 1.0
	s_wait_alu 0xfffd
	v_add_co_ci_u32_e64 v16, null, s17, v16, vcc_lo
	v_add_co_u32 v13, vcc_lo, s16, v13
	s_delay_alu instid0(VALU_DEP_3)
	v_fma_f32 v20, v6, v20, v19
	s_wait_alu 0xfffd
	v_add_co_ci_u32_e64 v14, null, s17, v14, vcc_lo
	v_add_co_u32 v17, vcc_lo, s16, v17
	s_wait_alu 0xfffd
	v_add_co_ci_u32_e64 v18, null, s17, v18, vcc_lo
	global_store_b32 v[4:5], v20, off
	s_clause 0x4
	global_store_b32 v[9:10], v8, off
	global_store_b32 v[11:12], v6, off
	;; [unrolled: 1-line block ×5, first 2 shown]
	s_and_not1_b32 exec_lo, exec_lo, s24
	s_cbranch_execz .LBB36_10
.LBB36_3:                               ; =>This Inner Loop Header: Depth=1
	v_sub_nc_u32_e32 v2, 0, v0
	s_delay_alu instid0(VALU_DEP_1) | instskip(NEXT) | instid1(VALU_DEP_1)
	v_max_i32_e32 v2, v0, v2
	v_mul_hi_u32 v4, v2, s33
	s_delay_alu instid0(VALU_DEP_1) | instskip(NEXT) | instid1(VALU_DEP_1)
	v_mul_lo_u32 v5, v4, s21
	v_sub_nc_u32_e32 v2, v2, v5
	s_delay_alu instid0(VALU_DEP_1) | instskip(SKIP_2) | instid1(VALU_DEP_2)
	v_subrev_nc_u32_e32 v6, s21, v2
	v_cmp_le_u32_e32 vcc_lo, s21, v2
	s_wait_alu 0xfffd
	v_dual_cndmask_b32 v2, v2, v6 :: v_dual_add_nc_u32 v5, 1, v4
	s_delay_alu instid0(VALU_DEP_1) | instskip(SKIP_1) | instid1(VALU_DEP_3)
	v_cndmask_b32_e32 v4, v4, v5, vcc_lo
	v_ashrrev_i32_e32 v5, 31, v0
	v_cmp_le_u32_e32 vcc_lo, s21, v2
	s_delay_alu instid0(VALU_DEP_3) | instskip(NEXT) | instid1(VALU_DEP_3)
	v_add_nc_u32_e32 v6, 1, v4
	v_xor_b32_e32 v5, s26, v5
	s_wait_alu 0xfffd
	s_delay_alu instid0(VALU_DEP_2) | instskip(NEXT) | instid1(VALU_DEP_1)
	v_cndmask_b32_e32 v2, v4, v6, vcc_lo
	v_xor_b32_e32 v6, v2, v5
	v_lshlrev_b32_e32 v2, 1, v5
	s_delay_alu instid0(VALU_DEP_2) | instskip(SKIP_1) | instid1(VALU_DEP_2)
	v_sub_nc_u32_e32 v4, v6, v5
	v_lshlrev_b32_e32 v9, 1, v6
	v_mad_co_u64_u32 v[7:8], null, s27, v4, v[0:1]
	s_delay_alu instid0(VALU_DEP_2) | instskip(SKIP_1) | instid1(VALU_DEP_2)
	v_sub_nc_u32_e32 v8, v9, v2
	v_ashrrev_i32_e32 v2, 31, v1
	v_or_b32_e32 v9, 1, v8
	v_add_nc_u32_e32 v11, 2, v8
	s_wait_kmcnt 0x0
	v_mul_lo_u32 v8, v7, s22
	v_mul_lo_u32 v10, v7, s23
	v_mad_co_u64_u32 v[12:13], null, s2, v9, v[0:1]
	v_mad_co_u64_u32 v[13:14], null, s2, v11, v[0:1]
	v_lshlrev_b64_e32 v[14:15], 2, v[1:2]
	v_ashrrev_i32_e32 v9, 31, v8
	v_ashrrev_i32_e32 v11, 31, v10
	v_mul_lo_u32 v7, v12, s22
	v_mul_lo_u32 v12, v12, s23
	;; [unrolled: 1-line block ×3, first 2 shown]
	v_lshlrev_b64_e32 v[20:21], 2, v[8:9]
	v_mul_lo_u32 v18, v13, s23
	v_lshlrev_b64_e32 v[9:10], 2, v[10:11]
	v_add_co_u32 v14, vcc_lo, s8, v14
	v_ashrrev_i32_e32 v8, 31, v7
	s_wait_alu 0xfffd
	v_add_co_ci_u32_e64 v15, null, s9, v15, vcc_lo
	v_ashrrev_i32_e32 v17, 31, v16
	v_add_co_u32 v20, vcc_lo, s12, v20
	v_ashrrev_i32_e32 v13, 31, v12
	s_wait_alu 0xfffd
	v_add_co_ci_u32_e64 v21, null, s13, v21, vcc_lo
	v_lshlrev_b64_e32 v[7:8], 2, v[7:8]
	v_add_co_u32 v22, vcc_lo, s14, v9
	v_ashrrev_i32_e32 v19, 31, v18
	s_wait_alu 0xfffd
	v_add_co_ci_u32_e64 v23, null, s15, v10, vcc_lo
	v_lshlrev_b64_e32 v[9:10], 2, v[16:17]
	v_lshlrev_b64_e32 v[11:12], 2, v[12:13]
	;; [unrolled: 1-line block ×3, first 2 shown]
	v_add_co_u32 v18, vcc_lo, s12, v7
	s_wait_alu 0xfffd
	v_add_co_ci_u32_e64 v19, null, s13, v8, vcc_lo
	v_add_co_u32 v24, vcc_lo, s12, v9
	s_wait_alu 0xfffd
	v_add_co_ci_u32_e64 v25, null, s13, v10, vcc_lo
	;; [unrolled: 3-line block ×4, first 2 shown]
	s_clause 0x2
	global_load_b32 v8, v[20:21], off
	global_load_b32 v9, v[18:19], off
	global_load_b32 v7, v[24:25], off
	s_clause 0x2
	global_load_b32 v12, v[22:23], off
	global_load_b32 v10, v[10:11], off
	;; [unrolled: 1-line block ×4, first 2 shown]
	s_and_not1_b32 vcc_lo, exec_lo, s20
	s_wait_alu 0xfffe
	s_cbranch_vccnz .LBB36_5
; %bb.4:                                ;   in Loop: Header=BB36_3 Depth=1
	v_sub_nc_u32_e32 v15, v5, v6
	v_mad_co_u64_u32 v[13:14], null, s29, v4, v[0:1]
	s_delay_alu instid0(VALU_DEP_2) | instskip(SKIP_1) | instid1(VALU_DEP_3)
	v_mul_lo_u32 v17, s2, v15
	v_add_nc_u32_e32 v15, 2, v15
	v_mul_lo_u32 v14, v13, s18
	v_mul_lo_u32 v16, v13, s19
	s_delay_alu instid0(VALU_DEP_3) | instskip(SKIP_1) | instid1(VALU_DEP_4)
	v_mad_co_u64_u32 v[18:19], null, s2, v15, v[0:1]
	v_add3_u32 v20, v17, s2, v0
	v_ashrrev_i32_e32 v15, 31, v14
	s_delay_alu instid0(VALU_DEP_2) | instskip(NEXT) | instid1(VALU_DEP_4)
	v_mul_lo_u32 v13, v20, s18
	v_mul_lo_u32 v19, v18, s18
	;; [unrolled: 1-line block ×3, first 2 shown]
	v_ashrrev_i32_e32 v17, 31, v16
	v_lshlrev_b64_e32 v[25:26], 2, v[14:15]
	v_mul_lo_u32 v23, v18, s19
	s_delay_alu instid0(VALU_DEP_3) | instskip(SKIP_4) | instid1(VALU_DEP_4)
	v_lshlrev_b64_e32 v[15:16], 2, v[16:17]
	v_ashrrev_i32_e32 v14, 31, v13
	v_ashrrev_i32_e32 v20, 31, v19
	v_add_co_u32 v17, vcc_lo, s4, v25
	v_ashrrev_i32_e32 v22, 31, v21
	v_lshlrev_b64_e32 v[13:14], 2, v[13:14]
	s_delay_alu instid0(VALU_DEP_4)
	v_lshlrev_b64_e32 v[19:20], 2, v[19:20]
	s_wait_alu 0xfffd
	v_add_co_ci_u32_e64 v18, null, s5, v26, vcc_lo
	v_ashrrev_i32_e32 v24, 31, v23
	v_lshlrev_b64_e32 v[21:22], 2, v[21:22]
	v_add_co_u32 v13, vcc_lo, s4, v13
	s_wait_alu 0xfffd
	v_add_co_ci_u32_e64 v14, null, s5, v14, vcc_lo
	v_add_co_u32 v19, vcc_lo, s4, v19
	s_wait_alu 0xfffd
	v_add_co_ci_u32_e64 v20, null, s5, v20, vcc_lo
	v_add_co_u32 v25, vcc_lo, s6, v15
	s_wait_alu 0xfffd
	v_add_co_ci_u32_e64 v26, null, s7, v16, vcc_lo
	v_lshlrev_b64_e32 v[15:16], 2, v[23:24]
	v_add_co_u32 v21, vcc_lo, s6, v21
	s_wait_alu 0xfffd
	v_add_co_ci_u32_e64 v22, null, s7, v22, vcc_lo
	s_delay_alu instid0(VALU_DEP_3)
	v_add_co_u32 v23, vcc_lo, s6, v15
	s_wait_alu 0xfffd
	v_add_co_ci_u32_e64 v24, null, s7, v16, vcc_lo
	s_clause 0x2
	global_load_b32 v18, v[17:18], off
	global_load_b32 v13, v[13:14], off
	;; [unrolled: 1-line block ×3, first 2 shown]
	s_clause 0x2
	global_load_b32 v17, v[25:26], off
	global_load_b32 v14, v[21:22], off
	;; [unrolled: 1-line block ×3, first 2 shown]
	s_branch .LBB36_6
.LBB36_5:                               ;   in Loop: Header=BB36_3 Depth=1
	v_dual_mov_b32 v13, 0 :: v_dual_mov_b32 v14, 0
	v_dual_mov_b32 v15, 0 :: v_dual_mov_b32 v16, 0
	;; [unrolled: 1-line block ×3, first 2 shown]
.LBB36_6:                               ;   in Loop: Header=BB36_3 Depth=1
	s_wait_loadcnt 0x3
	v_add_f32_e32 v8, v8, v12
	s_delay_alu instid0(VALU_DEP_1) | instskip(SKIP_1) | instid1(VALU_DEP_1)
	v_add_f32_e32 v8, v8, v18
	s_wait_loadcnt 0x2
	v_add_f32_e32 v8, v17, v8
	s_delay_alu instid0(VALU_DEP_1) | instskip(SKIP_1) | instid1(VALU_DEP_2)
	v_mul_f32_e32 v12, 0xbfb8aa3b, v8
	v_cmp_nlt_f32_e32 vcc_lo, 0x42ce8ed0, v8
	v_fma_f32 v17, 0xbfb8aa3b, v8, -v12
	v_rndne_f32_e32 v18, v12
	s_delay_alu instid0(VALU_DEP_1) | instskip(NEXT) | instid1(VALU_DEP_1)
	v_dual_fmac_f32 v17, 0xb2a5705f, v8 :: v_dual_sub_f32 v12, v12, v18
	v_add_f32_e32 v12, v12, v17
	v_cvt_i32_f32_e32 v17, v18
	s_delay_alu instid0(VALU_DEP_2) | instskip(NEXT) | instid1(TRANS32_DEP_1)
	v_exp_f32_e32 v12, v12
	v_ldexp_f32 v12, v12, v17
	s_wait_alu 0xfffd
	s_delay_alu instid0(VALU_DEP_1) | instskip(SKIP_2) | instid1(VALU_DEP_2)
	v_cndmask_b32_e32 v12, 0, v12, vcc_lo
	v_cmp_ngt_f32_e32 vcc_lo, 0xc2b17218, v8
	s_wait_alu 0xfffd
	v_cndmask_b32_e32 v8, 0x7f800000, v12, vcc_lo
	s_delay_alu instid0(VALU_DEP_1) | instskip(NEXT) | instid1(VALU_DEP_1)
	v_add_f32_e32 v8, 1.0, v8
	v_div_scale_f32 v12, null, v8, v8, 1.0
	v_div_scale_f32 v19, vcc_lo, 1.0, v8, 1.0
	s_delay_alu instid0(VALU_DEP_2) | instskip(NEXT) | instid1(TRANS32_DEP_1)
	v_rcp_f32_e32 v17, v12
	v_fma_f32 v18, -v12, v17, 1.0
	s_delay_alu instid0(VALU_DEP_1) | instskip(NEXT) | instid1(VALU_DEP_1)
	v_fmac_f32_e32 v17, v18, v17
	v_mul_f32_e32 v18, v19, v17
	s_delay_alu instid0(VALU_DEP_1) | instskip(NEXT) | instid1(VALU_DEP_1)
	v_fma_f32 v20, -v12, v18, v19
	v_fmac_f32_e32 v18, v20, v17
	s_delay_alu instid0(VALU_DEP_1) | instskip(SKIP_1) | instid1(VALU_DEP_1)
	v_fma_f32 v12, -v12, v18, v19
	s_wait_alu 0xfffd
	v_div_fmas_f32 v17, v12, v17, v18
	v_add_f32_e32 v12, v7, v15
	s_wait_loadcnt 0x0
	v_add_f32_e32 v7, v11, v16
                                        ; implicit-def: $vgpr11
	s_delay_alu instid0(VALU_DEP_3) | instskip(NEXT) | instid1(VALU_DEP_1)
	v_div_fixup_f32 v8, v17, v8, 1.0
	v_fmac_f32_e32 v12, v7, v8
	s_delay_alu instid0(VALU_DEP_1)
	v_cmp_ngt_f32_e64 s0, 0x3f200000, |v12|
	s_and_saveexec_b32 s35, s0
	s_wait_alu 0xfffe
	s_xor_b32 s0, exec_lo, s35
	s_cbranch_execz .LBB36_8
; %bb.7:                                ;   in Loop: Header=BB36_3 Depth=1
	v_add_f32_e64 v11, |v12|, |v12|
	s_delay_alu instid0(VALU_DEP_1) | instskip(SKIP_1) | instid1(VALU_DEP_2)
	v_mul_f32_e32 v15, 0x3fb8aa3b, v11
	v_cmp_ngt_f32_e32 vcc_lo, 0xc2ce8ed0, v11
	v_rndne_f32_e32 v16, v15
	v_fma_f32 v17, 0x3fb8aa3b, v11, -v15
	s_delay_alu instid0(VALU_DEP_2) | instskip(NEXT) | instid1(VALU_DEP_2)
	v_sub_f32_e32 v15, v15, v16
	v_fmac_f32_e32 v17, 0x32a5705f, v11
	v_cvt_i32_f32_e32 v16, v16
	s_delay_alu instid0(VALU_DEP_2) | instskip(NEXT) | instid1(VALU_DEP_1)
	v_add_f32_e32 v15, v15, v17
	v_exp_f32_e32 v15, v15
	s_delay_alu instid0(TRANS32_DEP_1) | instskip(SKIP_1) | instid1(VALU_DEP_1)
	v_ldexp_f32 v15, v15, v16
	s_wait_alu 0xfffd
	v_cndmask_b32_e32 v15, 0, v15, vcc_lo
	v_cmp_nlt_f32_e32 vcc_lo, 0x42b17218, v11
	s_wait_alu 0xfffd
	s_delay_alu instid0(VALU_DEP_2) | instskip(NEXT) | instid1(VALU_DEP_1)
	v_cndmask_b32_e32 v11, 0x7f800000, v15, vcc_lo
	v_add_f32_e32 v11, 1.0, v11
	s_delay_alu instid0(VALU_DEP_1) | instskip(NEXT) | instid1(TRANS32_DEP_1)
	v_rcp_f32_e32 v11, v11
	v_fma_f32 v11, v11, -2.0, 1.0
.LBB36_8:                               ;   in Loop: Header=BB36_3 Depth=1
	s_wait_alu 0xfffe
	s_and_not1_saveexec_b32 s0, s0
	s_cbranch_execz .LBB36_2
; %bb.9:                                ;   in Loop: Header=BB36_3 Depth=1
	v_mul_f32_e32 v11, v12, v12
	s_delay_alu instid0(VALU_DEP_1) | instskip(NEXT) | instid1(VALU_DEP_1)
	v_fmaak_f32 v15, s34, v11, 0x3ca908c9
	v_fmaak_f32 v15, v11, v15, 0xbd5c1c4e
	s_delay_alu instid0(VALU_DEP_1) | instskip(NEXT) | instid1(VALU_DEP_1)
	v_fmaak_f32 v15, v11, v15, 0x3e088382
	v_fmaak_f32 v15, v11, v15, 0xbeaaaa99
	s_delay_alu instid0(VALU_DEP_1) | instskip(NEXT) | instid1(VALU_DEP_1)
	v_mul_f32_e64 v15, |v12|, v15
	v_fma_f32 v11, v11, v15, |v12|
	s_branch .LBB36_2
.LBB36_10:
	s_endpgm
	.section	.rodata,"a",@progbits
	.p2align	6, 0x0
	.amdhsa_kernel _ZN2at6native12_GLOBAL__N_16kernel16gru_cell_forwardIffiLi1EEEvNS_4cuda6detail10TensorInfoIT_T1_EES9_S9_S9_S9_S9_S9_S8_S8_
		.amdhsa_group_segment_fixed_size 0
		.amdhsa_private_segment_fixed_size 0
		.amdhsa_kernarg_size 1776
		.amdhsa_user_sgpr_count 2
		.amdhsa_user_sgpr_dispatch_ptr 0
		.amdhsa_user_sgpr_queue_ptr 0
		.amdhsa_user_sgpr_kernarg_segment_ptr 1
		.amdhsa_user_sgpr_dispatch_id 0
		.amdhsa_user_sgpr_private_segment_size 0
		.amdhsa_wavefront_size32 1
		.amdhsa_uses_dynamic_stack 0
		.amdhsa_enable_private_segment 0
		.amdhsa_system_sgpr_workgroup_id_x 1
		.amdhsa_system_sgpr_workgroup_id_y 0
		.amdhsa_system_sgpr_workgroup_id_z 0
		.amdhsa_system_sgpr_workgroup_info 0
		.amdhsa_system_vgpr_workitem_id 0
		.amdhsa_next_free_vgpr 27
		.amdhsa_next_free_sgpr 36
		.amdhsa_reserve_vcc 1
		.amdhsa_float_round_mode_32 0
		.amdhsa_float_round_mode_16_64 0
		.amdhsa_float_denorm_mode_32 3
		.amdhsa_float_denorm_mode_16_64 3
		.amdhsa_fp16_overflow 0
		.amdhsa_workgroup_processor_mode 1
		.amdhsa_memory_ordered 1
		.amdhsa_forward_progress 1
		.amdhsa_inst_pref_size 19
		.amdhsa_round_robin_scheduling 0
		.amdhsa_exception_fp_ieee_invalid_op 0
		.amdhsa_exception_fp_denorm_src 0
		.amdhsa_exception_fp_ieee_div_zero 0
		.amdhsa_exception_fp_ieee_overflow 0
		.amdhsa_exception_fp_ieee_underflow 0
		.amdhsa_exception_fp_ieee_inexact 0
		.amdhsa_exception_int_div_zero 0
	.end_amdhsa_kernel
	.section	.text._ZN2at6native12_GLOBAL__N_16kernel16gru_cell_forwardIffiLi1EEEvNS_4cuda6detail10TensorInfoIT_T1_EES9_S9_S9_S9_S9_S9_S8_S8_,"axG",@progbits,_ZN2at6native12_GLOBAL__N_16kernel16gru_cell_forwardIffiLi1EEEvNS_4cuda6detail10TensorInfoIT_T1_EES9_S9_S9_S9_S9_S9_S8_S8_,comdat
.Lfunc_end36:
	.size	_ZN2at6native12_GLOBAL__N_16kernel16gru_cell_forwardIffiLi1EEEvNS_4cuda6detail10TensorInfoIT_T1_EES9_S9_S9_S9_S9_S9_S8_S8_, .Lfunc_end36-_ZN2at6native12_GLOBAL__N_16kernel16gru_cell_forwardIffiLi1EEEvNS_4cuda6detail10TensorInfoIT_T1_EES9_S9_S9_S9_S9_S9_S8_S8_
                                        ; -- End function
	.set _ZN2at6native12_GLOBAL__N_16kernel16gru_cell_forwardIffiLi1EEEvNS_4cuda6detail10TensorInfoIT_T1_EES9_S9_S9_S9_S9_S9_S8_S8_.num_vgpr, 27
	.set _ZN2at6native12_GLOBAL__N_16kernel16gru_cell_forwardIffiLi1EEEvNS_4cuda6detail10TensorInfoIT_T1_EES9_S9_S9_S9_S9_S9_S8_S8_.num_agpr, 0
	.set _ZN2at6native12_GLOBAL__N_16kernel16gru_cell_forwardIffiLi1EEEvNS_4cuda6detail10TensorInfoIT_T1_EES9_S9_S9_S9_S9_S9_S8_S8_.numbered_sgpr, 36
	.set _ZN2at6native12_GLOBAL__N_16kernel16gru_cell_forwardIffiLi1EEEvNS_4cuda6detail10TensorInfoIT_T1_EES9_S9_S9_S9_S9_S9_S8_S8_.num_named_barrier, 0
	.set _ZN2at6native12_GLOBAL__N_16kernel16gru_cell_forwardIffiLi1EEEvNS_4cuda6detail10TensorInfoIT_T1_EES9_S9_S9_S9_S9_S9_S8_S8_.private_seg_size, 0
	.set _ZN2at6native12_GLOBAL__N_16kernel16gru_cell_forwardIffiLi1EEEvNS_4cuda6detail10TensorInfoIT_T1_EES9_S9_S9_S9_S9_S9_S8_S8_.uses_vcc, 1
	.set _ZN2at6native12_GLOBAL__N_16kernel16gru_cell_forwardIffiLi1EEEvNS_4cuda6detail10TensorInfoIT_T1_EES9_S9_S9_S9_S9_S9_S8_S8_.uses_flat_scratch, 0
	.set _ZN2at6native12_GLOBAL__N_16kernel16gru_cell_forwardIffiLi1EEEvNS_4cuda6detail10TensorInfoIT_T1_EES9_S9_S9_S9_S9_S9_S8_S8_.has_dyn_sized_stack, 0
	.set _ZN2at6native12_GLOBAL__N_16kernel16gru_cell_forwardIffiLi1EEEvNS_4cuda6detail10TensorInfoIT_T1_EES9_S9_S9_S9_S9_S9_S8_S8_.has_recursion, 0
	.set _ZN2at6native12_GLOBAL__N_16kernel16gru_cell_forwardIffiLi1EEEvNS_4cuda6detail10TensorInfoIT_T1_EES9_S9_S9_S9_S9_S9_S8_S8_.has_indirect_call, 0
	.section	.AMDGPU.csdata,"",@progbits
; Kernel info:
; codeLenInByte = 2384
; TotalNumSgprs: 38
; NumVgprs: 27
; ScratchSize: 0
; MemoryBound: 0
; FloatMode: 240
; IeeeMode: 1
; LDSByteSize: 0 bytes/workgroup (compile time only)
; SGPRBlocks: 0
; VGPRBlocks: 3
; NumSGPRsForWavesPerEU: 38
; NumVGPRsForWavesPerEU: 27
; Occupancy: 16
; WaveLimiterHint : 1
; COMPUTE_PGM_RSRC2:SCRATCH_EN: 0
; COMPUTE_PGM_RSRC2:USER_SGPR: 2
; COMPUTE_PGM_RSRC2:TRAP_HANDLER: 0
; COMPUTE_PGM_RSRC2:TGID_X_EN: 1
; COMPUTE_PGM_RSRC2:TGID_Y_EN: 0
; COMPUTE_PGM_RSRC2:TGID_Z_EN: 0
; COMPUTE_PGM_RSRC2:TIDIG_COMP_CNT: 0
	.section	.text._ZN2at6native12_GLOBAL__N_16kernel16gru_cell_forwardIffiLi2EEEvNS_4cuda6detail10TensorInfoIT_T1_EES9_S9_S9_S9_S9_S9_S8_S8_,"axG",@progbits,_ZN2at6native12_GLOBAL__N_16kernel16gru_cell_forwardIffiLi2EEEvNS_4cuda6detail10TensorInfoIT_T1_EES9_S9_S9_S9_S9_S9_S8_S8_,comdat
	.globl	_ZN2at6native12_GLOBAL__N_16kernel16gru_cell_forwardIffiLi2EEEvNS_4cuda6detail10TensorInfoIT_T1_EES9_S9_S9_S9_S9_S9_S8_S8_ ; -- Begin function _ZN2at6native12_GLOBAL__N_16kernel16gru_cell_forwardIffiLi2EEEvNS_4cuda6detail10TensorInfoIT_T1_EES9_S9_S9_S9_S9_S9_S8_S8_
	.p2align	8
	.type	_ZN2at6native12_GLOBAL__N_16kernel16gru_cell_forwardIffiLi2EEEvNS_4cuda6detail10TensorInfoIT_T1_EES9_S9_S9_S9_S9_S9_S8_S8_,@function
_ZN2at6native12_GLOBAL__N_16kernel16gru_cell_forwardIffiLi2EEEvNS_4cuda6detail10TensorInfoIT_T1_EES9_S9_S9_S9_S9_S9_S8_S8_: ; @_ZN2at6native12_GLOBAL__N_16kernel16gru_cell_forwardIffiLi2EEEvNS_4cuda6detail10TensorInfoIT_T1_EES9_S9_S9_S9_S9_S9_S8_S8_
; %bb.0:
	s_clause 0x1
	s_load_b32 s2, s[0:1], 0x5fc
	s_load_b64 s[4:5], s[0:1], 0x5e8
	s_mov_b32 s3, exec_lo
	s_wait_kmcnt 0x0
	s_and_b32 s2, s2, 0xffff
	s_delay_alu instid0(SALU_CYCLE_1) | instskip(NEXT) | instid1(VALU_DEP_1)
	v_mad_co_u64_u32 v[0:1], null, ttmp9, s2, v[0:1]
	v_cmpx_gt_i32_e64 s5, v0
	s_cbranch_execz .LBB37_9
; %bb.1:
	s_clause 0x1
	s_load_b64 s[6:7], s[0:1], 0x1b0
	s_load_b32 s3, s[0:1], 0xc
	s_add_nc_u64 s[16:17], s[0:1], 0x5f0
	s_clause 0x5
	s_load_b32 s30, s[0:1], 0xe4
	s_load_b64 s[8:9], s[0:1], 0x0
	s_load_b64 s[10:11], s[0:1], 0x6c
	;; [unrolled: 1-line block ×4, first 2 shown]
	s_load_b32 s31, s[0:1], 0x21c
	s_load_b32 s40, s[16:17], 0x0
	s_clause 0x7
	s_load_b64 s[16:17], s[0:1], 0x288
	s_load_b32 s33, s[0:1], 0x2f4
	s_load_b64 s[18:19], s[0:1], 0x360
	s_load_b32 s59, s[0:1], 0x36c
	s_load_b32 s60, s[0:1], 0x444
	s_load_b64 s[20:21], s[0:1], 0x3cc
	s_load_b64 s[22:23], s[0:1], 0x438
	;; [unrolled: 1-line block ×3, first 2 shown]
	s_mov_b32 s39, 0
	s_mov_b32 s61, 0xbbbac73d
	s_wait_kmcnt 0x0
	s_mul_i32 s40, s40, s2
	s_cmp_lg_u64 s[6:7], 0
	s_cselect_b32 s34, -1, 0
	s_abs_i32 s35, s4
	s_abs_i32 s36, s3
	s_cvt_f32_u32 s26, s35
	s_cvt_f32_u32 s27, s36
	s_abs_i32 s37, s30
	s_abs_i32 s43, s59
	v_rcp_iflag_f32_e32 v1, s26
	v_rcp_iflag_f32_e32 v2, s27
	s_clause 0x2
	s_load_b64 s[26:27], s[0:1], 0x510
	s_load_b32 s38, s[0:1], 0x51c
	s_load_b64 s[28:29], s[0:1], 0x57c
	s_cvt_f32_u32 s0, s37
	s_cvt_f32_u32 s45, s43
	s_sub_co_i32 s2, 0, s35
	s_sub_co_i32 s47, 0, s36
	s_wait_alu 0xfffe
	v_rcp_iflag_f32_e32 v3, s0
	s_abs_i32 s44, s60
	s_sub_co_i32 s50, 0, s43
	v_readfirstlane_b32 s0, v1
	v_readfirstlane_b32 s1, v2
	v_rcp_iflag_f32_e32 v1, s45
	s_ashr_i32 s41, s4, 31
	s_ashr_i32 s42, s3, 31
	s_mul_f32 s0, s0, 0x4f7ffffe
	s_mul_f32 s1, s1, 0x4f7ffffe
	v_readfirstlane_b32 s46, v3
	s_lshl_b32 s56, s4, 1
	s_wait_alu 0xfffe
	s_cvt_u32_f32 s0, s0
	s_cvt_u32_f32 s1, s1
	s_lshl_b32 s57, s4, 2
	s_mul_f32 s48, s46, 0x4f7ffffe
	s_wait_alu 0xfffe
	s_mul_i32 s2, s2, s0
	s_mul_i32 s47, s47, s1
	s_wait_alu 0xfffe
	s_mul_hi_u32 s2, s0, s2
	s_mul_hi_u32 s46, s1, s47
	s_wait_alu 0xfffe
	s_add_co_i32 s45, s0, s2
	s_cvt_f32_u32 s0, s44
	s_wait_kmcnt 0x0
	s_abs_i32 s47, s38
	s_add_co_i32 s46, s1, s46
	s_cvt_f32_u32 s2, s47
	v_readfirstlane_b32 s1, v1
	s_wait_alu 0xfffe
	v_rcp_iflag_f32_e32 v1, s0
	s_cvt_u32_f32 s0, s48
	v_rcp_iflag_f32_e32 v2, s2
	s_sub_co_i32 s48, 0, s37
	s_mul_f32 s1, s1, 0x4f7ffffe
	s_wait_alu 0xfffe
	s_mul_i32 s2, s48, s0
	s_sub_co_i32 s53, 0, s47
	s_wait_alu 0xfffe
	s_mul_hi_u32 s2, s0, s2
	s_cvt_u32_f32 s1, s1
	s_wait_alu 0xfffe
	s_add_co_i32 s49, s0, s2
	v_readfirstlane_b32 s51, v1
	s_ashr_i32 s48, s30, 31
	v_readfirstlane_b32 s0, v2
	s_mul_i32 s50, s50, s1
	s_sub_co_i32 s58, 0, s4
	s_mul_f32 s52, s51, 0x4f7ffffe
	s_mul_hi_u32 s2, s1, s50
	s_mul_f32 s0, s0, 0x4f7ffffe
	s_wait_alu 0xfffe
	s_add_co_i32 s51, s1, s2
	s_cvt_u32_f32 s1, s52
	s_sub_co_i32 s2, 0, s44
	s_cvt_u32_f32 s0, s0
	s_ashr_i32 s50, s59, 31
	s_wait_alu 0xfffe
	s_mul_i32 s2, s2, s1
	s_ashr_i32 s52, s60, 31
	s_wait_alu 0xfffe
	s_mul_hi_u32 s2, s1, s2
	s_mul_i32 s54, s53, s0
	s_wait_alu 0xfffe
	s_add_co_i32 s53, s1, s2
	s_mul_hi_u32 s1, s0, s54
	s_ashr_i32 s54, s38, 31
	s_wait_alu 0xfffe
	s_add_co_i32 s55, s0, s1
	s_sub_co_i32 s59, 0, s59
	s_sub_co_i32 s60, 0, s60
	s_branch .LBB37_3
.LBB37_2:                               ;   in Loop: Header=BB37_3 Depth=1
	s_wait_alu 0xfffe
	s_or_b32 exec_lo, exec_lo, s0
	v_add_f32_e32 v11, v11, v12
	v_mul_hi_u32 v12, v1, s53
	v_lshlrev_b32_e32 v5, 2, v5
	v_lshlrev_b32_e32 v4, 2, v4
	v_mul_lo_u32 v9, s57, v9
	v_add_f32_e32 v11, v11, v13
	v_xor_b32_e32 v2, s52, v2
	s_delay_alu instid0(VALU_DEP_4) | instskip(SKIP_1) | instid1(VALU_DEP_4)
	v_sub_nc_u32_e32 v4, v5, v4
	v_mul_lo_u32 v13, v12, s44
	v_dual_add_f32 v5, v11, v14 :: v_dual_add_nc_u32 v14, 1, v12
	s_delay_alu instid0(VALU_DEP_3) | instskip(SKIP_1) | instid1(VALU_DEP_3)
	v_or_b32_e32 v15, 1, v4
	v_or_b32_e32 v17, 2, v4
	v_mul_f32_e32 v16, 0xbfb8aa3b, v5
	v_or_b32_e32 v18, 3, v4
	v_sub_nc_u32_e32 v1, v1, v13
	v_mul_lo_u32 v15, s4, v15
	v_mul_lo_u32 v17, s4, v17
	v_fma_f32 v19, 0xbfb8aa3b, v5, -v16
	v_rndne_f32_e32 v20, v16
	v_add_nc_u32_e32 v4, 4, v4
	v_cmp_le_u32_e32 vcc_lo, s44, v1
	v_mul_lo_u32 v18, s4, v18
	s_delay_alu instid0(VALU_DEP_4)
	v_dual_fmac_f32 v19, 0xb2a5705f, v5 :: v_dual_sub_f32 v16, v16, v20
	v_cvt_i32_f32_e32 v20, v20
	s_wait_alu 0xfffd
	v_cndmask_b32_e32 v12, v12, v14, vcc_lo
	v_subrev_nc_u32_e32 v14, s44, v1
	v_mul_lo_u32 v13, s4, v4
	v_add_f32_e32 v16, v16, v19
	v_add_nc_u32_e32 v19, v0, v15
	s_delay_alu instid0(VALU_DEP_4) | instskip(SKIP_1) | instid1(VALU_DEP_4)
	v_cndmask_b32_e32 v1, v1, v14, vcc_lo
	v_cmp_nlt_f32_e32 vcc_lo, 0x42ce8ed0, v5
	v_exp_f32_e32 v16, v16
	v_add_nc_u32_e32 v14, 1, v12
	v_ashrrev_i32_e32 v19, 31, v19
	v_add_nc_u32_e32 v23, v0, v13
	s_delay_alu instid0(TRANS32_DEP_1) | instskip(SKIP_1) | instid1(VALU_DEP_1)
	v_ldexp_f32 v16, v16, v20
	s_wait_alu 0xfffd
	v_dual_cndmask_b32 v16, 0, v16 :: v_dual_add_nc_u32 v11, v0, v9
	s_delay_alu instid0(VALU_DEP_1) | instskip(SKIP_1) | instid1(VALU_DEP_2)
	v_ashrrev_i32_e32 v11, 31, v11
	v_cmp_le_u32_e32 vcc_lo, s44, v1
	v_add3_u32 v21, v11, v9, v0
	v_xor_b32_e32 v4, s54, v11
	s_delay_alu instid0(VALU_DEP_2) | instskip(SKIP_1) | instid1(VALU_DEP_2)
	v_xor_b32_e32 v11, v21, v11
	v_add_nc_u32_e32 v21, v0, v17
	v_mul_hi_u32 v24, v11, s55
	s_wait_alu 0xfffd
	v_cndmask_b32_e32 v1, v12, v14, vcc_lo
	v_cmp_ngt_f32_e32 vcc_lo, 0xc2b17218, v5
	v_add_nc_u32_e32 v22, v0, v18
	v_add3_u32 v14, v19, v15, v0
	v_xor_b32_e32 v12, s54, v19
	v_ashrrev_i32_e32 v20, 31, v21
	s_wait_alu 0xfffd
	v_cndmask_b32_e32 v5, 0x7f800000, v16, vcc_lo
	v_mul_lo_u32 v25, v24, s47
	v_add_nc_u32_e32 v26, 1, v24
	v_xor_b32_e32 v1, v1, v2
	v_xor_b32_e32 v14, v14, v19
	v_add_f32_e32 v5, 1.0, v5
	v_add3_u32 v16, v20, v17, v0
	v_ashrrev_i32_e32 v21, 31, v22
	v_sub_nc_u32_e32 v27, v1, v2
	v_sub_nc_u32_e32 v11, v11, v25
	v_div_scale_f32 v19, null, v5, v5, 1.0
	v_mul_hi_u32 v28, v14, s55
	s_delay_alu instid0(VALU_DEP_4) | instskip(NEXT) | instid1(VALU_DEP_3)
	v_mad_co_u64_u32 v[1:2], null, s60, v27, v[0:1]
	v_rcp_f32_e32 v25, v19
	v_cmp_le_u32_e32 vcc_lo, s47, v11
	v_xor_b32_e32 v16, v16, v20
	v_ashrrev_i32_e32 v22, 31, v23
	v_add3_u32 v23, v21, v18, v0
	v_xor_b32_e32 v20, s54, v20
	s_wait_alu 0xfffd
	v_cndmask_b32_e32 v2, v24, v26, vcc_lo
	v_subrev_nc_u32_e32 v24, s47, v11
	v_mul_lo_u32 v26, v28, s47
	v_mul_hi_u32 v29, v16, s55
	v_fma_f32 v31, -v19, v25, 1.0
	v_mul_lo_u32 v1, v1, s25
	v_dual_cndmask_b32 v11, v11, v24 :: v_dual_add_nc_u32 v24, 1, v2
	v_div_scale_f32 v32, vcc_lo, 1.0, v5, 1.0
	s_delay_alu instid0(VALU_DEP_4) | instskip(NEXT) | instid1(VALU_DEP_3)
	v_fmac_f32_e32 v25, v31, v25
	v_cmp_le_u32_e64 s0, s47, v11
	v_sub_nc_u32_e32 v14, v14, v26
	v_mul_lo_u32 v31, v29, s47
	v_xor_b32_e32 v23, v23, v21
	v_xor_b32_e32 v21, s54, v21
	s_wait_alu 0xf1ff
	v_cndmask_b32_e64 v11, v2, v24, s0
	v_mul_f32_e32 v24, v32, v25
	v_mad_co_u64_u32 v[1:2], null, v27, s24, v[1:2]
	v_cmp_le_u32_e64 s0, s47, v14
	v_sub_nc_u32_e32 v16, v16, v31
	s_delay_alu instid0(VALU_DEP_4) | instskip(SKIP_3) | instid1(VALU_DEP_4)
	v_fma_f32 v26, -v19, v24, v32
	v_xor_b32_e32 v2, v11, v4
	v_subrev_nc_u32_e32 v11, s47, v14
	v_add3_u32 v31, v22, v13, v0
	v_fmac_f32_e32 v24, v26, v25
	v_add_nc_u32_e32 v26, 1, v29
	s_delay_alu instid0(VALU_DEP_2) | instskip(SKIP_1) | instid1(VALU_DEP_1)
	v_fma_f32 v19, -v19, v24, v32
	s_wait_alu 0xfffd
	v_div_fmas_f32 v19, v19, v25, v24
	v_cmp_le_u32_e32 vcc_lo, s47, v16
	s_delay_alu instid0(VALU_DEP_2) | instskip(SKIP_2) | instid1(VALU_DEP_1)
	v_div_fixup_f32 v19, v19, v5, 1.0
	v_subrev_nc_u32_e32 v5, s47, v16
	s_wait_alu 0xfffd
	v_dual_cndmask_b32 v5, v16, v5 :: v_dual_add_nc_u32 v30, 1, v28
	s_wait_alu 0xf1ff
	s_delay_alu instid0(VALU_DEP_1)
	v_cndmask_b32_e64 v27, v28, v30, s0
	v_sub_nc_u32_e32 v28, v2, v4
	v_cndmask_b32_e64 v4, v14, v11, s0
	v_mul_hi_u32 v30, v23, s55
	v_ashrrev_i32_e32 v2, 31, v1
	v_add_nc_u32_e32 v11, 1, v27
	v_mul_lo_u32 v14, v28, s38
	v_cmp_le_u32_e64 s0, s47, v4
	s_delay_alu instid0(VALU_DEP_4) | instskip(SKIP_2) | instid1(VALU_DEP_3)
	v_lshlrev_b64_e32 v[1:2], 2, v[1:2]
	v_mul_lo_u32 v16, v30, s47
	s_wait_alu 0xf1ff
	v_cndmask_b32_e64 v4, v27, v11, s0
	v_xor_b32_e32 v11, v31, v22
	v_sub_nc_u32_e32 v9, v9, v14
	v_cndmask_b32_e32 v14, v29, v26, vcc_lo
	v_cmp_le_u32_e32 vcc_lo, s47, v5
	v_xor_b32_e32 v4, v4, v12
	v_mul_hi_u32 v24, v11, s55
	v_add_nc_u32_e32 v9, v0, v9
	v_add_nc_u32_e32 v25, 1, v14
	v_xor_b32_e32 v22, s54, v22
	v_sub_nc_u32_e32 v12, v4, v12
	s_delay_alu instid0(VALU_DEP_4)
	v_mul_lo_u32 v4, v9, s29
	s_wait_alu 0xfffd
	v_cndmask_b32_e32 v5, v14, v25, vcc_lo
	v_sub_nc_u32_e32 v14, v23, v16
	v_mul_lo_u32 v16, v24, s47
	v_mul_lo_u32 v23, v12, s38
	s_delay_alu instid0(VALU_DEP_4) | instskip(NEXT) | instid1(VALU_DEP_4)
	v_xor_b32_e32 v5, v5, v20
	v_subrev_nc_u32_e32 v25, s47, v14
	v_cmp_le_u32_e32 vcc_lo, s47, v14
	v_add_nc_u32_e32 v9, 1, v30
	v_sub_nc_u32_e32 v11, v11, v16
	v_add_nc_u32_e32 v16, 1, v24
	s_wait_alu 0xfffd
	v_cndmask_b32_e32 v14, v14, v25, vcc_lo
	v_cndmask_b32_e32 v9, v30, v9, vcc_lo
	v_sub_nc_u32_e32 v15, v15, v23
	v_cmp_le_u32_e32 vcc_lo, s47, v11
	s_delay_alu instid0(VALU_DEP_4) | instskip(NEXT) | instid1(VALU_DEP_4)
	v_cmp_le_u32_e64 s0, s47, v14
	v_add_nc_u32_e32 v25, 1, v9
	v_sub_nc_u32_e32 v14, v5, v20
	s_wait_alu 0xfffd
	v_cndmask_b32_e32 v16, v24, v16, vcc_lo
	v_subrev_nc_u32_e32 v24, s47, v11
	s_wait_alu 0xf1ff
	v_cndmask_b32_e64 v9, v9, v25, s0
	v_mul_lo_u32 v20, v14, s38
	s_delay_alu instid0(VALU_DEP_3) | instskip(SKIP_1) | instid1(VALU_DEP_4)
	v_cndmask_b32_e32 v5, v11, v24, vcc_lo
	v_add_nc_u32_e32 v11, 1, v16
	v_xor_b32_e32 v9, v9, v21
	s_delay_alu instid0(VALU_DEP_3)
	v_cmp_le_u32_e32 vcc_lo, s47, v5
	v_mad_co_u64_u32 v[4:5], null, v28, s28, v[4:5]
	s_wait_alu 0xfffd
	v_cndmask_b32_e32 v11, v16, v11, vcc_lo
	v_sub_nc_u32_e32 v16, v9, v21
	v_bfi_b32 v21, 0x7fffffff, v10, v8
	v_sub_nc_u32_e32 v10, v17, v20
	v_add_nc_u32_e32 v8, v0, v15
	v_xor_b32_e32 v5, v11, v22
	v_mul_lo_u32 v9, v16, s38
	s_delay_alu instid0(VALU_DEP_4) | instskip(NEXT) | instid1(VALU_DEP_4)
	v_dual_sub_f32 v11, v3, v21 :: v_dual_add_nc_u32 v10, v0, v10
	v_mul_lo_u32 v8, v8, s29
	s_delay_alu instid0(VALU_DEP_4) | instskip(SKIP_1) | instid1(VALU_DEP_4)
	v_sub_nc_u32_e32 v15, v5, v22
	v_ashrrev_i32_e32 v5, 31, v4
	v_fma_f32 v20, v19, v11, v21
	v_add_co_u32 v1, vcc_lo, s22, v1
	v_sub_nc_u32_e32 v17, v18, v9
	v_mul_lo_u32 v9, v10, s29
	v_mul_lo_u32 v18, v15, s38
	v_lshlrev_b64_e32 v[4:5], 2, v[4:5]
	s_wait_alu 0xfffd
	v_add_co_ci_u32_e64 v2, null, s23, v2, vcc_lo
	v_add_nc_u32_e32 v17, v0, v17
	v_mad_co_u64_u32 v[10:11], null, v12, s28, v[8:9]
	v_sub_nc_u32_e32 v13, v13, v18
	v_add_co_u32 v4, vcc_lo, s26, v4
	s_wait_alu 0xfffd
	v_add_co_ci_u32_e64 v5, null, s27, v5, vcc_lo
	s_delay_alu instid0(VALU_DEP_3)
	v_add_nc_u32_e32 v12, v0, v13
	v_mad_co_u64_u32 v[8:9], null, v14, s28, v[9:10]
	v_mul_lo_u32 v9, v17, s29
	global_store_b32 v[1:2], v20, off
	v_mul_lo_u32 v12, v12, s29
	global_store_b32 v[4:5], v7, off
	v_ashrrev_i32_e32 v11, 31, v10
	v_add_nc_u32_e32 v0, s40, v0
	v_mad_co_u64_u32 v[13:14], null, v16, s28, v[9:10]
	v_ashrrev_i32_e32 v9, 31, v8
	s_delay_alu instid0(VALU_DEP_4) | instskip(NEXT) | instid1(VALU_DEP_2)
	v_lshlrev_b64_e32 v[1:2], 2, v[10:11]
	v_lshlrev_b64_e32 v[7:8], 2, v[8:9]
	s_delay_alu instid0(VALU_DEP_4) | instskip(SKIP_1) | instid1(VALU_DEP_4)
	v_mad_co_u64_u32 v[4:5], null, v15, s28, v[12:13]
	v_ashrrev_i32_e32 v14, 31, v13
	v_add_co_u32 v1, vcc_lo, s26, v1
	s_wait_alu 0xfffd
	v_add_co_ci_u32_e64 v2, null, s27, v2, vcc_lo
	s_delay_alu instid0(VALU_DEP_3) | instskip(SKIP_4) | instid1(VALU_DEP_3)
	v_lshlrev_b64_e32 v[9:10], 2, v[13:14]
	v_ashrrev_i32_e32 v5, 31, v4
	v_add_co_u32 v7, vcc_lo, s26, v7
	s_wait_alu 0xfffd
	v_add_co_ci_u32_e64 v8, null, s27, v8, vcc_lo
	v_lshlrev_b64_e32 v[4:5], 2, v[4:5]
	v_add_co_u32 v9, vcc_lo, s26, v9
	s_wait_alu 0xfffd
	v_add_co_ci_u32_e64 v10, null, s27, v10, vcc_lo
	v_cmp_le_i32_e32 vcc_lo, s5, v0
	s_delay_alu instid0(VALU_DEP_4)
	v_add_co_u32 v4, s0, s26, v4
	s_wait_alu 0xf1ff
	v_add_co_ci_u32_e64 v5, null, s27, v5, s0
	s_or_b32 s39, vcc_lo, s39
	s_clause 0x3
	global_store_b32 v[1:2], v19, off
	global_store_b32 v[7:8], v21, off
	;; [unrolled: 1-line block ×4, first 2 shown]
	s_wait_alu 0xfffe
	s_and_not1_b32 exec_lo, exec_lo, s39
	s_cbranch_execz .LBB37_9
.LBB37_3:                               ; =>This Inner Loop Header: Depth=1
	v_sub_nc_u32_e32 v1, 0, v0
	s_delay_alu instid0(VALU_DEP_1) | instskip(NEXT) | instid1(VALU_DEP_1)
	v_max_i32_e32 v1, v0, v1
	v_mul_hi_u32 v2, v1, s45
	v_mul_hi_u32 v7, v1, s51
	s_delay_alu instid0(VALU_DEP_2) | instskip(NEXT) | instid1(VALU_DEP_2)
	v_mul_lo_u32 v3, v2, s35
	v_add_nc_u32_e32 v10, 1, v7
	s_delay_alu instid0(VALU_DEP_2) | instskip(NEXT) | instid1(VALU_DEP_1)
	v_sub_nc_u32_e32 v3, v1, v3
	v_subrev_nc_u32_e32 v5, s35, v3
	v_cmp_le_u32_e32 vcc_lo, s35, v3
	s_wait_alu 0xfffd
	s_delay_alu instid0(VALU_DEP_2) | instskip(NEXT) | instid1(VALU_DEP_1)
	v_dual_cndmask_b32 v3, v3, v5 :: v_dual_add_nc_u32 v4, 1, v2
	v_cndmask_b32_e32 v6, v2, v4, vcc_lo
	v_ashrrev_i32_e32 v2, 31, v0
	s_delay_alu instid0(VALU_DEP_3) | instskip(NEXT) | instid1(VALU_DEP_3)
	v_cmp_le_u32_e32 vcc_lo, s35, v3
	v_add_nc_u32_e32 v5, 1, v6
	s_delay_alu instid0(VALU_DEP_3) | instskip(SKIP_2) | instid1(VALU_DEP_3)
	v_xor_b32_e32 v4, s41, v2
	v_xor_b32_e32 v13, s50, v2
	s_wait_alu 0xfffd
	v_cndmask_b32_e32 v3, v6, v5, vcc_lo
	v_mul_lo_u32 v6, v7, s43
	s_delay_alu instid0(VALU_DEP_2) | instskip(NEXT) | instid1(VALU_DEP_2)
	v_xor_b32_e32 v5, v3, v4
	v_sub_nc_u32_e32 v6, v1, v6
	s_delay_alu instid0(VALU_DEP_2) | instskip(NEXT) | instid1(VALU_DEP_2)
	v_sub_nc_u32_e32 v9, v5, v4
	v_cmp_le_u32_e32 vcc_lo, s43, v6
	s_delay_alu instid0(VALU_DEP_2) | instskip(SKIP_2) | instid1(VALU_DEP_1)
	v_mul_lo_u32 v12, s56, v9
	v_subrev_nc_u32_e32 v11, s43, v6
	s_wait_alu 0xfffd
	v_dual_cndmask_b32 v7, v7, v10 :: v_dual_cndmask_b32 v6, v6, v11
	s_delay_alu instid0(VALU_DEP_3) | instskip(NEXT) | instid1(VALU_DEP_2)
	v_add_nc_u32_e32 v10, v0, v12
	v_add_nc_u32_e32 v11, 1, v7
	s_delay_alu instid0(VALU_DEP_3) | instskip(SKIP_1) | instid1(VALU_DEP_4)
	v_cmp_le_u32_e32 vcc_lo, s43, v6
	v_lshlrev_b32_e32 v8, 1, v5
	v_ashrrev_i32_e32 v10, 31, v10
	s_delay_alu instid0(VALU_DEP_1) | instskip(SKIP_1) | instid1(VALU_DEP_2)
	v_add3_u32 v6, v10, v12, v0
	v_xor_b32_e32 v15, s42, v10
	v_xor_b32_e32 v6, v6, v10
	;; [unrolled: 1-line block ×3, first 2 shown]
	s_delay_alu instid0(VALU_DEP_2) | instskip(SKIP_1) | instid1(VALU_DEP_2)
	v_mul_hi_u32 v16, v6, s46
	v_mul_hi_u32 v19, v6, s49
	v_add_nc_u32_e32 v25, 1, v16
	v_lshlrev_b32_e32 v3, 1, v4
	s_delay_alu instid0(VALU_DEP_3) | instskip(SKIP_1) | instid1(VALU_DEP_3)
	v_mul_lo_u32 v23, v19, s37
	v_add_nc_u32_e32 v27, 1, v19
	v_sub_nc_u32_e32 v3, v8, v3
	s_delay_alu instid0(VALU_DEP_1) | instskip(SKIP_1) | instid1(VALU_DEP_2)
	v_or_b32_e32 v8, 1, v3
	v_add_nc_u32_e32 v3, 2, v3
	v_mul_lo_u32 v8, s4, v8
	s_delay_alu instid0(VALU_DEP_2) | instskip(SKIP_2) | instid1(VALU_DEP_1)
	v_mul_lo_u32 v14, s4, v3
	s_wait_alu 0xfffd
	v_cndmask_b32_e32 v3, v7, v11, vcc_lo
	v_xor_b32_e32 v3, v3, v13
	s_delay_alu instid0(VALU_DEP_4) | instskip(NEXT) | instid1(VALU_DEP_4)
	v_add_nc_u32_e32 v7, v0, v8
	v_add_nc_u32_e32 v11, v0, v14
	s_delay_alu instid0(VALU_DEP_2) | instskip(NEXT) | instid1(VALU_DEP_2)
	v_ashrrev_i32_e32 v7, 31, v7
	v_ashrrev_i32_e32 v11, 31, v11
	s_delay_alu instid0(VALU_DEP_2) | instskip(NEXT) | instid1(VALU_DEP_2)
	v_add3_u32 v18, v7, v8, v0
	v_add3_u32 v20, v11, v14, v0
	v_xor_b32_e32 v17, s42, v7
	v_xor_b32_e32 v21, s42, v11
	;; [unrolled: 1-line block ×6, first 2 shown]
	v_mul_lo_u32 v20, v16, s36
	s_delay_alu instid0(VALU_DEP_4) | instskip(SKIP_1) | instid1(VALU_DEP_4)
	v_mul_hi_u32 v24, v7, s46
	v_mul_hi_u32 v28, v7, s49
	;; [unrolled: 1-line block ×4, first 2 shown]
	v_sub_nc_u32_e32 v20, v6, v20
	v_sub_nc_u32_e32 v6, v6, v23
	v_mul_lo_u32 v23, v24, s36
	v_mul_lo_u32 v33, v28, s37
	;; [unrolled: 1-line block ×3, first 2 shown]
	v_cmp_le_u32_e32 vcc_lo, s36, v20
	v_cmp_le_u32_e64 s0, s37, v6
	v_mul_lo_u32 v35, v29, s37
	v_subrev_nc_u32_e32 v37, s36, v20
	v_add_nc_u32_e32 v34, 1, v28
	s_wait_alu 0xfffd
	v_cndmask_b32_e32 v16, v16, v25, vcc_lo
	v_subrev_nc_u32_e32 v25, s37, v6
	s_wait_alu 0xf1ff
	v_cndmask_b32_e64 v19, v19, v27, s0
	v_sub_nc_u32_e32 v23, v7, v23
	v_sub_nc_u32_e32 v31, v11, v31
	;; [unrolled: 1-line block ×3, first 2 shown]
	v_cndmask_b32_e64 v6, v6, v25, s0
	v_add_nc_u32_e32 v25, 1, v19
	v_sub_nc_u32_e32 v11, v11, v35
	v_add_nc_u32_e32 v36, 1, v29
	v_cndmask_b32_e32 v20, v20, v37, vcc_lo
	v_cmp_le_u32_e64 s1, s37, v6
	v_add_nc_u32_e32 v27, 1, v16
	v_cmp_le_u32_e64 s2, s37, v11
	v_add_nc_u32_e32 v32, 1, v26
	v_cmp_le_u32_e32 vcc_lo, s36, v20
	s_wait_alu 0xf1ff
	v_cndmask_b32_e64 v6, v19, v25, s1
	v_cmp_le_u32_e64 s1, s37, v7
	v_cmp_le_u32_e64 s0, s36, v31
	v_subrev_nc_u32_e32 v25, s37, v7
	s_wait_alu 0xfffd
	v_cndmask_b32_e32 v16, v16, v27, vcc_lo
	v_cmp_le_u32_e32 vcc_lo, s36, v23
	s_wait_alu 0xf1ff
	v_cndmask_b32_e64 v19, v28, v34, s1
	v_cndmask_b32_e64 v28, v29, v36, s2
	v_subrev_nc_u32_e32 v29, s37, v11
	v_subrev_nc_u32_e32 v27, s36, v31
	v_cndmask_b32_e64 v26, v26, v32, s0
	v_xor_b32_e32 v16, v16, v15
	v_cndmask_b32_e64 v7, v7, v25, s1
	v_cndmask_b32_e64 v11, v11, v29, s2
	v_add_nc_u32_e32 v29, 1, v28
	v_add_nc_u32_e32 v30, 1, v24
	v_cndmask_b32_e64 v27, v31, v27, s0
	v_sub_nc_u32_e32 v15, v16, v15
	v_xor_b32_e32 v6, v6, v10
	s_wait_alu 0xfffd
	v_dual_cndmask_b32 v20, v24, v30 :: v_dual_add_nc_u32 v25, 1, v19
	v_subrev_nc_u32_e32 v24, s36, v23
	s_delay_alu instid0(VALU_DEP_1) | instskip(NEXT) | instid1(VALU_DEP_3)
	v_dual_cndmask_b32 v23, v23, v24 :: v_dual_add_nc_u32 v30, 1, v26
	v_add_nc_u32_e32 v24, 1, v20
	s_delay_alu instid0(VALU_DEP_2) | instskip(SKIP_2) | instid1(VALU_DEP_3)
	v_cmp_le_u32_e32 vcc_lo, s36, v23
	v_sub_nc_u32_e32 v23, v6, v10
	s_wait_alu 0xfffd
	v_cndmask_b32_e32 v16, v20, v24, vcc_lo
	v_cmp_le_u32_e32 vcc_lo, s36, v27
	s_delay_alu instid0(VALU_DEP_2) | instskip(SKIP_3) | instid1(VALU_DEP_3)
	v_xor_b32_e32 v10, v16, v17
	s_wait_alu 0xfffd
	v_cndmask_b32_e32 v20, v26, v30, vcc_lo
	v_cmp_le_u32_e32 vcc_lo, s37, v7
	v_sub_nc_u32_e32 v17, v10, v17
	s_delay_alu instid0(VALU_DEP_3)
	v_xor_b32_e32 v16, v20, v21
	s_wait_alu 0xfffd
	v_cndmask_b32_e32 v6, v19, v25, vcc_lo
	v_cmp_le_u32_e32 vcc_lo, s37, v11
	v_mul_lo_u32 v11, v15, s3
	v_mul_lo_u32 v19, v23, s30
	;; [unrolled: 1-line block ×3, first 2 shown]
	v_xor_b32_e32 v6, v6, v22
	s_wait_alu 0xfffd
	v_cndmask_b32_e32 v7, v28, v29, vcc_lo
	v_sub_nc_u32_e32 v16, v16, v21
	s_delay_alu instid0(VALU_DEP_3) | instskip(NEXT) | instid1(VALU_DEP_3)
	v_sub_nc_u32_e32 v20, v6, v22
	v_xor_b32_e32 v7, v7, v18
	v_sub_nc_u32_e32 v6, v12, v11
	s_delay_alu instid0(VALU_DEP_4)
	v_mul_lo_u32 v11, v16, s3
	v_sub_nc_u32_e32 v10, v8, v10
	v_sub_nc_u32_e32 v22, v3, v13
	;; [unrolled: 1-line block ×4, first 2 shown]
	v_mul_lo_u32 v12, v20, s30
	v_add_nc_u32_e32 v6, v0, v6
	v_add_nc_u32_e32 v10, v0, v10
	v_mul_lo_u32 v13, v21, s30
	v_add_nc_u32_e32 v7, v0, v7
	v_sub_nc_u32_e32 v11, v14, v11
	v_mul_lo_u32 v3, v6, s11
	v_sub_nc_u32_e32 v8, v8, v12
	s_delay_alu instid0(VALU_DEP_4)
	v_mul_lo_u32 v6, v7, s15
	v_mul_lo_u32 v7, v10, s11
	v_sub_nc_u32_e32 v12, v14, v13
	v_add_nc_u32_e32 v13, v0, v11
	v_add_nc_u32_e32 v8, v0, v8
	v_mad_co_u64_u32 v[10:11], null, v15, s10, v[3:4]
	s_delay_alu instid0(VALU_DEP_4) | instskip(NEXT) | instid1(VALU_DEP_4)
	v_add_nc_u32_e32 v18, v0, v12
	v_mul_lo_u32 v3, v13, s11
	v_mad_co_u64_u32 v[12:13], null, v23, s14, v[6:7]
	v_mul_lo_u32 v6, v8, s15
	v_mad_co_u64_u32 v[7:8], null, v17, s10, v[7:8]
	v_ashrrev_i32_e32 v11, 31, v10
	v_mad_co_u64_u32 v[14:15], null, v16, s10, v[3:4]
	v_mad_co_u64_u32 v[16:17], null, s59, v22, v[0:1]
	s_delay_alu instid0(VALU_DEP_4) | instskip(NEXT) | instid1(VALU_DEP_4)
	v_ashrrev_i32_e32 v8, 31, v7
	v_lshlrev_b64_e32 v[10:11], 2, v[10:11]
	v_mul_lo_u32 v3, v18, s15
	v_mad_co_u64_u32 v[17:18], null, v20, s14, v[6:7]
	s_delay_alu instid0(VALU_DEP_4) | instskip(SKIP_4) | instid1(VALU_DEP_4)
	v_lshlrev_b64_e32 v[6:7], 2, v[7:8]
	v_ashrrev_i32_e32 v15, 31, v14
	v_add_co_u32 v10, vcc_lo, s8, v10
	s_wait_alu 0xfffd
	v_add_co_ci_u32_e64 v11, null, s9, v11, vcc_lo
	v_add_co_u32 v19, vcc_lo, s8, v6
	s_wait_alu 0xfffd
	v_add_co_ci_u32_e64 v20, null, s9, v7, vcc_lo
	v_mul_lo_u32 v6, v16, s21
	v_mad_co_u64_u32 v[7:8], null, v21, s14, v[3:4]
	v_ashrrev_i32_e32 v13, 31, v12
	v_ashrrev_i32_e32 v18, 31, v17
	v_lshlrev_b64_e32 v[14:15], 2, v[14:15]
	s_delay_alu instid0(VALU_DEP_3)
	v_lshlrev_b64_e32 v[12:13], 2, v[12:13]
	v_mad_co_u64_u32 v[21:22], null, v22, s20, v[6:7]
	v_ashrrev_i32_e32 v8, 31, v7
	v_lshlrev_b64_e32 v[16:17], 2, v[17:18]
	v_add_co_u32 v14, vcc_lo, s8, v14
	s_wait_alu 0xfffd
	v_add_co_ci_u32_e64 v15, null, s9, v15, vcc_lo
	v_ashrrev_i32_e32 v22, 31, v21
	v_lshlrev_b64_e32 v[6:7], 2, v[7:8]
	v_add_co_u32 v12, vcc_lo, s12, v12
	s_wait_alu 0xfffd
	v_add_co_ci_u32_e64 v13, null, s13, v13, vcc_lo
	v_lshlrev_b64_e32 v[21:22], 2, v[21:22]
	v_add_co_u32 v16, vcc_lo, s12, v16
	s_wait_alu 0xfffd
	v_add_co_ci_u32_e64 v17, null, s13, v17, vcc_lo
	v_add_co_u32 v23, vcc_lo, s12, v6
	s_wait_alu 0xfffd
	v_add_co_ci_u32_e64 v24, null, s13, v7, vcc_lo
	;; [unrolled: 3-line block ×3, first 2 shown]
	s_clause 0x2
	global_load_b32 v7, v[10:11], off
	global_load_b32 v11, v[19:20], off
	;; [unrolled: 1-line block ×3, first 2 shown]
	s_clause 0x2
	global_load_b32 v8, v[12:13], off
	global_load_b32 v12, v[16:17], off
	;; [unrolled: 1-line block ×4, first 2 shown]
	v_mov_b32_e32 v13, 0
	v_mov_b32_e32 v15, 0
	v_dual_mov_b32 v17, 0 :: v_dual_mov_b32 v14, 0
	v_mov_b32_e32 v16, 0
	v_mov_b32_e32 v18, 0
	s_and_not1_b32 vcc_lo, exec_lo, s34
	s_wait_alu 0xfffe
	s_cbranch_vccnz .LBB37_5
; %bb.4:                                ;   in Loop: Header=BB37_3 Depth=1
	v_sub_nc_u32_e32 v15, v4, v5
	v_mad_co_u64_u32 v[13:14], null, s58, v9, v[0:1]
	s_delay_alu instid0(VALU_DEP_2) | instskip(SKIP_1) | instid1(VALU_DEP_3)
	v_mul_lo_u32 v17, s4, v15
	v_add_nc_u32_e32 v15, 2, v15
	v_mul_lo_u32 v14, v13, s31
	v_mul_lo_u32 v16, v13, s33
	s_delay_alu instid0(VALU_DEP_3) | instskip(SKIP_1) | instid1(VALU_DEP_4)
	v_mad_co_u64_u32 v[18:19], null, s4, v15, v[0:1]
	v_add3_u32 v20, v17, s4, v0
	v_ashrrev_i32_e32 v15, 31, v14
	s_delay_alu instid0(VALU_DEP_2) | instskip(NEXT) | instid1(VALU_DEP_4)
	v_mul_lo_u32 v13, v20, s31
	v_mul_lo_u32 v19, v18, s31
	v_mul_lo_u32 v21, v20, s33
	v_ashrrev_i32_e32 v17, 31, v16
	v_lshlrev_b64_e32 v[25:26], 2, v[14:15]
	v_mul_lo_u32 v23, v18, s33
	s_delay_alu instid0(VALU_DEP_3) | instskip(SKIP_4) | instid1(VALU_DEP_4)
	v_lshlrev_b64_e32 v[15:16], 2, v[16:17]
	v_ashrrev_i32_e32 v14, 31, v13
	v_ashrrev_i32_e32 v20, 31, v19
	v_add_co_u32 v17, vcc_lo, s6, v25
	v_ashrrev_i32_e32 v22, 31, v21
	v_lshlrev_b64_e32 v[13:14], 2, v[13:14]
	s_delay_alu instid0(VALU_DEP_4)
	v_lshlrev_b64_e32 v[19:20], 2, v[19:20]
	s_wait_alu 0xfffd
	v_add_co_ci_u32_e64 v18, null, s7, v26, vcc_lo
	v_ashrrev_i32_e32 v24, 31, v23
	v_lshlrev_b64_e32 v[21:22], 2, v[21:22]
	v_add_co_u32 v13, vcc_lo, s6, v13
	s_wait_alu 0xfffd
	v_add_co_ci_u32_e64 v14, null, s7, v14, vcc_lo
	v_add_co_u32 v19, vcc_lo, s6, v19
	s_wait_alu 0xfffd
	v_add_co_ci_u32_e64 v20, null, s7, v20, vcc_lo
	v_add_co_u32 v25, vcc_lo, s16, v15
	s_wait_alu 0xfffd
	v_add_co_ci_u32_e64 v26, null, s17, v16, vcc_lo
	v_lshlrev_b64_e32 v[15:16], 2, v[23:24]
	v_add_co_u32 v21, vcc_lo, s16, v21
	s_wait_alu 0xfffd
	v_add_co_ci_u32_e64 v22, null, s17, v22, vcc_lo
	s_delay_alu instid0(VALU_DEP_3)
	v_add_co_u32 v23, vcc_lo, s16, v15
	s_wait_alu 0xfffd
	v_add_co_ci_u32_e64 v24, null, s17, v16, vcc_lo
	s_clause 0x2
	global_load_b32 v18, v[17:18], off
	global_load_b32 v13, v[13:14], off
	;; [unrolled: 1-line block ×3, first 2 shown]
	s_clause 0x2
	global_load_b32 v17, v[25:26], off
	global_load_b32 v14, v[21:22], off
	;; [unrolled: 1-line block ×3, first 2 shown]
.LBB37_5:                               ;   in Loop: Header=BB37_3 Depth=1
	s_wait_loadcnt 0x3
	v_add_f32_e32 v7, v7, v8
	s_delay_alu instid0(VALU_DEP_1) | instskip(SKIP_1) | instid1(VALU_DEP_1)
	v_add_f32_e32 v7, v7, v18
	s_wait_loadcnt 0x2
	v_add_f32_e32 v7, v17, v7
	s_delay_alu instid0(VALU_DEP_1) | instskip(SKIP_1) | instid1(VALU_DEP_2)
	v_mul_f32_e32 v8, 0xbfb8aa3b, v7
	v_cmp_nlt_f32_e32 vcc_lo, 0x42ce8ed0, v7
	v_fma_f32 v17, 0xbfb8aa3b, v7, -v8
	v_rndne_f32_e32 v18, v8
	s_delay_alu instid0(VALU_DEP_1) | instskip(NEXT) | instid1(VALU_DEP_1)
	v_dual_fmac_f32 v17, 0xb2a5705f, v7 :: v_dual_sub_f32 v8, v8, v18
	v_add_f32_e32 v8, v8, v17
	v_cvt_i32_f32_e32 v17, v18
	s_delay_alu instid0(VALU_DEP_2) | instskip(NEXT) | instid1(TRANS32_DEP_1)
	v_exp_f32_e32 v8, v8
	v_ldexp_f32 v8, v8, v17
	s_wait_alu 0xfffd
	s_delay_alu instid0(VALU_DEP_1) | instskip(SKIP_2) | instid1(VALU_DEP_2)
	v_cndmask_b32_e32 v8, 0, v8, vcc_lo
	v_cmp_ngt_f32_e32 vcc_lo, 0xc2b17218, v7
	s_wait_alu 0xfffd
	v_cndmask_b32_e32 v7, 0x7f800000, v8, vcc_lo
	s_delay_alu instid0(VALU_DEP_1) | instskip(NEXT) | instid1(VALU_DEP_1)
	v_add_f32_e32 v7, 1.0, v7
	v_div_scale_f32 v8, null, v7, v7, 1.0
	v_div_scale_f32 v19, vcc_lo, 1.0, v7, 1.0
	s_delay_alu instid0(VALU_DEP_2) | instskip(NEXT) | instid1(TRANS32_DEP_1)
	v_rcp_f32_e32 v17, v8
	v_fma_f32 v18, -v8, v17, 1.0
	s_delay_alu instid0(VALU_DEP_1) | instskip(NEXT) | instid1(VALU_DEP_1)
	v_fmac_f32_e32 v17, v18, v17
	v_mul_f32_e32 v18, v19, v17
	s_delay_alu instid0(VALU_DEP_1) | instskip(NEXT) | instid1(VALU_DEP_1)
	v_fma_f32 v20, -v8, v18, v19
	v_fmac_f32_e32 v18, v20, v17
	s_delay_alu instid0(VALU_DEP_1) | instskip(SKIP_1) | instid1(VALU_DEP_1)
	v_fma_f32 v8, -v8, v18, v19
	s_wait_alu 0xfffd
	v_div_fmas_f32 v17, v8, v17, v18
	v_add_f32_e32 v8, v6, v15
	s_wait_loadcnt 0x0
	v_add_f32_e32 v6, v10, v16
                                        ; implicit-def: $vgpr10
	s_delay_alu instid0(VALU_DEP_3) | instskip(NEXT) | instid1(VALU_DEP_1)
	v_div_fixup_f32 v7, v17, v7, 1.0
	v_fmac_f32_e32 v8, v6, v7
	s_delay_alu instid0(VALU_DEP_1)
	v_cmp_ngt_f32_e64 s0, 0x3f200000, |v8|
	s_and_saveexec_b32 s1, s0
	s_wait_alu 0xfffe
	s_xor_b32 s0, exec_lo, s1
	s_cbranch_execz .LBB37_7
; %bb.6:                                ;   in Loop: Header=BB37_3 Depth=1
	v_add_f32_e64 v10, |v8|, |v8|
	s_delay_alu instid0(VALU_DEP_1) | instskip(SKIP_1) | instid1(VALU_DEP_2)
	v_mul_f32_e32 v15, 0x3fb8aa3b, v10
	v_cmp_ngt_f32_e32 vcc_lo, 0xc2ce8ed0, v10
	v_rndne_f32_e32 v16, v15
	v_fma_f32 v17, 0x3fb8aa3b, v10, -v15
	s_delay_alu instid0(VALU_DEP_2) | instskip(NEXT) | instid1(VALU_DEP_2)
	v_sub_f32_e32 v15, v15, v16
	v_fmac_f32_e32 v17, 0x32a5705f, v10
	v_cvt_i32_f32_e32 v16, v16
	s_delay_alu instid0(VALU_DEP_2) | instskip(NEXT) | instid1(VALU_DEP_1)
	v_add_f32_e32 v15, v15, v17
	v_exp_f32_e32 v15, v15
	s_delay_alu instid0(TRANS32_DEP_1) | instskip(SKIP_1) | instid1(VALU_DEP_1)
	v_ldexp_f32 v15, v15, v16
	s_wait_alu 0xfffd
	v_cndmask_b32_e32 v15, 0, v15, vcc_lo
	v_cmp_nlt_f32_e32 vcc_lo, 0x42b17218, v10
	s_wait_alu 0xfffd
	s_delay_alu instid0(VALU_DEP_2) | instskip(NEXT) | instid1(VALU_DEP_1)
	v_cndmask_b32_e32 v10, 0x7f800000, v15, vcc_lo
	v_add_f32_e32 v10, 1.0, v10
	s_delay_alu instid0(VALU_DEP_1) | instskip(NEXT) | instid1(TRANS32_DEP_1)
	v_rcp_f32_e32 v10, v10
	v_fma_f32 v10, v10, -2.0, 1.0
.LBB37_7:                               ;   in Loop: Header=BB37_3 Depth=1
	s_wait_alu 0xfffe
	s_and_not1_saveexec_b32 s0, s0
	s_cbranch_execz .LBB37_2
; %bb.8:                                ;   in Loop: Header=BB37_3 Depth=1
	v_mul_f32_e32 v10, v8, v8
	s_delay_alu instid0(VALU_DEP_1) | instskip(NEXT) | instid1(VALU_DEP_1)
	v_fmaak_f32 v15, s61, v10, 0x3ca908c9
	v_fmaak_f32 v15, v10, v15, 0xbd5c1c4e
	s_delay_alu instid0(VALU_DEP_1) | instskip(NEXT) | instid1(VALU_DEP_1)
	v_fmaak_f32 v15, v10, v15, 0x3e088382
	v_fmaak_f32 v15, v10, v15, 0xbeaaaa99
	s_delay_alu instid0(VALU_DEP_1) | instskip(NEXT) | instid1(VALU_DEP_1)
	v_mul_f32_e64 v15, |v8|, v15
	v_fma_f32 v10, v10, v15, |v8|
	s_branch .LBB37_2
.LBB37_9:
	s_endpgm
	.section	.rodata,"a",@progbits
	.p2align	6, 0x0
	.amdhsa_kernel _ZN2at6native12_GLOBAL__N_16kernel16gru_cell_forwardIffiLi2EEEvNS_4cuda6detail10TensorInfoIT_T1_EES9_S9_S9_S9_S9_S9_S8_S8_
		.amdhsa_group_segment_fixed_size 0
		.amdhsa_private_segment_fixed_size 0
		.amdhsa_kernarg_size 1776
		.amdhsa_user_sgpr_count 2
		.amdhsa_user_sgpr_dispatch_ptr 0
		.amdhsa_user_sgpr_queue_ptr 0
		.amdhsa_user_sgpr_kernarg_segment_ptr 1
		.amdhsa_user_sgpr_dispatch_id 0
		.amdhsa_user_sgpr_private_segment_size 0
		.amdhsa_wavefront_size32 1
		.amdhsa_uses_dynamic_stack 0
		.amdhsa_enable_private_segment 0
		.amdhsa_system_sgpr_workgroup_id_x 1
		.amdhsa_system_sgpr_workgroup_id_y 0
		.amdhsa_system_sgpr_workgroup_id_z 0
		.amdhsa_system_sgpr_workgroup_info 0
		.amdhsa_system_vgpr_workitem_id 0
		.amdhsa_next_free_vgpr 38
		.amdhsa_next_free_sgpr 62
		.amdhsa_reserve_vcc 1
		.amdhsa_float_round_mode_32 0
		.amdhsa_float_round_mode_16_64 0
		.amdhsa_float_denorm_mode_32 3
		.amdhsa_float_denorm_mode_16_64 3
		.amdhsa_fp16_overflow 0
		.amdhsa_workgroup_processor_mode 1
		.amdhsa_memory_ordered 1
		.amdhsa_forward_progress 1
		.amdhsa_inst_pref_size 34
		.amdhsa_round_robin_scheduling 0
		.amdhsa_exception_fp_ieee_invalid_op 0
		.amdhsa_exception_fp_denorm_src 0
		.amdhsa_exception_fp_ieee_div_zero 0
		.amdhsa_exception_fp_ieee_overflow 0
		.amdhsa_exception_fp_ieee_underflow 0
		.amdhsa_exception_fp_ieee_inexact 0
		.amdhsa_exception_int_div_zero 0
	.end_amdhsa_kernel
	.section	.text._ZN2at6native12_GLOBAL__N_16kernel16gru_cell_forwardIffiLi2EEEvNS_4cuda6detail10TensorInfoIT_T1_EES9_S9_S9_S9_S9_S9_S8_S8_,"axG",@progbits,_ZN2at6native12_GLOBAL__N_16kernel16gru_cell_forwardIffiLi2EEEvNS_4cuda6detail10TensorInfoIT_T1_EES9_S9_S9_S9_S9_S9_S8_S8_,comdat
.Lfunc_end37:
	.size	_ZN2at6native12_GLOBAL__N_16kernel16gru_cell_forwardIffiLi2EEEvNS_4cuda6detail10TensorInfoIT_T1_EES9_S9_S9_S9_S9_S9_S8_S8_, .Lfunc_end37-_ZN2at6native12_GLOBAL__N_16kernel16gru_cell_forwardIffiLi2EEEvNS_4cuda6detail10TensorInfoIT_T1_EES9_S9_S9_S9_S9_S9_S8_S8_
                                        ; -- End function
	.set _ZN2at6native12_GLOBAL__N_16kernel16gru_cell_forwardIffiLi2EEEvNS_4cuda6detail10TensorInfoIT_T1_EES9_S9_S9_S9_S9_S9_S8_S8_.num_vgpr, 38
	.set _ZN2at6native12_GLOBAL__N_16kernel16gru_cell_forwardIffiLi2EEEvNS_4cuda6detail10TensorInfoIT_T1_EES9_S9_S9_S9_S9_S9_S8_S8_.num_agpr, 0
	.set _ZN2at6native12_GLOBAL__N_16kernel16gru_cell_forwardIffiLi2EEEvNS_4cuda6detail10TensorInfoIT_T1_EES9_S9_S9_S9_S9_S9_S8_S8_.numbered_sgpr, 62
	.set _ZN2at6native12_GLOBAL__N_16kernel16gru_cell_forwardIffiLi2EEEvNS_4cuda6detail10TensorInfoIT_T1_EES9_S9_S9_S9_S9_S9_S8_S8_.num_named_barrier, 0
	.set _ZN2at6native12_GLOBAL__N_16kernel16gru_cell_forwardIffiLi2EEEvNS_4cuda6detail10TensorInfoIT_T1_EES9_S9_S9_S9_S9_S9_S8_S8_.private_seg_size, 0
	.set _ZN2at6native12_GLOBAL__N_16kernel16gru_cell_forwardIffiLi2EEEvNS_4cuda6detail10TensorInfoIT_T1_EES9_S9_S9_S9_S9_S9_S8_S8_.uses_vcc, 1
	.set _ZN2at6native12_GLOBAL__N_16kernel16gru_cell_forwardIffiLi2EEEvNS_4cuda6detail10TensorInfoIT_T1_EES9_S9_S9_S9_S9_S9_S8_S8_.uses_flat_scratch, 0
	.set _ZN2at6native12_GLOBAL__N_16kernel16gru_cell_forwardIffiLi2EEEvNS_4cuda6detail10TensorInfoIT_T1_EES9_S9_S9_S9_S9_S9_S8_S8_.has_dyn_sized_stack, 0
	.set _ZN2at6native12_GLOBAL__N_16kernel16gru_cell_forwardIffiLi2EEEvNS_4cuda6detail10TensorInfoIT_T1_EES9_S9_S9_S9_S9_S9_S8_S8_.has_recursion, 0
	.set _ZN2at6native12_GLOBAL__N_16kernel16gru_cell_forwardIffiLi2EEEvNS_4cuda6detail10TensorInfoIT_T1_EES9_S9_S9_S9_S9_S9_S8_S8_.has_indirect_call, 0
	.section	.AMDGPU.csdata,"",@progbits
; Kernel info:
; codeLenInByte = 4324
; TotalNumSgprs: 64
; NumVgprs: 38
; ScratchSize: 0
; MemoryBound: 0
; FloatMode: 240
; IeeeMode: 1
; LDSByteSize: 0 bytes/workgroup (compile time only)
; SGPRBlocks: 0
; VGPRBlocks: 4
; NumSGPRsForWavesPerEU: 64
; NumVGPRsForWavesPerEU: 38
; Occupancy: 16
; WaveLimiterHint : 1
; COMPUTE_PGM_RSRC2:SCRATCH_EN: 0
; COMPUTE_PGM_RSRC2:USER_SGPR: 2
; COMPUTE_PGM_RSRC2:TRAP_HANDLER: 0
; COMPUTE_PGM_RSRC2:TGID_X_EN: 1
; COMPUTE_PGM_RSRC2:TGID_Y_EN: 0
; COMPUTE_PGM_RSRC2:TGID_Z_EN: 0
; COMPUTE_PGM_RSRC2:TIDIG_COMP_CNT: 0
	.section	.text._ZN2at6native12_GLOBAL__N_16kernel16gru_cell_forwardIfflLi1EEEvNS_4cuda6detail10TensorInfoIT_T1_EES9_S9_S9_S9_S9_S9_S8_S8_,"axG",@progbits,_ZN2at6native12_GLOBAL__N_16kernel16gru_cell_forwardIfflLi1EEEvNS_4cuda6detail10TensorInfoIT_T1_EES9_S9_S9_S9_S9_S9_S8_S8_,comdat
	.globl	_ZN2at6native12_GLOBAL__N_16kernel16gru_cell_forwardIfflLi1EEEvNS_4cuda6detail10TensorInfoIT_T1_EES9_S9_S9_S9_S9_S9_S8_S8_ ; -- Begin function _ZN2at6native12_GLOBAL__N_16kernel16gru_cell_forwardIfflLi1EEEvNS_4cuda6detail10TensorInfoIT_T1_EES9_S9_S9_S9_S9_S9_S8_S8_
	.p2align	8
	.type	_ZN2at6native12_GLOBAL__N_16kernel16gru_cell_forwardIfflLi1EEEvNS_4cuda6detail10TensorInfoIT_T1_EES9_S9_S9_S9_S9_S9_S8_S8_,@function
_ZN2at6native12_GLOBAL__N_16kernel16gru_cell_forwardIfflLi1EEEvNS_4cuda6detail10TensorInfoIT_T1_EES9_S9_S9_S9_S9_S9_S8_S8_: ; @_ZN2at6native12_GLOBAL__N_16kernel16gru_cell_forwardIfflLi1EEEvNS_4cuda6detail10TensorInfoIT_T1_EES9_S9_S9_S9_S9_S9_S8_S8_
; %bb.0:
	s_clause 0x1
	s_load_b32 s2, s[0:1], 0xb7c
	s_load_b128 s[4:7], s[0:1], 0xb60
	v_mov_b32_e32 v1, 0
	s_wait_kmcnt 0x0
	s_and_b32 s26, s2, 0xffff
	s_mov_b32 s2, exec_lo
	s_delay_alu instid0(VALU_DEP_1) | instskip(SKIP_1) | instid1(VALU_DEP_1)
	v_mad_co_u64_u32 v[3:4], null, ttmp9, s26, v[0:1]
	v_mov_b32_e32 v4, v1
	v_cmpx_gt_i64_e64 s[6:7], v[3:4]
	s_cbranch_execz .LBB38_14
; %bb.1:
	s_clause 0x2
	s_load_b64 s[2:3], s[0:1], 0x340
	s_load_b64 s[36:37], s[0:1], 0x750
	;; [unrolled: 1-line block ×3, first 2 shown]
	s_add_nc_u64 s[8:9], s[0:1], 0xb70
	s_clause 0x1
	s_load_b64 s[40:41], s[0:1], 0x680
	s_load_b64 s[42:43], s[0:1], 0x820
	s_load_b32 s27, s[8:9], 0x0
	s_clause 0x8
	s_load_b64 s[8:9], s[0:1], 0x0
	s_load_b64 s[10:11], s[0:1], 0xd0
	;; [unrolled: 1-line block ×9, first 2 shown]
	s_mov_b32 s1, 0
	s_sub_nc_u64 s[34:35], 0, s[4:5]
	s_mov_b32 s44, 0
	s_wait_kmcnt 0x0
	s_mul_i32 s26, s27, s26
	s_wait_alu 0xfffe
	s_mov_b32 s27, s1
	s_cmp_lg_u64 s[2:3], 0
	v_mul_lo_u32 v0, 0, s36
	v_mul_lo_u32 v2, v3, s37
	v_mad_co_u64_u32 v[5:6], null, v3, s36, 0
	v_mul_lo_u32 v9, 0, s38
	v_mul_lo_u32 v10, v3, s39
	v_mad_co_u64_u32 v[7:8], null, v3, s38, 0
	s_wait_alu 0xfffe
	s_mul_u64 s[36:37], s[26:27], s[36:37]
	s_mul_u64 s[38:39], s[26:27], s[38:39]
	s_delay_alu instid0(VALU_DEP_4)
	v_add3_u32 v6, v6, v2, v0
	v_cvt_f32_u32_e32 v0, s4
	s_cselect_b32 s33, -1, 0
	s_lshl_b64 s[28:29], s[4:5], 1
	v_add3_u32 v8, v8, v10, v9
	v_lshlrev_b64_e32 v[5:6], 2, v[5:6]
	v_rcp_iflag_f32_e32 v0, v0
	s_lshl_b64 s[30:31], s[4:5], 2
	s_wait_alu 0xfffe
	s_lshl_b64 s[36:37], s[36:37], 2
	v_lshlrev_b64_e32 v[7:8], 2, v[7:8]
	s_lshl_b64 s[38:39], s[38:39], 2
	v_add_co_u32 v5, vcc_lo, s40, v5
	s_delay_alu instid0(VALU_DEP_1) | instskip(NEXT) | instid1(VALU_DEP_3)
	v_add_co_ci_u32_e64 v6, null, s41, v6, vcc_lo
	v_add_co_u32 v7, vcc_lo, s42, v7
	s_delay_alu instid0(TRANS32_DEP_1)
	v_mul_f32_e32 v0, 0x4f7ffffe, v0
	s_wait_alu 0xfffd
	v_add_co_ci_u32_e64 v8, null, s43, v8, vcc_lo
	s_ashr_i32 s40, s5, 31
	s_mov_b32 s27, 0xbbbac73d
	v_cvt_u32_f32_e32 v0, v0
	s_branch .LBB38_3
.LBB38_2:                               ;   in Loop: Header=BB38_3 Depth=1
	s_wait_alu 0xfffe
	s_or_b32 exec_lo, exec_lo, s0
	v_add_f32_e32 v13, v13, v14
	v_bfi_b32 v22, 0x7fffffff, v15, v16
	v_mul_lo_u32 v19, s31, v9
	v_add_co_u32 v5, vcc_lo, v5, s36
	s_delay_alu instid0(VALU_DEP_4) | instskip(SKIP_3) | instid1(VALU_DEP_3)
	v_add_f32_e32 v13, v13, v17
	s_wait_alu 0xfffd
	v_add_co_ci_u32_e64 v6, null, s37, v6, vcc_lo
	v_sub_f32_e32 v23, v2, v22
	v_add_f32_e32 v21, v13, v18
	v_mad_co_u64_u32 v[13:14], null, s30, v9, v[3:4]
	v_mul_lo_u32 v18, s30, v10
	v_lshlrev_b64_e32 v[9:10], 2, v[9:10]
	s_delay_alu instid0(VALU_DEP_4) | instskip(NEXT) | instid1(VALU_DEP_4)
	v_mul_f32_e32 v17, 0xbfb8aa3b, v21
	v_mul_lo_u32 v30, v13, s25
	s_delay_alu instid0(VALU_DEP_2) | instskip(SKIP_3) | instid1(VALU_DEP_4)
	v_fma_f32 v15, 0xbfb8aa3b, v21, -v17
	v_rndne_f32_e32 v16, v17
	v_add3_u32 v29, v19, v14, v18
	v_add_co_u32 v27, vcc_lo, v9, 4
	v_fmac_f32_e32 v15, 0xb2a5705f, v21
	s_delay_alu instid0(VALU_DEP_4)
	v_sub_f32_e32 v17, v17, v16
	v_cvt_i32_f32_e32 v18, v16
	v_or_b32_e32 v25, 2, v9
	v_or_b32_e32 v26, 3, v9
	s_wait_alu 0xfffd
	v_add_co_ci_u32_e64 v28, null, 0, v10, vcc_lo
	v_add_f32_e32 v15, v17, v15
	v_cmp_nlt_f32_e32 vcc_lo, 0x42ce8ed0, v21
	v_mul_lo_u32 v32, s5, v25
	v_or_b32_e32 v20, 1, v9
	v_mul_lo_u32 v24, s4, v10
	v_exp_f32_e32 v17, v15
	v_mad_co_u64_u32 v[15:16], null, s4, v25, v[3:4]
	v_mul_lo_u32 v25, s5, v26
	v_mad_co_u64_u32 v[9:10], null, v13, s24, 0
	v_mul_lo_u32 v31, s5, v20
	;; [unrolled: 2-line block ×3, first 2 shown]
	s_delay_alu instid0(TRANS32_DEP_1)
	v_ldexp_f32 v19, v17, v18
	v_mad_co_u64_u32 v[17:18], null, s4, v26, v[3:4]
	v_mul_lo_u32 v26, s4, v28
	v_add3_u32 v32, v32, v16, v24
	s_wait_alu 0xfffd
	v_cndmask_b32_e32 v28, 0, v19, vcc_lo
	v_cmp_ngt_f32_e32 vcc_lo, 0xc2b17218, v21
	v_mad_co_u64_u32 v[19:20], null, s4, v27, v[3:4]
	v_mul_lo_u32 v27, v29, s24
	v_mul_lo_u32 v34, v15, s25
	s_wait_alu 0xfffd
	v_cndmask_b32_e32 v21, 0x7f800000, v28, vcc_lo
	v_add3_u32 v28, v31, v14, v24
	v_add_co_u32 v3, vcc_lo, v3, s26
	s_wait_alu 0xfffd
	v_add_co_ci_u32_e64 v4, null, 0, v4, vcc_lo
	v_add_f32_e32 v21, 1.0, v21
	v_add3_u32 v10, v10, v30, v27
	v_mul_lo_u32 v27, v28, s24
	v_mul_lo_u32 v30, v32, s24
	v_add3_u32 v24, v25, v18, v24
	v_div_scale_f32 v31, null, v21, v21, 1.0
	v_div_scale_f32 v28, vcc_lo, 1.0, v21, 1.0
	v_mul_lo_u32 v25, v17, s25
	s_delay_alu instid0(VALU_DEP_3)
	v_rcp_f32_e32 v35, v31
	v_mad_co_u64_u32 v[17:18], null, v17, s24, 0
	v_mul_lo_u32 v24, v24, s24
	v_add3_u32 v26, v33, v20, v26
	v_mad_co_u64_u32 v[15:16], null, v15, s24, 0
	v_mul_lo_u32 v29, v13, s25
	v_mad_co_u64_u32 v[13:14], null, v13, s24, 0
	s_delay_alu instid0(TRANS32_DEP_1) | instskip(SKIP_3) | instid1(VALU_DEP_4)
	v_fma_f32 v36, -v31, v35, 1.0
	v_mul_lo_u32 v33, v19, s25
	v_mad_co_u64_u32 v[19:20], null, v19, s24, 0
	v_mul_lo_u32 v26, v26, s24
	v_fmac_f32_e32 v35, v36, v35
	v_add3_u32 v18, v18, v25, v24
	v_add3_u32 v16, v16, v34, v30
	;; [unrolled: 1-line block ×3, first 2 shown]
	v_lshlrev_b64_e32 v[9:10], 2, v[9:10]
	v_mul_f32_e32 v32, v28, v35
	v_lshlrev_b64_e32 v[17:18], 2, v[17:18]
	v_add3_u32 v20, v20, v33, v26
	v_lshlrev_b64_e32 v[15:16], 2, v[15:16]
	v_lshlrev_b64_e32 v[13:14], 2, v[13:14]
	v_fma_f32 v36, -v31, v32, v28
	v_add_co_u32 v9, s0, s22, v9
	v_lshlrev_b64_e32 v[19:20], 2, v[19:20]
	s_wait_alu 0xf1ff
	v_add_co_ci_u32_e64 v10, null, s23, v10, s0
	v_fmac_f32_e32 v32, v36, v35
	v_add_co_u32 v13, s0, s22, v13
	s_wait_alu 0xf1ff
	v_add_co_ci_u32_e64 v14, null, s23, v14, s0
	s_delay_alu instid0(VALU_DEP_3) | instskip(SKIP_1) | instid1(VALU_DEP_1)
	v_fma_f32 v24, -v31, v32, v28
	s_wait_alu 0xfffd
	v_div_fmas_f32 v24, v24, v35, v32
	v_add_co_u32 v15, vcc_lo, s22, v15
	s_wait_alu 0xfffd
	v_add_co_ci_u32_e64 v16, null, s23, v16, vcc_lo
	s_delay_alu instid0(VALU_DEP_3) | instskip(SKIP_3) | instid1(VALU_DEP_3)
	v_div_fixup_f32 v21, v24, v21, 1.0
	v_add_co_u32 v17, vcc_lo, s22, v17
	s_wait_alu 0xfffd
	v_add_co_ci_u32_e64 v18, null, s23, v18, vcc_lo
	v_fma_f32 v23, v21, v23, v22
	v_add_co_u32 v19, vcc_lo, s22, v19
	s_wait_alu 0xfffd
	v_add_co_ci_u32_e64 v20, null, s23, v20, vcc_lo
	v_cmp_le_i64_e32 vcc_lo, s[6:7], v[3:4]
	global_store_b32 v[7:8], v23, off
	s_clause 0x1
	global_store_b32 v[9:10], v12, off
	global_store_b32 v[13:14], v21, off
	v_add_co_u32 v7, s0, v7, s38
	s_wait_alu 0xf1ff
	v_add_co_ci_u32_e64 v8, null, s39, v8, s0
	s_or_b32 s44, vcc_lo, s44
	s_clause 0x2
	global_store_b32 v[15:16], v22, off
	global_store_b32 v[17:18], v2, off
	;; [unrolled: 1-line block ×3, first 2 shown]
	s_and_not1_b32 exec_lo, exec_lo, s44
	s_cbranch_execz .LBB38_14
.LBB38_3:                               ; =>This Inner Loop Header: Depth=1
	v_or_b32_e32 v2, s5, v4
                                        ; implicit-def: $vgpr9_vgpr10
	s_mov_b32 s0, exec_lo
	s_delay_alu instid0(VALU_DEP_1)
	v_cmpx_ne_u64_e32 0, v[1:2]
	s_wait_alu 0xfffe
	s_xor_b32 s45, exec_lo, s0
	s_cbranch_execz .LBB38_5
; %bb.4:                                ;   in Loop: Header=BB38_3 Depth=1
	s_mov_b32 s41, s40
	v_ashrrev_i32_e32 v2, 31, v4
	s_wait_alu 0xfffe
	s_add_nc_u64 s[42:43], s[4:5], s[40:41]
	s_wait_alu 0xfffe
	s_xor_b64 s[42:43], s[42:43], s[40:41]
	v_add_co_u32 v9, vcc_lo, v3, v2
	s_wait_alu 0xfffe
	s_cvt_f32_u32 s0, s42
	s_cvt_f32_u32 s41, s43
	s_sub_nc_u64 s[48:49], 0, s[42:43]
	s_wait_alu 0xfffd
	v_add_co_ci_u32_e64 v10, null, v4, v2, vcc_lo
	s_wait_alu 0xfffe
	s_fmamk_f32 s0, s41, 0x4f800000, s0
	v_xor_b32_e32 v15, v9, v2
	s_delay_alu instid0(VALU_DEP_2) | instskip(SKIP_3) | instid1(TRANS32_DEP_1)
	v_xor_b32_e32 v16, v10, v2
	s_wait_alu 0xfffe
	v_s_rcp_f32 s0, s0
	v_xor_b32_e32 v2, s40, v2
	s_mul_f32 s0, s0, 0x5f7ffffc
	s_wait_alu 0xfffe
	s_delay_alu instid0(SALU_CYCLE_2) | instskip(SKIP_1) | instid1(SALU_CYCLE_2)
	s_mul_f32 s41, s0, 0x2f800000
	s_wait_alu 0xfffe
	s_trunc_f32 s41, s41
	s_wait_alu 0xfffe
	s_delay_alu instid0(SALU_CYCLE_2) | instskip(SKIP_2) | instid1(SALU_CYCLE_1)
	s_fmamk_f32 s0, s41, 0xcf800000, s0
	s_cvt_u32_f32 s47, s41
	s_wait_alu 0xfffe
	s_cvt_u32_f32 s46, s0
	s_delay_alu instid0(SALU_CYCLE_3) | instskip(NEXT) | instid1(SALU_CYCLE_1)
	s_mul_u64 s[50:51], s[48:49], s[46:47]
	s_mul_hi_u32 s53, s46, s51
	s_mul_i32 s52, s46, s51
	s_mul_hi_u32 s0, s46, s50
	s_mul_i32 s54, s47, s50
	s_wait_alu 0xfffe
	s_add_nc_u64 s[52:53], s[0:1], s[52:53]
	s_mul_hi_u32 s41, s47, s50
	s_mul_hi_u32 s55, s47, s51
	s_add_co_u32 s0, s52, s54
	s_wait_alu 0xfffe
	s_add_co_ci_u32 s0, s53, s41
	s_mul_i32 s50, s47, s51
	s_add_co_ci_u32 s51, s55, 0
	s_wait_alu 0xfffe
	s_add_nc_u64 s[50:51], s[0:1], s[50:51]
	s_delay_alu instid0(SALU_CYCLE_1) | instskip(SKIP_4) | instid1(SALU_CYCLE_1)
	s_add_co_u32 s46, s46, s50
	s_cselect_b32 s0, -1, 0
	s_wait_alu 0xfffe
	s_cmp_lg_u32 s0, 0
	s_add_co_ci_u32 s47, s47, s51
	s_mul_u64 s[48:49], s[48:49], s[46:47]
	s_delay_alu instid0(SALU_CYCLE_1)
	s_mul_hi_u32 s51, s46, s49
	s_mul_i32 s50, s46, s49
	s_mul_hi_u32 s0, s46, s48
	s_mul_i32 s52, s47, s48
	s_wait_alu 0xfffe
	s_add_nc_u64 s[50:51], s[0:1], s[50:51]
	s_mul_hi_u32 s41, s47, s48
	s_mul_hi_u32 s53, s47, s49
	s_add_co_u32 s0, s50, s52
	s_wait_alu 0xfffe
	s_add_co_ci_u32 s0, s51, s41
	s_mul_i32 s48, s47, s49
	s_add_co_ci_u32 s49, s53, 0
	s_wait_alu 0xfffe
	s_add_nc_u64 s[48:49], s[0:1], s[48:49]
	s_delay_alu instid0(SALU_CYCLE_1)
	s_add_co_u32 s0, s46, s48
	s_cselect_b32 s41, -1, 0
	s_wait_alu 0xfffe
	v_mul_hi_u32 v17, v15, s0
	s_cmp_lg_u32 s41, 0
	v_mad_co_u64_u32 v[11:12], null, v16, s0, 0
	s_add_co_ci_u32 s41, s47, s49
	s_wait_alu 0xfffe
	v_mad_co_u64_u32 v[9:10], null, v15, s41, 0
	v_mad_co_u64_u32 v[13:14], null, v16, s41, 0
	s_delay_alu instid0(VALU_DEP_2) | instskip(SKIP_1) | instid1(VALU_DEP_3)
	v_add_co_u32 v9, vcc_lo, v17, v9
	s_wait_alu 0xfffd
	v_add_co_ci_u32_e64 v10, null, 0, v10, vcc_lo
	s_delay_alu instid0(VALU_DEP_2) | instskip(SKIP_1) | instid1(VALU_DEP_2)
	v_add_co_u32 v9, vcc_lo, v9, v11
	s_wait_alu 0xfffd
	v_add_co_ci_u32_e32 v9, vcc_lo, v10, v12, vcc_lo
	s_wait_alu 0xfffd
	v_add_co_ci_u32_e32 v10, vcc_lo, 0, v14, vcc_lo
	s_delay_alu instid0(VALU_DEP_2) | instskip(SKIP_1) | instid1(VALU_DEP_2)
	v_add_co_u32 v11, vcc_lo, v9, v13
	s_wait_alu 0xfffd
	v_add_co_ci_u32_e64 v12, null, 0, v10, vcc_lo
	s_delay_alu instid0(VALU_DEP_2) | instskip(SKIP_1) | instid1(VALU_DEP_3)
	v_mul_lo_u32 v13, s43, v11
	v_mad_co_u64_u32 v[9:10], null, s42, v11, 0
	v_mul_lo_u32 v14, s42, v12
	s_delay_alu instid0(VALU_DEP_2) | instskip(NEXT) | instid1(VALU_DEP_2)
	v_sub_co_u32 v9, vcc_lo, v15, v9
	v_add3_u32 v10, v10, v14, v13
	v_add_co_u32 v14, s0, v11, 2
	s_wait_alu 0xf1ff
	v_add_co_ci_u32_e64 v15, null, 0, v12, s0
	s_delay_alu instid0(VALU_DEP_3) | instskip(SKIP_3) | instid1(VALU_DEP_3)
	v_sub_nc_u32_e32 v13, v16, v10
	v_sub_co_u32 v17, s0, v9, s42
	s_wait_alu 0xfffd
	v_sub_co_ci_u32_e64 v10, null, v16, v10, vcc_lo
	v_subrev_co_ci_u32_e64 v13, null, s43, v13, vcc_lo
	s_delay_alu instid0(VALU_DEP_3) | instskip(SKIP_1) | instid1(VALU_DEP_2)
	v_cmp_le_u32_e32 vcc_lo, s42, v17
	s_wait_alu 0xf1ff
	v_subrev_co_ci_u32_e64 v13, null, 0, v13, s0
	s_wait_alu 0xfffd
	v_cndmask_b32_e64 v16, 0, -1, vcc_lo
	s_delay_alu instid0(VALU_DEP_2)
	v_cmp_le_u32_e32 vcc_lo, s43, v13
	s_wait_alu 0xfffd
	v_cndmask_b32_e64 v17, 0, -1, vcc_lo
	v_cmp_le_u32_e32 vcc_lo, s42, v9
	s_wait_alu 0xfffd
	v_cndmask_b32_e64 v9, 0, -1, vcc_lo
	;; [unrolled: 3-line block ×3, first 2 shown]
	v_cmp_eq_u32_e32 vcc_lo, s43, v13
	s_wait_alu 0xfffd
	v_cndmask_b32_e32 v13, v17, v16, vcc_lo
	v_add_co_u32 v16, vcc_lo, v11, 1
	s_wait_alu 0xfffd
	v_add_co_ci_u32_e64 v17, null, 0, v12, vcc_lo
	v_cmp_eq_u32_e32 vcc_lo, s43, v10
	s_wait_alu 0xfffd
	v_cndmask_b32_e32 v9, v18, v9, vcc_lo
	v_cmp_ne_u32_e32 vcc_lo, 0, v13
	s_wait_alu 0xfffd
	v_cndmask_b32_e32 v10, v17, v15, vcc_lo
	s_delay_alu instid0(VALU_DEP_3) | instskip(SKIP_2) | instid1(VALU_DEP_2)
	v_cmp_ne_u32_e64 s0, 0, v9
	v_cndmask_b32_e32 v9, v16, v14, vcc_lo
	s_wait_alu 0xf1ff
	v_cndmask_b32_e64 v10, v12, v10, s0
	s_delay_alu instid0(VALU_DEP_2) | instskip(NEXT) | instid1(VALU_DEP_2)
	v_cndmask_b32_e64 v9, v11, v9, s0
	v_xor_b32_e32 v10, v10, v2
	s_delay_alu instid0(VALU_DEP_2) | instskip(NEXT) | instid1(VALU_DEP_1)
	v_xor_b32_e32 v9, v9, v2
	v_sub_co_u32 v9, vcc_lo, v9, v2
	s_wait_alu 0xfffd
	s_delay_alu instid0(VALU_DEP_3)
	v_sub_co_ci_u32_e64 v10, null, v10, v2, vcc_lo
.LBB38_5:                               ;   in Loop: Header=BB38_3 Depth=1
	s_and_not1_saveexec_b32 s0, s45
	s_cbranch_execz .LBB38_7
; %bb.6:                                ;   in Loop: Header=BB38_3 Depth=1
	s_sub_co_i32 s41, 0, s4
	s_wait_alu 0xfffe
	v_mul_lo_u32 v2, s41, v0
	s_delay_alu instid0(VALU_DEP_1) | instskip(NEXT) | instid1(VALU_DEP_1)
	v_mul_hi_u32 v2, v0, v2
	v_add_nc_u32_e32 v2, v0, v2
	s_delay_alu instid0(VALU_DEP_1) | instskip(NEXT) | instid1(VALU_DEP_1)
	v_mul_hi_u32 v2, v3, v2
	v_mul_lo_u32 v9, v2, s4
	v_add_nc_u32_e32 v10, 1, v2
	s_delay_alu instid0(VALU_DEP_2) | instskip(NEXT) | instid1(VALU_DEP_1)
	v_sub_nc_u32_e32 v9, v3, v9
	v_subrev_nc_u32_e32 v11, s4, v9
	v_cmp_le_u32_e32 vcc_lo, s4, v9
	s_wait_alu 0xfffd
	s_delay_alu instid0(VALU_DEP_2) | instskip(NEXT) | instid1(VALU_DEP_1)
	v_dual_cndmask_b32 v9, v9, v11 :: v_dual_cndmask_b32 v2, v2, v10
	v_cmp_le_u32_e32 vcc_lo, s4, v9
	s_delay_alu instid0(VALU_DEP_2) | instskip(SKIP_1) | instid1(VALU_DEP_1)
	v_add_nc_u32_e32 v10, 1, v2
	s_wait_alu 0xfffd
	v_dual_cndmask_b32 v9, v2, v10 :: v_dual_mov_b32 v10, v1
.LBB38_7:                               ;   in Loop: Header=BB38_3 Depth=1
	s_wait_alu 0xfffe
	s_or_b32 exec_lo, exec_lo, s0
	s_delay_alu instid0(VALU_DEP_1) | instskip(SKIP_3) | instid1(VALU_DEP_4)
	v_lshlrev_b64_e32 v[13:14], 1, v[9:10]
	v_mad_co_u64_u32 v[11:12], null, s28, v9, v[3:4]
	v_mul_lo_u32 v2, s28, v10
	v_mul_lo_u32 v15, s29, v9
	v_or_b32_e32 v16, 1, v13
	v_mul_lo_u32 v17, s4, v14
	v_add_co_u32 v20, vcc_lo, v13, 2
	v_mul_lo_u32 v18, v11, s11
	s_delay_alu instid0(VALU_DEP_4) | instskip(SKIP_3) | instid1(VALU_DEP_3)
	v_mul_lo_u32 v19, s5, v16
	v_add3_u32 v2, v15, v12, v2
	v_mad_co_u64_u32 v[15:16], null, s4, v16, v[3:4]
	v_mad_co_u64_u32 v[12:13], null, v11, s10, 0
	v_mul_lo_u32 v21, v2, s10
	s_wait_alu 0xfffd
	v_add_co_ci_u32_e64 v14, null, 0, v14, vcc_lo
	v_mul_lo_u32 v22, s5, v20
	v_add3_u32 v23, v19, v16, v17
	v_mad_co_u64_u32 v[16:17], null, s4, v20, v[3:4]
	s_delay_alu instid0(VALU_DEP_4) | instskip(SKIP_1) | instid1(VALU_DEP_4)
	v_mul_lo_u32 v14, s4, v14
	v_add3_u32 v13, v13, v18, v21
	v_mul_lo_u32 v20, v23, s10
	v_mul_lo_u32 v21, v15, s11
	v_mad_co_u64_u32 v[18:19], null, v15, s10, 0
	v_mul_lo_u32 v25, v16, s11
	v_mul_lo_u32 v26, v11, s15
	v_add3_u32 v24, v22, v17, v14
	v_mul_lo_u32 v2, v2, s14
	v_lshlrev_b64_e32 v[12:13], 2, v[12:13]
	v_add3_u32 v19, v19, v21, v20
	s_delay_alu instid0(VALU_DEP_4) | instskip(SKIP_2) | instid1(VALU_DEP_4)
	v_mul_lo_u32 v14, v24, s10
	v_mad_co_u64_u32 v[21:22], null, v11, s14, 0
	v_mul_lo_u32 v11, v23, s14
	v_lshlrev_b64_e32 v[17:18], 2, v[18:19]
	v_mad_co_u64_u32 v[19:20], null, v16, s10, 0
	v_add_co_u32 v12, vcc_lo, s8, v12
	v_add3_u32 v22, v22, v26, v2
	v_mul_lo_u32 v2, v24, s14
	v_mul_lo_u32 v26, v16, s15
	v_mad_co_u64_u32 v[23:24], null, v16, s14, 0
	v_add3_u32 v20, v20, v25, v14
	v_mul_lo_u32 v25, v15, s15
	v_mad_co_u64_u32 v[14:15], null, v15, s14, 0
	v_lshlrev_b64_e32 v[21:22], 2, v[21:22]
	s_delay_alu instid0(VALU_DEP_4)
	v_lshlrev_b64_e32 v[19:20], 2, v[19:20]
	v_add3_u32 v24, v24, v26, v2
	s_wait_alu 0xfffd
	v_add_co_ci_u32_e64 v13, null, s9, v13, vcc_lo
	v_add_co_u32 v17, vcc_lo, s8, v17
	v_add3_u32 v15, v15, v25, v11
	s_wait_alu 0xfffd
	v_add_co_ci_u32_e64 v18, null, s9, v18, vcc_lo
	v_add_co_u32 v19, vcc_lo, s8, v19
	s_delay_alu instid0(VALU_DEP_3)
	v_lshlrev_b64_e32 v[14:15], 2, v[14:15]
	v_lshlrev_b64_e32 v[23:24], 2, v[23:24]
	s_wait_alu 0xfffd
	v_add_co_ci_u32_e64 v20, null, s9, v20, vcc_lo
	v_add_co_u32 v21, vcc_lo, s12, v21
	s_wait_alu 0xfffd
	v_add_co_ci_u32_e64 v22, null, s13, v22, vcc_lo
	v_add_co_u32 v14, vcc_lo, s12, v14
	;; [unrolled: 3-line block ×3, first 2 shown]
	s_wait_alu 0xfffd
	v_add_co_ci_u32_e64 v24, null, s13, v24, vcc_lo
	s_clause 0x2
	global_load_b32 v12, v[12:13], off
	global_load_b32 v13, v[17:18], off
	;; [unrolled: 1-line block ×3, first 2 shown]
	s_clause 0x2
	global_load_b32 v16, v[21:22], off
	global_load_b32 v14, v[14:15], off
	;; [unrolled: 1-line block ×4, first 2 shown]
	s_and_not1_b32 vcc_lo, exec_lo, s33
	s_wait_alu 0xfffe
	s_cbranch_vccnz .LBB38_9
; %bb.8:                                ;   in Loop: Header=BB38_3 Depth=1
	v_mad_co_u64_u32 v[17:18], null, s34, v9, v[3:4]
	v_mul_lo_u32 v19, s34, v10
	v_mul_lo_u32 v20, s35, v9
	v_sub_co_u32 v21, vcc_lo, 1, v9
	s_wait_alu 0xfffd
	v_sub_co_ci_u32_e64 v22, null, 0, v10, vcc_lo
	v_mul_lo_u32 v23, v17, s17
	s_delay_alu instid0(VALU_DEP_3)
	v_mul_lo_u32 v24, s5, v21
	v_mul_lo_u32 v34, v17, s21
	v_add3_u32 v26, v20, v18, v19
	v_mad_co_u64_u32 v[18:19], null, v17, s16, 0
	v_mul_lo_u32 v22, s4, v22
	v_mad_co_u64_u32 v[20:21], null, s4, v21, v[3:4]
	s_delay_alu instid0(VALU_DEP_4) | instskip(SKIP_1) | instid1(VALU_DEP_3)
	v_mul_lo_u32 v25, v26, s16
	v_mul_lo_u32 v35, v26, s20
	v_add3_u32 v30, v24, v21, v22
	s_delay_alu instid0(VALU_DEP_4) | instskip(NEXT) | instid1(VALU_DEP_4)
	v_mul_lo_u32 v27, v20, s17
	v_add3_u32 v19, v19, v23, v25
	v_sub_co_u32 v23, vcc_lo, 2, v9
	s_wait_alu 0xfffd
	v_sub_co_ci_u32_e64 v24, null, 0, v10, vcc_lo
	v_mul_lo_u32 v25, v30, s16
	v_mad_co_u64_u32 v[21:22], null, v20, s16, 0
	s_delay_alu instid0(VALU_DEP_3)
	v_mul_lo_u32 v28, s4, v24
	v_mul_lo_u32 v29, s5, v23
	v_mad_co_u64_u32 v[23:24], null, s4, v23, v[3:4]
	v_lshlrev_b64_e32 v[18:19], 2, v[18:19]
	v_add3_u32 v22, v22, v27, v25
	v_mad_co_u64_u32 v[26:27], null, v17, s20, 0
	v_mul_lo_u32 v17, v30, s20
	v_add3_u32 v31, v29, v24, v28
	s_delay_alu instid0(VALU_DEP_4) | instskip(SKIP_2) | instid1(VALU_DEP_4)
	v_lshlrev_b64_e32 v[21:22], 2, v[21:22]
	v_mul_lo_u32 v33, v23, s17
	v_mad_co_u64_u32 v[24:25], null, v23, s16, 0
	v_mul_lo_u32 v32, v31, s16
	v_add_co_u32 v18, vcc_lo, s2, v18
	s_wait_alu 0xfffd
	v_add_co_ci_u32_e64 v19, null, s3, v19, vcc_lo
	v_add_co_u32 v28, vcc_lo, s2, v21
	v_mul_lo_u32 v30, v20, s21
	v_mad_co_u64_u32 v[20:21], null, v20, s20, 0
	s_wait_alu 0xfffd
	v_add_co_ci_u32_e64 v29, null, s3, v22, vcc_lo
	v_add3_u32 v25, v25, v33, v32
	v_mul_lo_u32 v31, v31, s20
	v_mul_lo_u32 v32, v23, s21
	v_mad_co_u64_u32 v[22:23], null, v23, s20, 0
	v_add3_u32 v27, v27, v34, v35
	v_add3_u32 v21, v21, v30, v17
	v_lshlrev_b64_e32 v[24:25], 2, v[24:25]
	s_delay_alu instid0(VALU_DEP_3) | instskip(SKIP_1) | instid1(VALU_DEP_4)
	v_lshlrev_b64_e32 v[26:27], 2, v[26:27]
	v_add3_u32 v23, v23, v32, v31
	v_lshlrev_b64_e32 v[20:21], 2, v[20:21]
	s_delay_alu instid0(VALU_DEP_4)
	v_add_co_u32 v24, vcc_lo, s2, v24
	s_wait_alu 0xfffd
	v_add_co_ci_u32_e64 v25, null, s3, v25, vcc_lo
	v_lshlrev_b64_e32 v[22:23], 2, v[22:23]
	v_add_co_u32 v26, vcc_lo, s18, v26
	s_wait_alu 0xfffd
	v_add_co_ci_u32_e64 v27, null, s19, v27, vcc_lo
	v_add_co_u32 v30, vcc_lo, s18, v20
	s_wait_alu 0xfffd
	v_add_co_ci_u32_e64 v31, null, s19, v21, vcc_lo
	;; [unrolled: 3-line block ×3, first 2 shown]
	s_clause 0x2
	global_load_b32 v22, v[18:19], off
	global_load_b32 v17, v[28:29], off
	;; [unrolled: 1-line block ×3, first 2 shown]
	s_clause 0x2
	global_load_b32 v21, v[26:27], off
	global_load_b32 v18, v[30:31], off
	global_load_b32 v20, v[32:33], off
	s_branch .LBB38_10
.LBB38_9:                               ;   in Loop: Header=BB38_3 Depth=1
	v_dual_mov_b32 v17, 0 :: v_dual_mov_b32 v18, 0
	v_dual_mov_b32 v19, 0 :: v_dual_mov_b32 v20, 0
	;; [unrolled: 1-line block ×3, first 2 shown]
.LBB38_10:                              ;   in Loop: Header=BB38_3 Depth=1
	s_wait_loadcnt 0x3
	v_add_f32_e32 v12, v12, v16
	s_delay_alu instid0(VALU_DEP_1) | instskip(SKIP_1) | instid1(VALU_DEP_1)
	v_add_f32_e32 v12, v12, v22
	s_wait_loadcnt 0x2
	v_add_f32_e32 v12, v21, v12
	s_delay_alu instid0(VALU_DEP_1) | instskip(SKIP_1) | instid1(VALU_DEP_2)
	v_mul_f32_e32 v16, 0xbfb8aa3b, v12
	v_cmp_nlt_f32_e32 vcc_lo, 0x42ce8ed0, v12
	v_fma_f32 v21, 0xbfb8aa3b, v12, -v16
	v_rndne_f32_e32 v22, v16
	s_delay_alu instid0(VALU_DEP_1) | instskip(NEXT) | instid1(VALU_DEP_1)
	v_dual_fmac_f32 v21, 0xb2a5705f, v12 :: v_dual_sub_f32 v16, v16, v22
	v_add_f32_e32 v16, v16, v21
	v_cvt_i32_f32_e32 v21, v22
	s_delay_alu instid0(VALU_DEP_2) | instskip(NEXT) | instid1(TRANS32_DEP_1)
	v_exp_f32_e32 v16, v16
	v_ldexp_f32 v16, v16, v21
	s_wait_alu 0xfffd
	s_delay_alu instid0(VALU_DEP_1) | instskip(SKIP_2) | instid1(VALU_DEP_2)
	v_cndmask_b32_e32 v16, 0, v16, vcc_lo
	v_cmp_ngt_f32_e32 vcc_lo, 0xc2b17218, v12
	s_wait_alu 0xfffd
	v_cndmask_b32_e32 v12, 0x7f800000, v16, vcc_lo
	s_delay_alu instid0(VALU_DEP_1) | instskip(NEXT) | instid1(VALU_DEP_1)
	v_add_f32_e32 v12, 1.0, v12
	v_div_scale_f32 v16, null, v12, v12, 1.0
	v_div_scale_f32 v23, vcc_lo, 1.0, v12, 1.0
	s_delay_alu instid0(VALU_DEP_2) | instskip(NEXT) | instid1(TRANS32_DEP_1)
	v_rcp_f32_e32 v21, v16
	v_fma_f32 v22, -v16, v21, 1.0
	s_delay_alu instid0(VALU_DEP_1) | instskip(NEXT) | instid1(VALU_DEP_1)
	v_fmac_f32_e32 v21, v22, v21
	v_mul_f32_e32 v22, v23, v21
	s_delay_alu instid0(VALU_DEP_1) | instskip(NEXT) | instid1(VALU_DEP_1)
	v_fma_f32 v24, -v16, v22, v23
	v_fmac_f32_e32 v22, v24, v21
	s_delay_alu instid0(VALU_DEP_1) | instskip(SKIP_1) | instid1(VALU_DEP_1)
	v_fma_f32 v16, -v16, v22, v23
	s_wait_alu 0xfffd
	v_div_fmas_f32 v21, v16, v21, v22
	v_add_f32_e32 v16, v11, v19
	s_wait_loadcnt 0x0
	v_add_f32_e32 v11, v15, v20
                                        ; implicit-def: $vgpr15
	s_delay_alu instid0(VALU_DEP_3) | instskip(NEXT) | instid1(VALU_DEP_1)
	v_div_fixup_f32 v12, v21, v12, 1.0
	v_fmac_f32_e32 v16, v11, v12
	s_delay_alu instid0(VALU_DEP_1)
	v_cmp_ngt_f32_e64 s0, 0x3f200000, |v16|
	s_and_saveexec_b32 s41, s0
	s_wait_alu 0xfffe
	s_xor_b32 s0, exec_lo, s41
	s_cbranch_execz .LBB38_12
; %bb.11:                               ;   in Loop: Header=BB38_3 Depth=1
	v_add_f32_e64 v15, |v16|, |v16|
	s_delay_alu instid0(VALU_DEP_1) | instskip(SKIP_1) | instid1(VALU_DEP_2)
	v_mul_f32_e32 v19, 0x3fb8aa3b, v15
	v_cmp_ngt_f32_e32 vcc_lo, 0xc2ce8ed0, v15
	v_rndne_f32_e32 v20, v19
	v_fma_f32 v21, 0x3fb8aa3b, v15, -v19
	s_delay_alu instid0(VALU_DEP_2) | instskip(NEXT) | instid1(VALU_DEP_2)
	v_sub_f32_e32 v19, v19, v20
	v_fmac_f32_e32 v21, 0x32a5705f, v15
	v_cvt_i32_f32_e32 v20, v20
	s_delay_alu instid0(VALU_DEP_2) | instskip(NEXT) | instid1(VALU_DEP_1)
	v_add_f32_e32 v19, v19, v21
	v_exp_f32_e32 v19, v19
	s_delay_alu instid0(TRANS32_DEP_1) | instskip(SKIP_1) | instid1(VALU_DEP_1)
	v_ldexp_f32 v19, v19, v20
	s_wait_alu 0xfffd
	v_cndmask_b32_e32 v19, 0, v19, vcc_lo
	v_cmp_nlt_f32_e32 vcc_lo, 0x42b17218, v15
	s_wait_alu 0xfffd
	s_delay_alu instid0(VALU_DEP_2) | instskip(NEXT) | instid1(VALU_DEP_1)
	v_cndmask_b32_e32 v15, 0x7f800000, v19, vcc_lo
	v_add_f32_e32 v15, 1.0, v15
	s_delay_alu instid0(VALU_DEP_1) | instskip(NEXT) | instid1(TRANS32_DEP_1)
	v_rcp_f32_e32 v15, v15
	v_fma_f32 v15, v15, -2.0, 1.0
.LBB38_12:                              ;   in Loop: Header=BB38_3 Depth=1
	s_wait_alu 0xfffe
	s_and_not1_saveexec_b32 s0, s0
	s_cbranch_execz .LBB38_2
; %bb.13:                               ;   in Loop: Header=BB38_3 Depth=1
	v_mul_f32_e32 v15, v16, v16
	s_delay_alu instid0(VALU_DEP_1) | instskip(NEXT) | instid1(VALU_DEP_1)
	v_fmaak_f32 v19, s27, v15, 0x3ca908c9
	v_fmaak_f32 v19, v15, v19, 0xbd5c1c4e
	s_delay_alu instid0(VALU_DEP_1) | instskip(NEXT) | instid1(VALU_DEP_1)
	v_fmaak_f32 v19, v15, v19, 0x3e088382
	v_fmaak_f32 v19, v15, v19, 0xbeaaaa99
	s_delay_alu instid0(VALU_DEP_1) | instskip(NEXT) | instid1(VALU_DEP_1)
	v_mul_f32_e64 v19, |v16|, v19
	v_fma_f32 v15, v15, v19, |v16|
	s_branch .LBB38_2
.LBB38_14:
	s_endpgm
	.section	.rodata,"a",@progbits
	.p2align	6, 0x0
	.amdhsa_kernel _ZN2at6native12_GLOBAL__N_16kernel16gru_cell_forwardIfflLi1EEEvNS_4cuda6detail10TensorInfoIT_T1_EES9_S9_S9_S9_S9_S9_S8_S8_
		.amdhsa_group_segment_fixed_size 0
		.amdhsa_private_segment_fixed_size 0
		.amdhsa_kernarg_size 3184
		.amdhsa_user_sgpr_count 2
		.amdhsa_user_sgpr_dispatch_ptr 0
		.amdhsa_user_sgpr_queue_ptr 0
		.amdhsa_user_sgpr_kernarg_segment_ptr 1
		.amdhsa_user_sgpr_dispatch_id 0
		.amdhsa_user_sgpr_private_segment_size 0
		.amdhsa_wavefront_size32 1
		.amdhsa_uses_dynamic_stack 0
		.amdhsa_enable_private_segment 0
		.amdhsa_system_sgpr_workgroup_id_x 1
		.amdhsa_system_sgpr_workgroup_id_y 0
		.amdhsa_system_sgpr_workgroup_id_z 0
		.amdhsa_system_sgpr_workgroup_info 0
		.amdhsa_system_vgpr_workitem_id 0
		.amdhsa_next_free_vgpr 37
		.amdhsa_next_free_sgpr 56
		.amdhsa_reserve_vcc 1
		.amdhsa_float_round_mode_32 0
		.amdhsa_float_round_mode_16_64 0
		.amdhsa_float_denorm_mode_32 3
		.amdhsa_float_denorm_mode_16_64 3
		.amdhsa_fp16_overflow 0
		.amdhsa_workgroup_processor_mode 1
		.amdhsa_memory_ordered 1
		.amdhsa_forward_progress 1
		.amdhsa_inst_pref_size 31
		.amdhsa_round_robin_scheduling 0
		.amdhsa_exception_fp_ieee_invalid_op 0
		.amdhsa_exception_fp_denorm_src 0
		.amdhsa_exception_fp_ieee_div_zero 0
		.amdhsa_exception_fp_ieee_overflow 0
		.amdhsa_exception_fp_ieee_underflow 0
		.amdhsa_exception_fp_ieee_inexact 0
		.amdhsa_exception_int_div_zero 0
	.end_amdhsa_kernel
	.section	.text._ZN2at6native12_GLOBAL__N_16kernel16gru_cell_forwardIfflLi1EEEvNS_4cuda6detail10TensorInfoIT_T1_EES9_S9_S9_S9_S9_S9_S8_S8_,"axG",@progbits,_ZN2at6native12_GLOBAL__N_16kernel16gru_cell_forwardIfflLi1EEEvNS_4cuda6detail10TensorInfoIT_T1_EES9_S9_S9_S9_S9_S9_S8_S8_,comdat
.Lfunc_end38:
	.size	_ZN2at6native12_GLOBAL__N_16kernel16gru_cell_forwardIfflLi1EEEvNS_4cuda6detail10TensorInfoIT_T1_EES9_S9_S9_S9_S9_S9_S8_S8_, .Lfunc_end38-_ZN2at6native12_GLOBAL__N_16kernel16gru_cell_forwardIfflLi1EEEvNS_4cuda6detail10TensorInfoIT_T1_EES9_S9_S9_S9_S9_S9_S8_S8_
                                        ; -- End function
	.set _ZN2at6native12_GLOBAL__N_16kernel16gru_cell_forwardIfflLi1EEEvNS_4cuda6detail10TensorInfoIT_T1_EES9_S9_S9_S9_S9_S9_S8_S8_.num_vgpr, 37
	.set _ZN2at6native12_GLOBAL__N_16kernel16gru_cell_forwardIfflLi1EEEvNS_4cuda6detail10TensorInfoIT_T1_EES9_S9_S9_S9_S9_S9_S8_S8_.num_agpr, 0
	.set _ZN2at6native12_GLOBAL__N_16kernel16gru_cell_forwardIfflLi1EEEvNS_4cuda6detail10TensorInfoIT_T1_EES9_S9_S9_S9_S9_S9_S8_S8_.numbered_sgpr, 56
	.set _ZN2at6native12_GLOBAL__N_16kernel16gru_cell_forwardIfflLi1EEEvNS_4cuda6detail10TensorInfoIT_T1_EES9_S9_S9_S9_S9_S9_S8_S8_.num_named_barrier, 0
	.set _ZN2at6native12_GLOBAL__N_16kernel16gru_cell_forwardIfflLi1EEEvNS_4cuda6detail10TensorInfoIT_T1_EES9_S9_S9_S9_S9_S9_S8_S8_.private_seg_size, 0
	.set _ZN2at6native12_GLOBAL__N_16kernel16gru_cell_forwardIfflLi1EEEvNS_4cuda6detail10TensorInfoIT_T1_EES9_S9_S9_S9_S9_S9_S8_S8_.uses_vcc, 1
	.set _ZN2at6native12_GLOBAL__N_16kernel16gru_cell_forwardIfflLi1EEEvNS_4cuda6detail10TensorInfoIT_T1_EES9_S9_S9_S9_S9_S9_S8_S8_.uses_flat_scratch, 0
	.set _ZN2at6native12_GLOBAL__N_16kernel16gru_cell_forwardIfflLi1EEEvNS_4cuda6detail10TensorInfoIT_T1_EES9_S9_S9_S9_S9_S9_S8_S8_.has_dyn_sized_stack, 0
	.set _ZN2at6native12_GLOBAL__N_16kernel16gru_cell_forwardIfflLi1EEEvNS_4cuda6detail10TensorInfoIT_T1_EES9_S9_S9_S9_S9_S9_S8_S8_.has_recursion, 0
	.set _ZN2at6native12_GLOBAL__N_16kernel16gru_cell_forwardIfflLi1EEEvNS_4cuda6detail10TensorInfoIT_T1_EES9_S9_S9_S9_S9_S9_S8_S8_.has_indirect_call, 0
	.section	.AMDGPU.csdata,"",@progbits
; Kernel info:
; codeLenInByte = 3936
; TotalNumSgprs: 58
; NumVgprs: 37
; ScratchSize: 0
; MemoryBound: 0
; FloatMode: 240
; IeeeMode: 1
; LDSByteSize: 0 bytes/workgroup (compile time only)
; SGPRBlocks: 0
; VGPRBlocks: 4
; NumSGPRsForWavesPerEU: 58
; NumVGPRsForWavesPerEU: 37
; Occupancy: 16
; WaveLimiterHint : 1
; COMPUTE_PGM_RSRC2:SCRATCH_EN: 0
; COMPUTE_PGM_RSRC2:USER_SGPR: 2
; COMPUTE_PGM_RSRC2:TRAP_HANDLER: 0
; COMPUTE_PGM_RSRC2:TGID_X_EN: 1
; COMPUTE_PGM_RSRC2:TGID_Y_EN: 0
; COMPUTE_PGM_RSRC2:TGID_Z_EN: 0
; COMPUTE_PGM_RSRC2:TIDIG_COMP_CNT: 0
	.section	.text._ZN2at6native12_GLOBAL__N_16kernel16gru_cell_forwardIfflLi2EEEvNS_4cuda6detail10TensorInfoIT_T1_EES9_S9_S9_S9_S9_S9_S8_S8_,"axG",@progbits,_ZN2at6native12_GLOBAL__N_16kernel16gru_cell_forwardIfflLi2EEEvNS_4cuda6detail10TensorInfoIT_T1_EES9_S9_S9_S9_S9_S9_S8_S8_,comdat
	.globl	_ZN2at6native12_GLOBAL__N_16kernel16gru_cell_forwardIfflLi2EEEvNS_4cuda6detail10TensorInfoIT_T1_EES9_S9_S9_S9_S9_S9_S8_S8_ ; -- Begin function _ZN2at6native12_GLOBAL__N_16kernel16gru_cell_forwardIfflLi2EEEvNS_4cuda6detail10TensorInfoIT_T1_EES9_S9_S9_S9_S9_S9_S8_S8_
	.p2align	8
	.type	_ZN2at6native12_GLOBAL__N_16kernel16gru_cell_forwardIfflLi2EEEvNS_4cuda6detail10TensorInfoIT_T1_EES9_S9_S9_S9_S9_S9_S8_S8_,@function
_ZN2at6native12_GLOBAL__N_16kernel16gru_cell_forwardIfflLi2EEEvNS_4cuda6detail10TensorInfoIT_T1_EES9_S9_S9_S9_S9_S9_S8_S8_: ; @_ZN2at6native12_GLOBAL__N_16kernel16gru_cell_forwardIfflLi2EEEvNS_4cuda6detail10TensorInfoIT_T1_EES9_S9_S9_S9_S9_S9_S8_S8_
; %bb.0:
	s_clause 0x1
	s_load_b32 s2, s[0:1], 0xb7c
	s_load_b128 s[4:7], s[0:1], 0xb60
	v_mov_b32_e32 v1, 0
	s_wait_kmcnt 0x0
	s_and_b32 s56, s2, 0xffff
	s_mov_b32 s2, exec_lo
	s_delay_alu instid0(VALU_DEP_1) | instskip(SKIP_1) | instid1(VALU_DEP_1)
	v_mad_co_u64_u32 v[3:4], null, ttmp9, s56, v[0:1]
	v_mov_b32_e32 v4, v1
	v_cmpx_gt_i64_e64 s[6:7], v[3:4]
	s_cbranch_execz .LBB39_66
; %bb.1:
	s_clause 0x1
	s_load_b64 s[2:3], s[0:1], 0x10
	s_load_b64 s[28:29], s[0:1], 0x0
	v_cvt_f32_u32_e32 v0, s4
	s_add_nc_u64 s[16:17], s[0:1], 0xb70
	s_clause 0x4
	s_load_b128 s[8:11], s[0:1], 0xd0
	s_load_b64 s[30:31], s[0:1], 0x1a0
	s_load_b64 s[34:35], s[0:1], 0x340
	;; [unrolled: 1-line block ×3, first 2 shown]
	s_load_b128 s[12:15], s[0:1], 0x270
	s_load_b32 s57, s[16:17], 0x0
	s_clause 0xb
	s_load_b64 s[38:39], s[0:1], 0x410
	s_load_b64 s[40:41], s[0:1], 0x4e0
	;; [unrolled: 1-line block ×5, first 2 shown]
	s_load_b128 s[16:19], s[0:1], 0x750
	s_load_b64 s[48:49], s[0:1], 0x820
	s_load_b64 s[50:51], s[0:1], 0x830
	s_load_b128 s[20:23], s[0:1], 0x8f0
	s_load_b64 s[52:53], s[0:1], 0x9c0
	s_load_b64 s[54:55], s[0:1], 0x9d0
	s_load_b128 s[24:27], s[0:1], 0xa90
	s_mov_b32 s1, 0
	v_rcp_iflag_f32_e32 v0, v0
	s_sub_nc_u64 s[60:61], 0, s[4:5]
	s_mov_b32 s73, 0xbbbac73d
	s_mov_b32 s74, 0
	s_wait_kmcnt 0x0
	s_cmp_lg_u64 s[34:35], 0
	s_cselect_b32 s33, -1, 0
	s_mul_i32 s72, s57, s56
	s_lshl_b64 s[56:57], s[4:5], 1
	s_delay_alu instid0(TRANS32_DEP_1)
	v_mul_f32_e32 v0, 0x4f7ffffe, v0
	s_lshl_b64 s[58:59], s[4:5], 2
	s_ashr_i32 s66, s5, 31
	v_cvt_f32_u32_e32 v2, s2
	s_sub_nc_u64 s[62:63], 0, s[46:47]
	v_cvt_u32_f32_e32 v0, v0
	s_sub_nc_u64 s[64:65], 0, s[50:51]
	s_delay_alu instid0(VALU_DEP_2) | instskip(NEXT) | instid1(TRANS32_DEP_1)
	v_rcp_iflag_f32_e32 v2, v2
	v_mul_f32_e32 v2, 0x4f7ffffe, v2
	s_delay_alu instid0(VALU_DEP_1)
	v_cvt_u32_f32_e32 v15, v2
	s_branch .LBB39_3
.LBB39_2:                               ;   in Loop: Header=BB39_3 Depth=1
	s_wait_alu 0xfffe
	s_or_b32 exec_lo, exec_lo, s0
	s_delay_alu instid0(VALU_DEP_1) | instskip(SKIP_3) | instid1(VALU_DEP_2)
	v_mul_lo_u32 v2, v8, s54
	v_mul_lo_u32 v11, v7, s55
	v_mad_co_u64_u32 v[9:10], null, v7, s54, 0
	v_mul_lo_u32 v12, v8, s24
	v_add3_u32 v2, v10, v11, v2
	s_delay_alu instid0(VALU_DEP_3) | instskip(SKIP_2) | instid1(VALU_DEP_3)
	v_sub_co_u32 v5, vcc_lo, v5, v9
	v_mul_lo_u32 v9, v7, s25
	s_wait_alu 0xfffd
	v_sub_co_ci_u32_e64 v2, null, v6, v2, vcc_lo
	s_delay_alu instid0(VALU_DEP_3) | instskip(SKIP_2) | instid1(VALU_DEP_3)
	v_add_co_u32 v8, vcc_lo, v3, v5
	v_mad_co_u64_u32 v[5:6], null, v7, s24, 0
	s_wait_alu 0xfffd
	v_add_co_ci_u32_e64 v2, null, v4, v2, vcc_lo
	s_delay_alu instid0(VALU_DEP_3) | instskip(SKIP_1) | instid1(VALU_DEP_3)
	v_mul_lo_u32 v10, v8, s27
	v_mad_co_u64_u32 v[7:8], null, v8, s26, 0
	v_mul_lo_u32 v2, v2, s26
	v_add3_u32 v6, v6, v9, v12
	v_add_co_u32 v3, vcc_lo, v3, s72
	s_wait_alu 0xfffd
	v_add_co_ci_u32_e64 v4, null, 0, v4, vcc_lo
	s_delay_alu instid0(VALU_DEP_3) | instskip(SKIP_1) | instid1(VALU_DEP_2)
	v_lshlrev_b64_e32 v[5:6], 2, v[5:6]
	v_add3_u32 v8, v8, v10, v2
	v_add_co_u32 v2, vcc_lo, s52, v5
	s_delay_alu instid0(VALU_DEP_2) | instskip(SKIP_1) | instid1(VALU_DEP_4)
	v_lshlrev_b64_e32 v[7:8], 2, v[7:8]
	s_wait_alu 0xfffd
	v_add_co_ci_u32_e64 v6, null, s53, v6, vcc_lo
	v_cmp_le_i64_e32 vcc_lo, s[6:7], v[3:4]
	s_delay_alu instid0(VALU_DEP_3) | instskip(SKIP_1) | instid1(VALU_DEP_3)
	v_add_co_u32 v5, s0, v2, v7
	s_wait_alu 0xf1ff
	v_add_co_ci_u32_e64 v6, null, v6, v8, s0
	s_or_b32 s74, vcc_lo, s74
	global_store_b32 v[5:6], v14, off
	s_and_not1_b32 exec_lo, exec_lo, s74
	s_cbranch_execz .LBB39_66
.LBB39_3:                               ; =>This Inner Loop Header: Depth=1
	v_or_b32_e32 v2, s5, v4
	v_ashrrev_i32_e32 v16, 31, v4
                                        ; implicit-def: $vgpr5_vgpr6
	s_mov_b32 s0, exec_lo
	s_delay_alu instid0(VALU_DEP_2)
	v_cmpx_ne_u64_e32 0, v[1:2]
	s_wait_alu 0xfffe
	s_xor_b32 s70, exec_lo, s0
	s_cbranch_execz .LBB39_5
; %bb.4:                                ;   in Loop: Header=BB39_3 Depth=1
	s_mov_b32 s67, s66
	v_add_co_u32 v2, vcc_lo, v3, v16
	s_wait_alu 0xfffe
	s_add_nc_u64 s[68:69], s[4:5], s[66:67]
	s_wait_alu 0xfffd
	v_add_co_ci_u32_e64 v5, null, v4, v16, vcc_lo
	s_wait_alu 0xfffe
	s_xor_b64 s[68:69], s[68:69], s[66:67]
	v_xor_b32_e32 v2, v2, v16
	s_wait_alu 0xfffe
	s_cvt_f32_u32 s0, s68
	s_cvt_f32_u32 s67, s69
	s_sub_nc_u64 s[78:79], 0, s[68:69]
	v_xor_b32_e32 v11, v5, v16
	s_wait_alu 0xfffe
	s_fmamk_f32 s0, s67, 0x4f800000, s0
	s_wait_alu 0xfffe
	s_delay_alu instid0(SALU_CYCLE_2) | instskip(NEXT) | instid1(TRANS32_DEP_1)
	v_s_rcp_f32 s0, s0
	s_mul_f32 s0, s0, 0x5f7ffffc
	s_wait_alu 0xfffe
	s_delay_alu instid0(SALU_CYCLE_2) | instskip(SKIP_1) | instid1(SALU_CYCLE_2)
	s_mul_f32 s67, s0, 0x2f800000
	s_wait_alu 0xfffe
	s_trunc_f32 s67, s67
	s_wait_alu 0xfffe
	s_delay_alu instid0(SALU_CYCLE_2) | instskip(SKIP_2) | instid1(SALU_CYCLE_1)
	s_fmamk_f32 s0, s67, 0xcf800000, s0
	s_cvt_u32_f32 s77, s67
	s_wait_alu 0xfffe
	s_cvt_u32_f32 s76, s0
	s_delay_alu instid0(SALU_CYCLE_3) | instskip(NEXT) | instid1(SALU_CYCLE_1)
	s_mul_u64 s[80:81], s[78:79], s[76:77]
	s_mul_hi_u32 s83, s76, s81
	s_mul_i32 s82, s76, s81
	s_mul_hi_u32 s0, s76, s80
	s_mul_i32 s71, s77, s80
	s_wait_alu 0xfffe
	s_add_nc_u64 s[82:83], s[0:1], s[82:83]
	s_mul_hi_u32 s67, s77, s80
	s_mul_hi_u32 s75, s77, s81
	s_add_co_u32 s0, s82, s71
	s_wait_alu 0xfffe
	s_add_co_ci_u32 s0, s83, s67
	s_mul_i32 s80, s77, s81
	s_add_co_ci_u32 s81, s75, 0
	s_wait_alu 0xfffe
	s_add_nc_u64 s[80:81], s[0:1], s[80:81]
	s_delay_alu instid0(SALU_CYCLE_1) | instskip(SKIP_4) | instid1(SALU_CYCLE_1)
	s_add_co_u32 s76, s76, s80
	s_cselect_b32 s0, -1, 0
	s_wait_alu 0xfffe
	s_cmp_lg_u32 s0, 0
	s_add_co_ci_u32 s77, s77, s81
	s_mul_u64 s[78:79], s[78:79], s[76:77]
	s_delay_alu instid0(SALU_CYCLE_1)
	s_mul_hi_u32 s81, s76, s79
	s_mul_i32 s80, s76, s79
	s_mul_hi_u32 s0, s76, s78
	s_mul_i32 s71, s77, s78
	s_wait_alu 0xfffe
	s_add_nc_u64 s[80:81], s[0:1], s[80:81]
	s_mul_hi_u32 s67, s77, s78
	s_mul_hi_u32 s75, s77, s79
	s_add_co_u32 s0, s80, s71
	s_wait_alu 0xfffe
	s_add_co_ci_u32 s0, s81, s67
	s_mul_i32 s78, s77, s79
	s_add_co_ci_u32 s79, s75, 0
	s_wait_alu 0xfffe
	s_add_nc_u64 s[78:79], s[0:1], s[78:79]
	s_delay_alu instid0(SALU_CYCLE_1)
	s_add_co_u32 s0, s76, s78
	s_cselect_b32 s67, -1, 0
	s_wait_alu 0xfffe
	v_mul_hi_u32 v12, v2, s0
	s_cmp_lg_u32 s67, 0
	v_mad_co_u64_u32 v[7:8], null, v11, s0, 0
	s_add_co_ci_u32 s67, s77, s79
	s_wait_alu 0xfffe
	v_mad_co_u64_u32 v[5:6], null, v2, s67, 0
	v_mad_co_u64_u32 v[9:10], null, v11, s67, 0
	s_delay_alu instid0(VALU_DEP_2) | instskip(SKIP_1) | instid1(VALU_DEP_3)
	v_add_co_u32 v5, vcc_lo, v12, v5
	s_wait_alu 0xfffd
	v_add_co_ci_u32_e64 v6, null, 0, v6, vcc_lo
	s_delay_alu instid0(VALU_DEP_2) | instskip(SKIP_1) | instid1(VALU_DEP_2)
	v_add_co_u32 v5, vcc_lo, v5, v7
	s_wait_alu 0xfffd
	v_add_co_ci_u32_e32 v5, vcc_lo, v6, v8, vcc_lo
	s_wait_alu 0xfffd
	v_add_co_ci_u32_e32 v6, vcc_lo, 0, v10, vcc_lo
	s_delay_alu instid0(VALU_DEP_2) | instskip(SKIP_1) | instid1(VALU_DEP_2)
	v_add_co_u32 v7, vcc_lo, v5, v9
	s_wait_alu 0xfffd
	v_add_co_ci_u32_e64 v8, null, 0, v6, vcc_lo
	s_delay_alu instid0(VALU_DEP_2) | instskip(SKIP_1) | instid1(VALU_DEP_3)
	v_mul_lo_u32 v9, s69, v7
	v_mad_co_u64_u32 v[5:6], null, s68, v7, 0
	v_mul_lo_u32 v10, s68, v8
	s_delay_alu instid0(VALU_DEP_2) | instskip(NEXT) | instid1(VALU_DEP_2)
	v_sub_co_u32 v2, vcc_lo, v2, v5
	v_add3_u32 v6, v6, v10, v9
	s_delay_alu instid0(VALU_DEP_1) | instskip(SKIP_2) | instid1(VALU_DEP_2)
	v_sub_nc_u32_e32 v9, v11, v6
	s_wait_alu 0xfffd
	v_sub_co_ci_u32_e64 v6, null, v11, v6, vcc_lo
	v_subrev_co_ci_u32_e64 v5, null, s69, v9, vcc_lo
	v_add_co_u32 v9, s0, v7, 2
	s_wait_alu 0xf1ff
	v_add_co_ci_u32_e64 v10, null, 0, v8, s0
	v_sub_co_u32 v12, s0, v2, s68
	s_wait_alu 0xf1ff
	v_subrev_co_ci_u32_e64 v5, null, 0, v5, s0
	s_delay_alu instid0(VALU_DEP_2) | instskip(SKIP_2) | instid1(VALU_DEP_3)
	v_cmp_le_u32_e32 vcc_lo, s68, v12
	s_wait_alu 0xfffd
	v_cndmask_b32_e64 v11, 0, -1, vcc_lo
	v_cmp_le_u32_e32 vcc_lo, s69, v5
	s_wait_alu 0xfffd
	v_cndmask_b32_e64 v12, 0, -1, vcc_lo
	v_cmp_le_u32_e32 vcc_lo, s68, v2
	s_wait_alu 0xfffd
	v_cndmask_b32_e64 v2, 0, -1, vcc_lo
	v_cmp_le_u32_e32 vcc_lo, s69, v6
	s_wait_alu 0xfffd
	v_cndmask_b32_e64 v13, 0, -1, vcc_lo
	v_cmp_eq_u32_e32 vcc_lo, s69, v5
	s_wait_alu 0xfffd
	v_cndmask_b32_e32 v5, v12, v11, vcc_lo
	v_add_co_u32 v11, vcc_lo, v7, 1
	s_wait_alu 0xfffd
	v_add_co_ci_u32_e64 v12, null, 0, v8, vcc_lo
	v_cmp_eq_u32_e32 vcc_lo, s69, v6
	v_xor_b32_e32 v6, s66, v16
	s_wait_alu 0xfffd
	v_cndmask_b32_e32 v2, v13, v2, vcc_lo
	v_cmp_ne_u32_e32 vcc_lo, 0, v5
	s_delay_alu instid0(VALU_DEP_2) | instskip(SKIP_3) | instid1(VALU_DEP_1)
	v_cmp_ne_u32_e64 s0, 0, v2
	s_wait_alu 0xfffd
	v_dual_cndmask_b32 v5, v12, v10 :: v_dual_cndmask_b32 v2, v11, v9
	s_wait_alu 0xf1ff
	v_cndmask_b32_e64 v5, v8, v5, s0
	s_delay_alu instid0(VALU_DEP_2) | instskip(NEXT) | instid1(VALU_DEP_2)
	v_cndmask_b32_e64 v2, v7, v2, s0
	v_xor_b32_e32 v7, v5, v6
	s_delay_alu instid0(VALU_DEP_2) | instskip(NEXT) | instid1(VALU_DEP_1)
	v_xor_b32_e32 v2, v2, v6
	v_sub_co_u32 v5, vcc_lo, v2, v6
	s_wait_alu 0xfffd
	s_delay_alu instid0(VALU_DEP_3)
	v_sub_co_ci_u32_e64 v6, null, v7, v6, vcc_lo
.LBB39_5:                               ;   in Loop: Header=BB39_3 Depth=1
	s_wait_alu 0xfffe
	s_and_not1_saveexec_b32 s0, s70
	s_cbranch_execz .LBB39_7
; %bb.6:                                ;   in Loop: Header=BB39_3 Depth=1
	s_sub_co_i32 s67, 0, s4
	s_wait_alu 0xfffe
	v_mul_lo_u32 v2, s67, v0
	s_delay_alu instid0(VALU_DEP_1) | instskip(NEXT) | instid1(VALU_DEP_1)
	v_mul_hi_u32 v2, v0, v2
	v_add_nc_u32_e32 v2, v0, v2
	s_delay_alu instid0(VALU_DEP_1) | instskip(NEXT) | instid1(VALU_DEP_1)
	v_mul_hi_u32 v2, v3, v2
	v_mul_lo_u32 v5, v2, s4
	v_add_nc_u32_e32 v6, 1, v2
	s_delay_alu instid0(VALU_DEP_2) | instskip(NEXT) | instid1(VALU_DEP_1)
	v_sub_nc_u32_e32 v5, v3, v5
	v_subrev_nc_u32_e32 v7, s4, v5
	v_cmp_le_u32_e32 vcc_lo, s4, v5
	s_wait_alu 0xfffd
	s_delay_alu instid0(VALU_DEP_2) | instskip(NEXT) | instid1(VALU_DEP_1)
	v_dual_cndmask_b32 v5, v5, v7 :: v_dual_cndmask_b32 v2, v2, v6
	v_cmp_le_u32_e32 vcc_lo, s4, v5
	s_delay_alu instid0(VALU_DEP_2) | instskip(SKIP_1) | instid1(VALU_DEP_1)
	v_add_nc_u32_e32 v6, 1, v2
	s_wait_alu 0xfffd
	v_dual_cndmask_b32 v5, v2, v6 :: v_dual_mov_b32 v6, v1
.LBB39_7:                               ;   in Loop: Header=BB39_3 Depth=1
	s_wait_alu 0xfffe
	s_or_b32 exec_lo, exec_lo, s0
	s_delay_alu instid0(VALU_DEP_1) | instskip(NEXT) | instid1(VALU_DEP_2)
	v_mul_lo_u32 v2, s57, v5
	v_mul_lo_u32 v9, s56, v6
	v_mad_co_u64_u32 v[7:8], null, s56, v5, 0
	s_mov_b32 s0, exec_lo
	v_add3_u32 v8, v8, v9, v2
	v_add_co_u32 v23, vcc_lo, v3, v7
                                        ; implicit-def: $vgpr9_vgpr10
	s_wait_alu 0xfffd
	s_delay_alu instid0(VALU_DEP_2) | instskip(NEXT) | instid1(VALU_DEP_1)
	v_add_co_ci_u32_e64 v26, null, v4, v8, vcc_lo
	v_or_b32_e32 v2, s3, v26
	v_ashrrev_i32_e32 v20, 31, v26
	s_delay_alu instid0(VALU_DEP_2)
	v_cmpx_ne_u64_e32 0, v[1:2]
	s_wait_alu 0xfffe
	s_xor_b32 s67, exec_lo, s0
	s_cbranch_execz .LBB39_9
; %bb.8:                                ;   in Loop: Header=BB39_3 Depth=1
	s_ashr_i32 s68, s3, 31
	v_add_co_u32 v2, vcc_lo, v23, v20
	s_wait_alu 0xfffe
	s_mov_b32 s69, s68
	s_wait_alu 0xfffd
	v_add_co_ci_u32_e64 v9, null, v26, v20, vcc_lo
	s_wait_alu 0xfffe
	s_add_nc_u64 s[70:71], s[2:3], s[68:69]
	v_xor_b32_e32 v2, v2, v20
	s_wait_alu 0xfffe
	s_xor_b64 s[70:71], s[70:71], s[68:69]
	v_xor_b32_e32 v17, v9, v20
	s_wait_alu 0xfffe
	s_cvt_f32_u32 s0, s70
	s_cvt_f32_u32 s69, s71
	s_sub_nc_u64 s[78:79], 0, s[70:71]
	s_wait_alu 0xfffe
	s_delay_alu instid0(SALU_CYCLE_1) | instskip(SKIP_1) | instid1(SALU_CYCLE_2)
	s_fmamk_f32 s0, s69, 0x4f800000, s0
	s_wait_alu 0xfffe
	v_s_rcp_f32 s0, s0
	s_delay_alu instid0(TRANS32_DEP_1) | instskip(SKIP_1) | instid1(SALU_CYCLE_2)
	s_mul_f32 s0, s0, 0x5f7ffffc
	s_wait_alu 0xfffe
	s_mul_f32 s69, s0, 0x2f800000
	s_wait_alu 0xfffe
	s_delay_alu instid0(SALU_CYCLE_2) | instskip(SKIP_1) | instid1(SALU_CYCLE_2)
	s_trunc_f32 s69, s69
	s_wait_alu 0xfffe
	s_fmamk_f32 s0, s69, 0xcf800000, s0
	s_cvt_u32_f32 s77, s69
	s_wait_alu 0xfffe
	s_delay_alu instid0(SALU_CYCLE_1) | instskip(NEXT) | instid1(SALU_CYCLE_3)
	s_cvt_u32_f32 s76, s0
	s_mul_u64 s[80:81], s[78:79], s[76:77]
	s_delay_alu instid0(SALU_CYCLE_1)
	s_mul_hi_u32 s83, s76, s81
	s_mul_i32 s82, s76, s81
	s_mul_hi_u32 s0, s76, s80
	s_mul_i32 s75, s77, s80
	s_wait_alu 0xfffe
	s_add_nc_u64 s[82:83], s[0:1], s[82:83]
	s_mul_hi_u32 s69, s77, s80
	s_mul_hi_u32 s84, s77, s81
	s_add_co_u32 s0, s82, s75
	s_wait_alu 0xfffe
	s_add_co_ci_u32 s0, s83, s69
	s_mul_i32 s80, s77, s81
	s_add_co_ci_u32 s81, s84, 0
	s_wait_alu 0xfffe
	s_add_nc_u64 s[80:81], s[0:1], s[80:81]
	s_delay_alu instid0(SALU_CYCLE_1) | instskip(SKIP_4) | instid1(SALU_CYCLE_1)
	s_add_co_u32 s76, s76, s80
	s_cselect_b32 s0, -1, 0
	s_wait_alu 0xfffe
	s_cmp_lg_u32 s0, 0
	s_add_co_ci_u32 s77, s77, s81
	s_mul_u64 s[78:79], s[78:79], s[76:77]
	s_delay_alu instid0(SALU_CYCLE_1)
	s_mul_hi_u32 s81, s76, s79
	s_mul_i32 s80, s76, s79
	s_mul_hi_u32 s0, s76, s78
	s_mul_i32 s75, s77, s78
	s_wait_alu 0xfffe
	s_add_nc_u64 s[80:81], s[0:1], s[80:81]
	s_mul_hi_u32 s69, s77, s78
	s_mul_hi_u32 s82, s77, s79
	s_add_co_u32 s0, s80, s75
	s_wait_alu 0xfffe
	s_add_co_ci_u32 s0, s81, s69
	s_mul_i32 s78, s77, s79
	s_add_co_ci_u32 s79, s82, 0
	s_wait_alu 0xfffe
	s_add_nc_u64 s[78:79], s[0:1], s[78:79]
	s_delay_alu instid0(SALU_CYCLE_1)
	s_add_co_u32 s0, s76, s78
	s_cselect_b32 s69, -1, 0
	s_wait_alu 0xfffe
	v_mul_hi_u32 v18, v2, s0
	s_cmp_lg_u32 s69, 0
	v_mad_co_u64_u32 v[11:12], null, v17, s0, 0
	s_add_co_ci_u32 s69, s77, s79
	s_wait_alu 0xfffe
	v_mad_co_u64_u32 v[9:10], null, v2, s69, 0
	v_mad_co_u64_u32 v[13:14], null, v17, s69, 0
	s_delay_alu instid0(VALU_DEP_2) | instskip(SKIP_1) | instid1(VALU_DEP_3)
	v_add_co_u32 v9, vcc_lo, v18, v9
	s_wait_alu 0xfffd
	v_add_co_ci_u32_e64 v10, null, 0, v10, vcc_lo
	s_delay_alu instid0(VALU_DEP_2) | instskip(SKIP_1) | instid1(VALU_DEP_2)
	v_add_co_u32 v9, vcc_lo, v9, v11
	s_wait_alu 0xfffd
	v_add_co_ci_u32_e32 v9, vcc_lo, v10, v12, vcc_lo
	s_wait_alu 0xfffd
	v_add_co_ci_u32_e32 v10, vcc_lo, 0, v14, vcc_lo
	s_delay_alu instid0(VALU_DEP_2) | instskip(SKIP_1) | instid1(VALU_DEP_2)
	v_add_co_u32 v11, vcc_lo, v9, v13
	s_wait_alu 0xfffd
	v_add_co_ci_u32_e64 v12, null, 0, v10, vcc_lo
	s_delay_alu instid0(VALU_DEP_2) | instskip(SKIP_1) | instid1(VALU_DEP_3)
	v_mul_lo_u32 v13, s71, v11
	v_mad_co_u64_u32 v[9:10], null, s70, v11, 0
	v_mul_lo_u32 v14, s70, v12
	s_delay_alu instid0(VALU_DEP_2) | instskip(NEXT) | instid1(VALU_DEP_2)
	v_sub_co_u32 v2, vcc_lo, v2, v9
	v_add3_u32 v10, v10, v14, v13
	s_delay_alu instid0(VALU_DEP_1) | instskip(SKIP_2) | instid1(VALU_DEP_2)
	v_sub_nc_u32_e32 v13, v17, v10
	s_wait_alu 0xfffd
	v_sub_co_ci_u32_e64 v10, null, v17, v10, vcc_lo
	v_subrev_co_ci_u32_e64 v9, null, s71, v13, vcc_lo
	v_add_co_u32 v13, s0, v11, 2
	s_wait_alu 0xf1ff
	v_add_co_ci_u32_e64 v14, null, 0, v12, s0
	v_sub_co_u32 v18, s0, v2, s70
	s_wait_alu 0xf1ff
	v_subrev_co_ci_u32_e64 v9, null, 0, v9, s0
	s_delay_alu instid0(VALU_DEP_2) | instskip(SKIP_2) | instid1(VALU_DEP_3)
	v_cmp_le_u32_e32 vcc_lo, s70, v18
	s_wait_alu 0xfffd
	v_cndmask_b32_e64 v17, 0, -1, vcc_lo
	v_cmp_le_u32_e32 vcc_lo, s71, v9
	s_wait_alu 0xfffd
	v_cndmask_b32_e64 v18, 0, -1, vcc_lo
	;; [unrolled: 3-line block ×4, first 2 shown]
	v_cmp_eq_u32_e32 vcc_lo, s71, v9
	s_wait_alu 0xfffd
	v_cndmask_b32_e32 v9, v18, v17, vcc_lo
	v_add_co_u32 v17, vcc_lo, v11, 1
	s_wait_alu 0xfffd
	v_add_co_ci_u32_e64 v18, null, 0, v12, vcc_lo
	v_cmp_eq_u32_e32 vcc_lo, s71, v10
	v_xor_b32_e32 v10, s68, v20
	s_wait_alu 0xfffd
	v_cndmask_b32_e32 v2, v19, v2, vcc_lo
	v_cmp_ne_u32_e32 vcc_lo, 0, v9
	s_delay_alu instid0(VALU_DEP_2) | instskip(SKIP_3) | instid1(VALU_DEP_1)
	v_cmp_ne_u32_e64 s0, 0, v2
	s_wait_alu 0xfffd
	v_dual_cndmask_b32 v9, v18, v14 :: v_dual_cndmask_b32 v2, v17, v13
	s_wait_alu 0xf1ff
	v_cndmask_b32_e64 v9, v12, v9, s0
	s_delay_alu instid0(VALU_DEP_2) | instskip(NEXT) | instid1(VALU_DEP_2)
	v_cndmask_b32_e64 v2, v11, v2, s0
	v_xor_b32_e32 v11, v9, v10
	s_delay_alu instid0(VALU_DEP_2) | instskip(NEXT) | instid1(VALU_DEP_1)
	v_xor_b32_e32 v2, v2, v10
	v_sub_co_u32 v9, vcc_lo, v2, v10
	s_wait_alu 0xfffd
	s_delay_alu instid0(VALU_DEP_3)
	v_sub_co_ci_u32_e64 v10, null, v11, v10, vcc_lo
.LBB39_9:                               ;   in Loop: Header=BB39_3 Depth=1
	s_wait_alu 0xfffe
	s_and_not1_saveexec_b32 s0, s67
	s_cbranch_execz .LBB39_11
; %bb.10:                               ;   in Loop: Header=BB39_3 Depth=1
	s_sub_co_i32 s67, 0, s2
	s_wait_alu 0xfffe
	v_mul_lo_u32 v2, s67, v15
	s_delay_alu instid0(VALU_DEP_1) | instskip(NEXT) | instid1(VALU_DEP_1)
	v_mul_hi_u32 v2, v15, v2
	v_add_nc_u32_e32 v2, v15, v2
	s_delay_alu instid0(VALU_DEP_1) | instskip(NEXT) | instid1(VALU_DEP_1)
	v_mul_hi_u32 v2, v23, v2
	v_mul_lo_u32 v9, v2, s2
	v_add_nc_u32_e32 v10, 1, v2
	s_delay_alu instid0(VALU_DEP_2) | instskip(NEXT) | instid1(VALU_DEP_1)
	v_sub_nc_u32_e32 v9, v23, v9
	v_subrev_nc_u32_e32 v11, s2, v9
	v_cmp_le_u32_e32 vcc_lo, s2, v9
	s_wait_alu 0xfffd
	s_delay_alu instid0(VALU_DEP_2) | instskip(NEXT) | instid1(VALU_DEP_1)
	v_dual_cndmask_b32 v9, v9, v11 :: v_dual_cndmask_b32 v2, v2, v10
	v_cmp_le_u32_e32 vcc_lo, s2, v9
	s_delay_alu instid0(VALU_DEP_2) | instskip(SKIP_1) | instid1(VALU_DEP_1)
	v_add_nc_u32_e32 v10, 1, v2
	s_wait_alu 0xfffd
	v_dual_cndmask_b32 v9, v2, v10 :: v_dual_mov_b32 v10, v1
.LBB39_11:                              ;   in Loop: Header=BB39_3 Depth=1
	s_wait_alu 0xfffe
	s_or_b32 exec_lo, exec_lo, s0
	s_delay_alu instid0(VALU_DEP_1) | instskip(NEXT) | instid1(VALU_DEP_2)
	v_mul_lo_u32 v2, v10, s2
	v_mul_lo_u32 v13, v9, s3
	v_mad_co_u64_u32 v[11:12], null, v9, s2, 0
	v_mul_lo_u32 v14, v9, s9
	s_mov_b32 s0, exec_lo
	s_delay_alu instid0(VALU_DEP_2) | instskip(SKIP_1) | instid1(VALU_DEP_4)
	v_add3_u32 v2, v12, v13, v2
	v_mul_lo_u32 v13, v10, s8
	v_sub_co_u32 v10, vcc_lo, v7, v11
	s_wait_alu 0xfffd
	s_delay_alu instid0(VALU_DEP_3) | instskip(NEXT) | instid1(VALU_DEP_2)
	v_sub_co_ci_u32_e64 v2, null, v8, v2, vcc_lo
	v_add_co_u32 v11, vcc_lo, v3, v10
	v_mad_co_u64_u32 v[9:10], null, v9, s8, 0
	s_wait_alu 0xfffd
	s_delay_alu instid0(VALU_DEP_3) | instskip(NEXT) | instid1(VALU_DEP_3)
	v_add_co_ci_u32_e64 v2, null, v4, v2, vcc_lo
	v_mul_lo_u32 v17, v11, s11
	v_mad_co_u64_u32 v[11:12], null, v11, s10, 0
	s_delay_alu instid0(VALU_DEP_3) | instskip(SKIP_1) | instid1(VALU_DEP_1)
	v_mul_lo_u32 v2, v2, s10
	v_add3_u32 v10, v10, v14, v13
	v_lshlrev_b64_e32 v[9:10], 2, v[9:10]
	s_delay_alu instid0(VALU_DEP_3) | instskip(NEXT) | instid1(VALU_DEP_2)
	v_add3_u32 v12, v12, v17, v2
	v_add_co_u32 v2, vcc_lo, s28, v9
	s_delay_alu instid0(VALU_DEP_2) | instskip(SKIP_1) | instid1(VALU_DEP_4)
	v_lshlrev_b64_e32 v[11:12], 2, v[11:12]
	s_wait_alu 0xfffd
	v_add_co_ci_u32_e64 v10, null, s29, v10, vcc_lo
	s_delay_alu instid0(VALU_DEP_2) | instskip(SKIP_1) | instid1(VALU_DEP_2)
	v_add_co_u32 v9, vcc_lo, v2, v11
	s_wait_alu 0xfffd
	v_add_co_ci_u32_e64 v10, null, v10, v12, vcc_lo
	v_lshlrev_b64_e32 v[11:12], 1, v[5:6]
	v_alignbit_b32 v2, v6, v5, 31
	global_load_b32 v17, v[9:10], off
	v_mul_lo_u32 v2, s4, v2
	v_mul_lo_u32 v13, s5, v11
	v_mad_co_u64_u32 v[9:10], null, s4, v11, s[4:5]
	s_delay_alu instid0(VALU_DEP_1) | instskip(NEXT) | instid1(VALU_DEP_2)
	v_add3_u32 v10, v13, v10, v2
	v_add_co_u32 v24, vcc_lo, v3, v9
                                        ; implicit-def: $vgpr13_vgpr14
	s_wait_alu 0xfffd
	s_delay_alu instid0(VALU_DEP_2) | instskip(NEXT) | instid1(VALU_DEP_1)
	v_add_co_ci_u32_e64 v27, null, v4, v10, vcc_lo
	v_or_b32_e32 v2, s3, v27
	v_ashrrev_i32_e32 v21, 31, v27
	s_delay_alu instid0(VALU_DEP_2)
	v_cmpx_ne_u64_e32 0, v[1:2]
	s_wait_alu 0xfffe
	s_xor_b32 s67, exec_lo, s0
	s_cbranch_execz .LBB39_13
; %bb.12:                               ;   in Loop: Header=BB39_3 Depth=1
	s_ashr_i32 s68, s3, 31
	v_add_co_u32 v2, vcc_lo, v24, v21
	s_wait_alu 0xfffe
	s_mov_b32 s69, s68
	s_wait_alu 0xfffd
	v_add_co_ci_u32_e64 v13, null, v27, v21, vcc_lo
	s_wait_alu 0xfffe
	s_add_nc_u64 s[70:71], s[2:3], s[68:69]
	v_xor_b32_e32 v2, v2, v21
	s_wait_alu 0xfffe
	s_xor_b64 s[70:71], s[70:71], s[68:69]
	v_xor_b32_e32 v22, v13, v21
	s_wait_alu 0xfffe
	s_cvt_f32_u32 s0, s70
	s_cvt_f32_u32 s69, s71
	s_sub_nc_u64 s[78:79], 0, s[70:71]
	s_wait_alu 0xfffe
	s_delay_alu instid0(SALU_CYCLE_1) | instskip(SKIP_1) | instid1(SALU_CYCLE_2)
	s_fmamk_f32 s0, s69, 0x4f800000, s0
	s_wait_alu 0xfffe
	v_s_rcp_f32 s0, s0
	s_delay_alu instid0(TRANS32_DEP_1) | instskip(SKIP_1) | instid1(SALU_CYCLE_2)
	s_mul_f32 s0, s0, 0x5f7ffffc
	s_wait_alu 0xfffe
	s_mul_f32 s69, s0, 0x2f800000
	s_wait_alu 0xfffe
	s_delay_alu instid0(SALU_CYCLE_2) | instskip(SKIP_1) | instid1(SALU_CYCLE_2)
	s_trunc_f32 s69, s69
	s_wait_alu 0xfffe
	s_fmamk_f32 s0, s69, 0xcf800000, s0
	s_cvt_u32_f32 s77, s69
	s_wait_alu 0xfffe
	s_delay_alu instid0(SALU_CYCLE_1) | instskip(NEXT) | instid1(SALU_CYCLE_3)
	s_cvt_u32_f32 s76, s0
	s_mul_u64 s[80:81], s[78:79], s[76:77]
	s_delay_alu instid0(SALU_CYCLE_1)
	s_mul_hi_u32 s83, s76, s81
	s_mul_i32 s82, s76, s81
	s_mul_hi_u32 s0, s76, s80
	s_mul_i32 s75, s77, s80
	s_wait_alu 0xfffe
	s_add_nc_u64 s[82:83], s[0:1], s[82:83]
	s_mul_hi_u32 s69, s77, s80
	s_mul_hi_u32 s84, s77, s81
	s_add_co_u32 s0, s82, s75
	s_wait_alu 0xfffe
	s_add_co_ci_u32 s0, s83, s69
	s_mul_i32 s80, s77, s81
	s_add_co_ci_u32 s81, s84, 0
	s_wait_alu 0xfffe
	s_add_nc_u64 s[80:81], s[0:1], s[80:81]
	s_delay_alu instid0(SALU_CYCLE_1) | instskip(SKIP_4) | instid1(SALU_CYCLE_1)
	s_add_co_u32 s76, s76, s80
	s_cselect_b32 s0, -1, 0
	s_wait_alu 0xfffe
	s_cmp_lg_u32 s0, 0
	s_add_co_ci_u32 s77, s77, s81
	s_mul_u64 s[78:79], s[78:79], s[76:77]
	s_delay_alu instid0(SALU_CYCLE_1)
	s_mul_hi_u32 s81, s76, s79
	s_mul_i32 s80, s76, s79
	s_mul_hi_u32 s0, s76, s78
	s_mul_i32 s75, s77, s78
	s_wait_alu 0xfffe
	s_add_nc_u64 s[80:81], s[0:1], s[80:81]
	s_mul_hi_u32 s69, s77, s78
	s_mul_hi_u32 s82, s77, s79
	s_add_co_u32 s0, s80, s75
	s_wait_alu 0xfffe
	s_add_co_ci_u32 s0, s81, s69
	s_mul_i32 s78, s77, s79
	s_add_co_ci_u32 s79, s82, 0
	s_wait_alu 0xfffe
	s_add_nc_u64 s[78:79], s[0:1], s[78:79]
	s_delay_alu instid0(SALU_CYCLE_1)
	s_add_co_u32 s0, s76, s78
	s_cselect_b32 s69, -1, 0
	s_wait_alu 0xfffe
	v_mul_hi_u32 v25, v2, s0
	s_cmp_lg_u32 s69, 0
	v_mad_co_u64_u32 v[18:19], null, v22, s0, 0
	s_add_co_ci_u32 s69, s77, s79
	s_wait_alu 0xfffe
	v_mad_co_u64_u32 v[13:14], null, v2, s69, 0
	v_mad_co_u64_u32 v[28:29], null, v22, s69, 0
	s_delay_alu instid0(VALU_DEP_2) | instskip(SKIP_1) | instid1(VALU_DEP_3)
	v_add_co_u32 v13, vcc_lo, v25, v13
	s_wait_alu 0xfffd
	v_add_co_ci_u32_e64 v14, null, 0, v14, vcc_lo
	s_delay_alu instid0(VALU_DEP_2) | instskip(SKIP_1) | instid1(VALU_DEP_2)
	v_add_co_u32 v13, vcc_lo, v13, v18
	s_wait_alu 0xfffd
	v_add_co_ci_u32_e32 v13, vcc_lo, v14, v19, vcc_lo
	s_wait_alu 0xfffd
	v_add_co_ci_u32_e32 v14, vcc_lo, 0, v29, vcc_lo
	s_delay_alu instid0(VALU_DEP_2) | instskip(SKIP_1) | instid1(VALU_DEP_2)
	v_add_co_u32 v18, vcc_lo, v13, v28
	s_wait_alu 0xfffd
	v_add_co_ci_u32_e64 v19, null, 0, v14, vcc_lo
	s_delay_alu instid0(VALU_DEP_2) | instskip(SKIP_1) | instid1(VALU_DEP_3)
	v_mul_lo_u32 v25, s71, v18
	v_mad_co_u64_u32 v[13:14], null, s70, v18, 0
	v_mul_lo_u32 v28, s70, v19
	s_delay_alu instid0(VALU_DEP_2) | instskip(NEXT) | instid1(VALU_DEP_2)
	v_sub_co_u32 v2, vcc_lo, v2, v13
	v_add3_u32 v14, v14, v28, v25
	s_delay_alu instid0(VALU_DEP_1) | instskip(SKIP_2) | instid1(VALU_DEP_2)
	v_sub_nc_u32_e32 v25, v22, v14
	s_wait_alu 0xfffd
	v_sub_co_ci_u32_e64 v14, null, v22, v14, vcc_lo
	v_subrev_co_ci_u32_e64 v13, null, s71, v25, vcc_lo
	v_add_co_u32 v25, s0, v18, 2
	s_wait_alu 0xf1ff
	v_add_co_ci_u32_e64 v28, null, 0, v19, s0
	v_sub_co_u32 v29, s0, v2, s70
	s_wait_alu 0xf1ff
	v_subrev_co_ci_u32_e64 v13, null, 0, v13, s0
	s_delay_alu instid0(VALU_DEP_2) | instskip(SKIP_2) | instid1(VALU_DEP_3)
	v_cmp_le_u32_e32 vcc_lo, s70, v29
	s_wait_alu 0xfffd
	v_cndmask_b32_e64 v22, 0, -1, vcc_lo
	v_cmp_le_u32_e32 vcc_lo, s71, v13
	s_wait_alu 0xfffd
	v_cndmask_b32_e64 v29, 0, -1, vcc_lo
	v_cmp_le_u32_e32 vcc_lo, s70, v2
	s_wait_alu 0xfffd
	v_cndmask_b32_e64 v2, 0, -1, vcc_lo
	v_cmp_le_u32_e32 vcc_lo, s71, v14
	s_wait_alu 0xfffd
	v_cndmask_b32_e64 v30, 0, -1, vcc_lo
	v_cmp_eq_u32_e32 vcc_lo, s71, v13
	s_wait_alu 0xfffd
	v_cndmask_b32_e32 v13, v29, v22, vcc_lo
	v_add_co_u32 v22, vcc_lo, v18, 1
	s_wait_alu 0xfffd
	v_add_co_ci_u32_e64 v29, null, 0, v19, vcc_lo
	v_cmp_eq_u32_e32 vcc_lo, s71, v14
	v_xor_b32_e32 v14, s68, v21
	s_wait_alu 0xfffd
	v_cndmask_b32_e32 v2, v30, v2, vcc_lo
	v_cmp_ne_u32_e32 vcc_lo, 0, v13
	s_wait_alu 0xfffd
	v_cndmask_b32_e32 v13, v29, v28, vcc_lo
	s_delay_alu instid0(VALU_DEP_3) | instskip(SKIP_2) | instid1(VALU_DEP_2)
	v_cmp_ne_u32_e64 s0, 0, v2
	v_cndmask_b32_e32 v2, v22, v25, vcc_lo
	s_wait_alu 0xf1ff
	v_cndmask_b32_e64 v13, v19, v13, s0
	s_delay_alu instid0(VALU_DEP_2) | instskip(NEXT) | instid1(VALU_DEP_2)
	v_cndmask_b32_e64 v2, v18, v2, s0
	v_xor_b32_e32 v18, v13, v14
	s_delay_alu instid0(VALU_DEP_2) | instskip(NEXT) | instid1(VALU_DEP_1)
	v_xor_b32_e32 v2, v2, v14
	v_sub_co_u32 v13, vcc_lo, v2, v14
	s_wait_alu 0xfffd
	s_delay_alu instid0(VALU_DEP_3)
	v_sub_co_ci_u32_e64 v14, null, v18, v14, vcc_lo
.LBB39_13:                              ;   in Loop: Header=BB39_3 Depth=1
	s_wait_alu 0xfffe
	s_and_not1_saveexec_b32 s0, s67
	s_cbranch_execz .LBB39_15
; %bb.14:                               ;   in Loop: Header=BB39_3 Depth=1
	s_sub_co_i32 s67, 0, s2
	s_wait_alu 0xfffe
	v_mul_lo_u32 v2, s67, v15
	s_delay_alu instid0(VALU_DEP_1) | instskip(NEXT) | instid1(VALU_DEP_1)
	v_mul_hi_u32 v2, v15, v2
	v_add_nc_u32_e32 v2, v15, v2
	s_delay_alu instid0(VALU_DEP_1) | instskip(NEXT) | instid1(VALU_DEP_1)
	v_mul_hi_u32 v2, v24, v2
	v_mul_lo_u32 v13, v2, s2
	v_add_nc_u32_e32 v14, 1, v2
	s_delay_alu instid0(VALU_DEP_2) | instskip(NEXT) | instid1(VALU_DEP_1)
	v_sub_nc_u32_e32 v13, v24, v13
	v_subrev_nc_u32_e32 v18, s2, v13
	v_cmp_le_u32_e32 vcc_lo, s2, v13
	s_wait_alu 0xfffd
	s_delay_alu instid0(VALU_DEP_2) | instskip(SKIP_1) | instid1(VALU_DEP_2)
	v_cndmask_b32_e32 v13, v13, v18, vcc_lo
	v_cndmask_b32_e32 v2, v2, v14, vcc_lo
	v_cmp_le_u32_e32 vcc_lo, s2, v13
	s_delay_alu instid0(VALU_DEP_2) | instskip(SKIP_1) | instid1(VALU_DEP_1)
	v_add_nc_u32_e32 v14, 1, v2
	s_wait_alu 0xfffd
	v_dual_cndmask_b32 v13, v2, v14 :: v_dual_mov_b32 v14, v1
.LBB39_15:                              ;   in Loop: Header=BB39_3 Depth=1
	s_wait_alu 0xfffe
	s_or_b32 exec_lo, exec_lo, s0
	s_delay_alu instid0(VALU_DEP_1) | instskip(NEXT) | instid1(VALU_DEP_2)
	v_mul_lo_u32 v2, v14, s2
	v_mul_lo_u32 v22, v13, s3
	v_mad_co_u64_u32 v[18:19], null, v13, s2, 0
	v_mul_lo_u32 v25, v13, s9
	s_mov_b32 s0, exec_lo
	s_delay_alu instid0(VALU_DEP_2) | instskip(SKIP_1) | instid1(VALU_DEP_4)
	v_add3_u32 v2, v19, v22, v2
	v_mul_lo_u32 v22, v14, s8
	v_sub_co_u32 v14, vcc_lo, v9, v18
	s_wait_alu 0xfffd
	s_delay_alu instid0(VALU_DEP_3) | instskip(NEXT) | instid1(VALU_DEP_2)
	v_sub_co_ci_u32_e64 v2, null, v10, v2, vcc_lo
	v_add_co_u32 v18, vcc_lo, v3, v14
	v_mad_co_u64_u32 v[13:14], null, v13, s8, 0
	s_wait_alu 0xfffd
	s_delay_alu instid0(VALU_DEP_3) | instskip(NEXT) | instid1(VALU_DEP_3)
	v_add_co_ci_u32_e64 v2, null, v4, v2, vcc_lo
	v_mul_lo_u32 v28, v18, s11
	v_mad_co_u64_u32 v[18:19], null, v18, s10, 0
	s_delay_alu instid0(VALU_DEP_3) | instskip(SKIP_1) | instid1(VALU_DEP_1)
	v_mul_lo_u32 v2, v2, s10
	v_add3_u32 v14, v14, v25, v22
	v_lshlrev_b64_e32 v[13:14], 2, v[13:14]
	s_delay_alu instid0(VALU_DEP_3) | instskip(NEXT) | instid1(VALU_DEP_2)
	v_add3_u32 v19, v19, v28, v2
	v_add_co_u32 v2, vcc_lo, s28, v13
	s_delay_alu instid0(VALU_DEP_2) | instskip(SKIP_1) | instid1(VALU_DEP_4)
	v_lshlrev_b64_e32 v[18:19], 2, v[18:19]
	s_wait_alu 0xfffd
	v_add_co_ci_u32_e64 v14, null, s29, v14, vcc_lo
	s_delay_alu instid0(VALU_DEP_2) | instskip(SKIP_1) | instid1(VALU_DEP_2)
	v_add_co_u32 v13, vcc_lo, v2, v18
	s_wait_alu 0xfffd
	v_add_co_ci_u32_e64 v14, null, v14, v19, vcc_lo
	v_add_co_u32 v2, vcc_lo, v11, 2
	s_wait_alu 0xfffd
	v_add_co_ci_u32_e64 v11, null, 0, v12, vcc_lo
	global_load_b32 v18, v[13:14], off
	v_mul_lo_u32 v13, s5, v2
	v_mul_lo_u32 v14, s4, v11
	v_mad_co_u64_u32 v[11:12], null, s4, v2, 0
	s_delay_alu instid0(VALU_DEP_1) | instskip(NEXT) | instid1(VALU_DEP_2)
	v_add3_u32 v12, v12, v14, v13
	v_add_co_u32 v25, vcc_lo, v3, v11
                                        ; implicit-def: $vgpr13_vgpr14
	s_wait_alu 0xfffd
	s_delay_alu instid0(VALU_DEP_2) | instskip(NEXT) | instid1(VALU_DEP_1)
	v_add_co_ci_u32_e64 v28, null, v4, v12, vcc_lo
	v_or_b32_e32 v2, s3, v28
	v_ashrrev_i32_e32 v22, 31, v28
	s_delay_alu instid0(VALU_DEP_2)
	v_cmpx_ne_u64_e32 0, v[1:2]
	s_wait_alu 0xfffe
	s_xor_b32 s67, exec_lo, s0
	s_cbranch_execz .LBB39_17
; %bb.16:                               ;   in Loop: Header=BB39_3 Depth=1
	s_ashr_i32 s68, s3, 31
	v_add_co_u32 v2, vcc_lo, v25, v22
	s_wait_alu 0xfffe
	s_mov_b32 s69, s68
	s_wait_alu 0xfffd
	v_add_co_ci_u32_e64 v13, null, v28, v22, vcc_lo
	s_wait_alu 0xfffe
	s_add_nc_u64 s[70:71], s[2:3], s[68:69]
	v_xor_b32_e32 v2, v2, v22
	s_wait_alu 0xfffe
	s_xor_b64 s[70:71], s[70:71], s[68:69]
	v_xor_b32_e32 v19, v13, v22
	s_wait_alu 0xfffe
	s_cvt_f32_u32 s0, s70
	s_cvt_f32_u32 s69, s71
	s_sub_nc_u64 s[78:79], 0, s[70:71]
	s_wait_alu 0xfffe
	s_delay_alu instid0(SALU_CYCLE_1) | instskip(SKIP_1) | instid1(SALU_CYCLE_2)
	s_fmamk_f32 s0, s69, 0x4f800000, s0
	s_wait_alu 0xfffe
	v_s_rcp_f32 s0, s0
	s_delay_alu instid0(TRANS32_DEP_1) | instskip(SKIP_1) | instid1(SALU_CYCLE_2)
	s_mul_f32 s0, s0, 0x5f7ffffc
	s_wait_alu 0xfffe
	s_mul_f32 s69, s0, 0x2f800000
	s_wait_alu 0xfffe
	s_delay_alu instid0(SALU_CYCLE_2) | instskip(SKIP_1) | instid1(SALU_CYCLE_2)
	s_trunc_f32 s69, s69
	s_wait_alu 0xfffe
	s_fmamk_f32 s0, s69, 0xcf800000, s0
	s_cvt_u32_f32 s77, s69
	s_wait_alu 0xfffe
	s_delay_alu instid0(SALU_CYCLE_1) | instskip(NEXT) | instid1(SALU_CYCLE_3)
	s_cvt_u32_f32 s76, s0
	s_mul_u64 s[80:81], s[78:79], s[76:77]
	s_delay_alu instid0(SALU_CYCLE_1)
	s_mul_hi_u32 s83, s76, s81
	s_mul_i32 s82, s76, s81
	s_mul_hi_u32 s0, s76, s80
	s_mul_i32 s75, s77, s80
	s_wait_alu 0xfffe
	s_add_nc_u64 s[82:83], s[0:1], s[82:83]
	s_mul_hi_u32 s69, s77, s80
	s_mul_hi_u32 s84, s77, s81
	s_add_co_u32 s0, s82, s75
	s_wait_alu 0xfffe
	s_add_co_ci_u32 s0, s83, s69
	s_mul_i32 s80, s77, s81
	s_add_co_ci_u32 s81, s84, 0
	s_wait_alu 0xfffe
	s_add_nc_u64 s[80:81], s[0:1], s[80:81]
	s_delay_alu instid0(SALU_CYCLE_1) | instskip(SKIP_4) | instid1(SALU_CYCLE_1)
	s_add_co_u32 s76, s76, s80
	s_cselect_b32 s0, -1, 0
	s_wait_alu 0xfffe
	s_cmp_lg_u32 s0, 0
	s_add_co_ci_u32 s77, s77, s81
	s_mul_u64 s[78:79], s[78:79], s[76:77]
	s_delay_alu instid0(SALU_CYCLE_1)
	s_mul_hi_u32 s81, s76, s79
	s_mul_i32 s80, s76, s79
	s_mul_hi_u32 s0, s76, s78
	s_mul_i32 s75, s77, s78
	s_wait_alu 0xfffe
	s_add_nc_u64 s[80:81], s[0:1], s[80:81]
	s_mul_hi_u32 s69, s77, s78
	s_mul_hi_u32 s82, s77, s79
	s_add_co_u32 s0, s80, s75
	s_wait_alu 0xfffe
	s_add_co_ci_u32 s0, s81, s69
	s_mul_i32 s78, s77, s79
	s_add_co_ci_u32 s79, s82, 0
	s_wait_alu 0xfffe
	s_add_nc_u64 s[78:79], s[0:1], s[78:79]
	s_delay_alu instid0(SALU_CYCLE_1)
	s_add_co_u32 s0, s76, s78
	s_cselect_b32 s69, -1, 0
	s_wait_alu 0xfffe
	v_mul_hi_u32 v33, v2, s0
	s_cmp_lg_u32 s69, 0
	v_mad_co_u64_u32 v[29:30], null, v19, s0, 0
	s_add_co_ci_u32 s69, s77, s79
	s_wait_alu 0xfffe
	v_mad_co_u64_u32 v[13:14], null, v2, s69, 0
	v_mad_co_u64_u32 v[31:32], null, v19, s69, 0
	s_delay_alu instid0(VALU_DEP_2) | instskip(SKIP_1) | instid1(VALU_DEP_3)
	v_add_co_u32 v13, vcc_lo, v33, v13
	s_wait_alu 0xfffd
	v_add_co_ci_u32_e64 v14, null, 0, v14, vcc_lo
	s_delay_alu instid0(VALU_DEP_2) | instskip(SKIP_1) | instid1(VALU_DEP_2)
	v_add_co_u32 v13, vcc_lo, v13, v29
	s_wait_alu 0xfffd
	v_add_co_ci_u32_e32 v13, vcc_lo, v14, v30, vcc_lo
	s_wait_alu 0xfffd
	v_add_co_ci_u32_e32 v14, vcc_lo, 0, v32, vcc_lo
	s_delay_alu instid0(VALU_DEP_2) | instskip(SKIP_1) | instid1(VALU_DEP_2)
	v_add_co_u32 v29, vcc_lo, v13, v31
	s_wait_alu 0xfffd
	v_add_co_ci_u32_e64 v30, null, 0, v14, vcc_lo
	s_delay_alu instid0(VALU_DEP_2) | instskip(SKIP_1) | instid1(VALU_DEP_3)
	v_mul_lo_u32 v31, s71, v29
	v_mad_co_u64_u32 v[13:14], null, s70, v29, 0
	v_mul_lo_u32 v32, s70, v30
	s_delay_alu instid0(VALU_DEP_2) | instskip(NEXT) | instid1(VALU_DEP_2)
	v_sub_co_u32 v2, vcc_lo, v2, v13
	v_add3_u32 v14, v14, v32, v31
	s_delay_alu instid0(VALU_DEP_1) | instskip(SKIP_2) | instid1(VALU_DEP_2)
	v_sub_nc_u32_e32 v31, v19, v14
	s_wait_alu 0xfffd
	v_sub_co_ci_u32_e64 v14, null, v19, v14, vcc_lo
	v_subrev_co_ci_u32_e64 v13, null, s71, v31, vcc_lo
	v_add_co_u32 v31, s0, v29, 2
	s_wait_alu 0xf1ff
	v_add_co_ci_u32_e64 v32, null, 0, v30, s0
	v_sub_co_u32 v33, s0, v2, s70
	s_wait_alu 0xf1ff
	v_subrev_co_ci_u32_e64 v13, null, 0, v13, s0
	s_delay_alu instid0(VALU_DEP_2) | instskip(SKIP_2) | instid1(VALU_DEP_3)
	v_cmp_le_u32_e32 vcc_lo, s70, v33
	s_wait_alu 0xfffd
	v_cndmask_b32_e64 v19, 0, -1, vcc_lo
	v_cmp_le_u32_e32 vcc_lo, s71, v13
	s_wait_alu 0xfffd
	v_cndmask_b32_e64 v33, 0, -1, vcc_lo
	v_cmp_le_u32_e32 vcc_lo, s70, v2
	s_wait_alu 0xfffd
	v_cndmask_b32_e64 v2, 0, -1, vcc_lo
	v_cmp_le_u32_e32 vcc_lo, s71, v14
	s_wait_alu 0xfffd
	v_cndmask_b32_e64 v34, 0, -1, vcc_lo
	v_cmp_eq_u32_e32 vcc_lo, s71, v13
	s_wait_alu 0xfffd
	v_cndmask_b32_e32 v13, v33, v19, vcc_lo
	v_add_co_u32 v19, vcc_lo, v29, 1
	s_wait_alu 0xfffd
	v_add_co_ci_u32_e64 v33, null, 0, v30, vcc_lo
	v_cmp_eq_u32_e32 vcc_lo, s71, v14
	v_xor_b32_e32 v14, s68, v22
	s_wait_alu 0xfffd
	v_cndmask_b32_e32 v2, v34, v2, vcc_lo
	v_cmp_ne_u32_e32 vcc_lo, 0, v13
	s_delay_alu instid0(VALU_DEP_2) | instskip(SKIP_3) | instid1(VALU_DEP_1)
	v_cmp_ne_u32_e64 s0, 0, v2
	s_wait_alu 0xfffd
	v_dual_cndmask_b32 v13, v33, v32 :: v_dual_cndmask_b32 v2, v19, v31
	s_wait_alu 0xf1ff
	v_cndmask_b32_e64 v13, v30, v13, s0
	s_delay_alu instid0(VALU_DEP_2) | instskip(NEXT) | instid1(VALU_DEP_2)
	v_cndmask_b32_e64 v2, v29, v2, s0
	v_xor_b32_e32 v19, v13, v14
	s_delay_alu instid0(VALU_DEP_2) | instskip(NEXT) | instid1(VALU_DEP_1)
	v_xor_b32_e32 v2, v2, v14
	v_sub_co_u32 v13, vcc_lo, v2, v14
	s_wait_alu 0xfffd
	s_delay_alu instid0(VALU_DEP_3)
	v_sub_co_ci_u32_e64 v14, null, v19, v14, vcc_lo
.LBB39_17:                              ;   in Loop: Header=BB39_3 Depth=1
	s_wait_alu 0xfffe
	s_and_not1_saveexec_b32 s0, s67
	s_cbranch_execz .LBB39_19
; %bb.18:                               ;   in Loop: Header=BB39_3 Depth=1
	s_sub_co_i32 s67, 0, s2
	s_wait_alu 0xfffe
	v_mul_lo_u32 v2, s67, v15
	s_delay_alu instid0(VALU_DEP_1) | instskip(NEXT) | instid1(VALU_DEP_1)
	v_mul_hi_u32 v2, v15, v2
	v_add_nc_u32_e32 v2, v15, v2
	s_delay_alu instid0(VALU_DEP_1) | instskip(NEXT) | instid1(VALU_DEP_1)
	v_mul_hi_u32 v2, v25, v2
	v_mul_lo_u32 v13, v2, s2
	v_add_nc_u32_e32 v14, 1, v2
	s_delay_alu instid0(VALU_DEP_2) | instskip(NEXT) | instid1(VALU_DEP_1)
	v_sub_nc_u32_e32 v13, v25, v13
	v_subrev_nc_u32_e32 v19, s2, v13
	v_cmp_le_u32_e32 vcc_lo, s2, v13
	s_wait_alu 0xfffd
	s_delay_alu instid0(VALU_DEP_2) | instskip(NEXT) | instid1(VALU_DEP_1)
	v_dual_cndmask_b32 v13, v13, v19 :: v_dual_cndmask_b32 v2, v2, v14
	v_cmp_le_u32_e32 vcc_lo, s2, v13
	s_delay_alu instid0(VALU_DEP_2) | instskip(SKIP_1) | instid1(VALU_DEP_1)
	v_add_nc_u32_e32 v14, 1, v2
	s_wait_alu 0xfffd
	v_dual_cndmask_b32 v13, v2, v14 :: v_dual_mov_b32 v14, v1
.LBB39_19:                              ;   in Loop: Header=BB39_3 Depth=1
	s_wait_alu 0xfffe
	s_or_b32 exec_lo, exec_lo, s0
	s_delay_alu instid0(VALU_DEP_1) | instskip(NEXT) | instid1(VALU_DEP_2)
	v_mul_lo_u32 v2, v14, s2
	v_mul_lo_u32 v19, v13, s3
	v_mad_co_u64_u32 v[29:30], null, v13, s2, 0
	v_mul_lo_u32 v31, v13, s9
	s_mov_b32 s0, exec_lo
	s_delay_alu instid0(VALU_DEP_2) | instskip(SKIP_1) | instid1(VALU_DEP_4)
	v_add3_u32 v2, v30, v19, v2
	v_mul_lo_u32 v19, v14, s8
	v_sub_co_u32 v14, vcc_lo, v11, v29
	s_wait_alu 0xfffd
	s_delay_alu instid0(VALU_DEP_3) | instskip(NEXT) | instid1(VALU_DEP_2)
	v_sub_co_ci_u32_e64 v2, null, v12, v2, vcc_lo
	v_add_co_u32 v29, vcc_lo, v3, v14
	v_mad_co_u64_u32 v[13:14], null, v13, s8, 0
	s_wait_alu 0xfffd
	s_delay_alu instid0(VALU_DEP_3) | instskip(NEXT) | instid1(VALU_DEP_3)
	v_add_co_ci_u32_e64 v2, null, v4, v2, vcc_lo
	v_mul_lo_u32 v32, v29, s11
	v_mad_co_u64_u32 v[29:30], null, v29, s10, 0
	s_delay_alu instid0(VALU_DEP_3) | instskip(SKIP_1) | instid1(VALU_DEP_1)
	v_mul_lo_u32 v2, v2, s10
	v_add3_u32 v14, v14, v31, v19
	v_lshlrev_b64_e32 v[13:14], 2, v[13:14]
	s_delay_alu instid0(VALU_DEP_3) | instskip(NEXT) | instid1(VALU_DEP_2)
	v_add3_u32 v30, v30, v32, v2
	v_add_co_u32 v2, vcc_lo, s28, v13
	s_delay_alu instid0(VALU_DEP_2) | instskip(SKIP_1) | instid1(VALU_DEP_4)
	v_lshlrev_b64_e32 v[29:30], 2, v[29:30]
	s_wait_alu 0xfffd
	v_add_co_ci_u32_e64 v14, null, s29, v14, vcc_lo
	s_delay_alu instid0(VALU_DEP_2) | instskip(SKIP_1) | instid1(VALU_DEP_2)
	v_add_co_u32 v13, vcc_lo, v2, v29
	s_wait_alu 0xfffd
	v_add_co_ci_u32_e64 v14, null, v14, v30, vcc_lo
	v_or_b32_e32 v2, s37, v26
	global_load_b32 v19, v[13:14], off
                                        ; implicit-def: $vgpr13_vgpr14
	v_cmpx_ne_u64_e32 0, v[1:2]
	s_wait_alu 0xfffe
	s_xor_b32 s67, exec_lo, s0
	s_cbranch_execz .LBB39_21
; %bb.20:                               ;   in Loop: Header=BB39_3 Depth=1
	s_ashr_i32 s68, s37, 31
	v_add_co_u32 v2, vcc_lo, v23, v20
	s_wait_alu 0xfffe
	s_mov_b32 s69, s68
	s_wait_alu 0xfffd
	v_add_co_ci_u32_e64 v13, null, v26, v20, vcc_lo
	s_wait_alu 0xfffe
	s_add_nc_u64 s[70:71], s[36:37], s[68:69]
	v_xor_b32_e32 v2, v2, v20
	s_wait_alu 0xfffe
	s_xor_b64 s[70:71], s[70:71], s[68:69]
	v_xor_b32_e32 v23, v13, v20
	s_wait_alu 0xfffe
	s_cvt_f32_u32 s0, s70
	s_cvt_f32_u32 s69, s71
	s_sub_nc_u64 s[78:79], 0, s[70:71]
	s_wait_alu 0xfffe
	s_delay_alu instid0(SALU_CYCLE_1) | instskip(SKIP_1) | instid1(SALU_CYCLE_2)
	s_fmamk_f32 s0, s69, 0x4f800000, s0
	s_wait_alu 0xfffe
	v_s_rcp_f32 s0, s0
	s_delay_alu instid0(TRANS32_DEP_1) | instskip(SKIP_1) | instid1(SALU_CYCLE_2)
	s_mul_f32 s0, s0, 0x5f7ffffc
	s_wait_alu 0xfffe
	s_mul_f32 s69, s0, 0x2f800000
	s_wait_alu 0xfffe
	s_delay_alu instid0(SALU_CYCLE_2) | instskip(SKIP_1) | instid1(SALU_CYCLE_2)
	s_trunc_f32 s69, s69
	s_wait_alu 0xfffe
	s_fmamk_f32 s0, s69, 0xcf800000, s0
	s_cvt_u32_f32 s77, s69
	s_wait_alu 0xfffe
	s_delay_alu instid0(SALU_CYCLE_1) | instskip(NEXT) | instid1(SALU_CYCLE_3)
	s_cvt_u32_f32 s76, s0
	s_mul_u64 s[80:81], s[78:79], s[76:77]
	s_delay_alu instid0(SALU_CYCLE_1)
	s_mul_hi_u32 s83, s76, s81
	s_mul_i32 s82, s76, s81
	s_mul_hi_u32 s0, s76, s80
	s_mul_i32 s75, s77, s80
	s_wait_alu 0xfffe
	s_add_nc_u64 s[82:83], s[0:1], s[82:83]
	s_mul_hi_u32 s69, s77, s80
	s_mul_hi_u32 s84, s77, s81
	s_add_co_u32 s0, s82, s75
	s_wait_alu 0xfffe
	s_add_co_ci_u32 s0, s83, s69
	s_mul_i32 s80, s77, s81
	s_add_co_ci_u32 s81, s84, 0
	s_wait_alu 0xfffe
	s_add_nc_u64 s[80:81], s[0:1], s[80:81]
	s_delay_alu instid0(SALU_CYCLE_1) | instskip(SKIP_4) | instid1(SALU_CYCLE_1)
	s_add_co_u32 s76, s76, s80
	s_cselect_b32 s0, -1, 0
	s_wait_alu 0xfffe
	s_cmp_lg_u32 s0, 0
	s_add_co_ci_u32 s77, s77, s81
	s_mul_u64 s[78:79], s[78:79], s[76:77]
	s_delay_alu instid0(SALU_CYCLE_1)
	s_mul_hi_u32 s81, s76, s79
	s_mul_i32 s80, s76, s79
	s_mul_hi_u32 s0, s76, s78
	s_mul_i32 s75, s77, s78
	s_wait_alu 0xfffe
	s_add_nc_u64 s[80:81], s[0:1], s[80:81]
	s_mul_hi_u32 s69, s77, s78
	s_mul_hi_u32 s82, s77, s79
	s_add_co_u32 s0, s80, s75
	s_wait_alu 0xfffe
	s_add_co_ci_u32 s0, s81, s69
	s_mul_i32 s78, s77, s79
	s_add_co_ci_u32 s79, s82, 0
	s_wait_alu 0xfffe
	s_add_nc_u64 s[78:79], s[0:1], s[78:79]
	s_delay_alu instid0(SALU_CYCLE_1)
	s_add_co_u32 s0, s76, s78
	s_cselect_b32 s69, -1, 0
	s_wait_alu 0xfffe
	v_mul_hi_u32 v26, v2, s0
	s_cmp_lg_u32 s69, 0
	v_mad_co_u64_u32 v[29:30], null, v23, s0, 0
	s_add_co_ci_u32 s69, s77, s79
	s_wait_alu 0xfffe
	v_mad_co_u64_u32 v[13:14], null, v2, s69, 0
	v_mad_co_u64_u32 v[31:32], null, v23, s69, 0
	s_delay_alu instid0(VALU_DEP_2) | instskip(SKIP_1) | instid1(VALU_DEP_3)
	v_add_co_u32 v13, vcc_lo, v26, v13
	s_wait_alu 0xfffd
	v_add_co_ci_u32_e64 v14, null, 0, v14, vcc_lo
	s_delay_alu instid0(VALU_DEP_2) | instskip(SKIP_1) | instid1(VALU_DEP_2)
	v_add_co_u32 v13, vcc_lo, v13, v29
	s_wait_alu 0xfffd
	v_add_co_ci_u32_e32 v13, vcc_lo, v14, v30, vcc_lo
	s_wait_alu 0xfffd
	v_add_co_ci_u32_e32 v14, vcc_lo, 0, v32, vcc_lo
	s_delay_alu instid0(VALU_DEP_2) | instskip(SKIP_1) | instid1(VALU_DEP_2)
	v_add_co_u32 v26, vcc_lo, v13, v31
	s_wait_alu 0xfffd
	v_add_co_ci_u32_e64 v29, null, 0, v14, vcc_lo
	s_delay_alu instid0(VALU_DEP_2) | instskip(SKIP_1) | instid1(VALU_DEP_3)
	v_mul_lo_u32 v30, s71, v26
	v_mad_co_u64_u32 v[13:14], null, s70, v26, 0
	v_mul_lo_u32 v31, s70, v29
	s_delay_alu instid0(VALU_DEP_2) | instskip(NEXT) | instid1(VALU_DEP_2)
	v_sub_co_u32 v2, vcc_lo, v2, v13
	v_add3_u32 v14, v14, v31, v30
	s_delay_alu instid0(VALU_DEP_1) | instskip(SKIP_2) | instid1(VALU_DEP_2)
	v_sub_nc_u32_e32 v30, v23, v14
	s_wait_alu 0xfffd
	v_sub_co_ci_u32_e64 v14, null, v23, v14, vcc_lo
	v_subrev_co_ci_u32_e64 v13, null, s71, v30, vcc_lo
	v_add_co_u32 v30, s0, v26, 2
	s_wait_alu 0xf1ff
	v_add_co_ci_u32_e64 v31, null, 0, v29, s0
	v_sub_co_u32 v32, s0, v2, s70
	s_wait_alu 0xf1ff
	v_subrev_co_ci_u32_e64 v13, null, 0, v13, s0
	s_delay_alu instid0(VALU_DEP_2) | instskip(SKIP_2) | instid1(VALU_DEP_3)
	v_cmp_le_u32_e32 vcc_lo, s70, v32
	s_wait_alu 0xfffd
	v_cndmask_b32_e64 v23, 0, -1, vcc_lo
	v_cmp_le_u32_e32 vcc_lo, s71, v13
	s_wait_alu 0xfffd
	v_cndmask_b32_e64 v32, 0, -1, vcc_lo
	;; [unrolled: 3-line block ×4, first 2 shown]
	v_cmp_eq_u32_e32 vcc_lo, s71, v13
	s_wait_alu 0xfffd
	v_cndmask_b32_e32 v13, v32, v23, vcc_lo
	v_add_co_u32 v23, vcc_lo, v26, 1
	s_wait_alu 0xfffd
	v_add_co_ci_u32_e64 v32, null, 0, v29, vcc_lo
	v_cmp_eq_u32_e32 vcc_lo, s71, v14
	v_xor_b32_e32 v14, s68, v20
	s_wait_alu 0xfffd
	v_cndmask_b32_e32 v2, v33, v2, vcc_lo
	v_cmp_ne_u32_e32 vcc_lo, 0, v13
	s_delay_alu instid0(VALU_DEP_2) | instskip(SKIP_3) | instid1(VALU_DEP_1)
	v_cmp_ne_u32_e64 s0, 0, v2
	s_wait_alu 0xfffd
	v_dual_cndmask_b32 v13, v32, v31 :: v_dual_cndmask_b32 v2, v23, v30
                                        ; implicit-def: $vgpr23
	s_wait_alu 0xf1ff
	v_cndmask_b32_e64 v13, v29, v13, s0
	s_delay_alu instid0(VALU_DEP_2) | instskip(NEXT) | instid1(VALU_DEP_2)
	v_cndmask_b32_e64 v2, v26, v2, s0
	v_xor_b32_e32 v20, v13, v14
	s_delay_alu instid0(VALU_DEP_2) | instskip(NEXT) | instid1(VALU_DEP_1)
	v_xor_b32_e32 v2, v2, v14
	v_sub_co_u32 v13, vcc_lo, v2, v14
	s_wait_alu 0xfffd
	s_delay_alu instid0(VALU_DEP_3)
	v_sub_co_ci_u32_e64 v14, null, v20, v14, vcc_lo
.LBB39_21:                              ;   in Loop: Header=BB39_3 Depth=1
	s_wait_alu 0xfffe
	s_or_saveexec_b32 s0, s67
	v_cvt_f32_u32_e32 v20, s36
	s_wait_alu 0xfffe
	s_xor_b32 exec_lo, exec_lo, s0
	s_cbranch_execz .LBB39_23
; %bb.22:                               ;   in Loop: Header=BB39_3 Depth=1
	s_delay_alu instid0(VALU_DEP_1) | instskip(SKIP_1) | instid1(TRANS32_DEP_1)
	v_rcp_iflag_f32_e32 v2, v20
	s_sub_co_i32 s67, 0, s36
	v_mul_f32_e32 v2, 0x4f7ffffe, v2
	s_delay_alu instid0(VALU_DEP_1) | instskip(SKIP_1) | instid1(VALU_DEP_1)
	v_cvt_u32_f32_e32 v2, v2
	s_wait_alu 0xfffe
	v_mul_lo_u32 v13, s67, v2
	s_delay_alu instid0(VALU_DEP_1) | instskip(NEXT) | instid1(VALU_DEP_1)
	v_mul_hi_u32 v13, v2, v13
	v_add_nc_u32_e32 v2, v2, v13
	s_delay_alu instid0(VALU_DEP_1) | instskip(NEXT) | instid1(VALU_DEP_1)
	v_mul_hi_u32 v2, v23, v2
	v_mul_lo_u32 v13, v2, s36
	v_add_nc_u32_e32 v14, 1, v2
	s_delay_alu instid0(VALU_DEP_2) | instskip(NEXT) | instid1(VALU_DEP_1)
	v_sub_nc_u32_e32 v13, v23, v13
	v_subrev_nc_u32_e32 v23, s36, v13
	v_cmp_le_u32_e32 vcc_lo, s36, v13
	s_wait_alu 0xfffd
	s_delay_alu instid0(VALU_DEP_2) | instskip(NEXT) | instid1(VALU_DEP_1)
	v_dual_cndmask_b32 v13, v13, v23 :: v_dual_cndmask_b32 v2, v2, v14
	v_cmp_le_u32_e32 vcc_lo, s36, v13
	s_delay_alu instid0(VALU_DEP_2) | instskip(SKIP_1) | instid1(VALU_DEP_1)
	v_add_nc_u32_e32 v14, 1, v2
	s_wait_alu 0xfffd
	v_dual_cndmask_b32 v13, v2, v14 :: v_dual_mov_b32 v14, v1
.LBB39_23:                              ;   in Loop: Header=BB39_3 Depth=1
	s_or_b32 exec_lo, exec_lo, s0
	s_delay_alu instid0(VALU_DEP_1) | instskip(NEXT) | instid1(VALU_DEP_2)
	v_mul_lo_u32 v2, v14, s36
	v_mul_lo_u32 v23, v13, s37
	v_mad_co_u64_u32 v[29:30], null, v13, s36, 0
	v_mul_lo_u32 v26, v13, s13
	s_mov_b32 s0, exec_lo
	s_delay_alu instid0(VALU_DEP_2) | instskip(NEXT) | instid1(VALU_DEP_3)
	v_add3_u32 v2, v30, v23, v2
	v_sub_co_u32 v7, vcc_lo, v7, v29
	v_mul_lo_u32 v23, v14, s12
	s_wait_alu 0xfffd
	s_delay_alu instid0(VALU_DEP_3) | instskip(NEXT) | instid1(VALU_DEP_3)
	v_sub_co_ci_u32_e64 v2, null, v8, v2, vcc_lo
	v_add_co_u32 v14, vcc_lo, v3, v7
	v_mad_co_u64_u32 v[7:8], null, v13, s12, 0
	s_wait_alu 0xfffd
	s_delay_alu instid0(VALU_DEP_3) | instskip(NEXT) | instid1(VALU_DEP_3)
	v_add_co_ci_u32_e64 v2, null, v4, v2, vcc_lo
	v_mul_lo_u32 v29, v14, s15
	v_mad_co_u64_u32 v[13:14], null, v14, s14, 0
	s_delay_alu instid0(VALU_DEP_3) | instskip(SKIP_1) | instid1(VALU_DEP_1)
	v_mul_lo_u32 v2, v2, s14
	v_add3_u32 v8, v8, v26, v23
	v_lshlrev_b64_e32 v[7:8], 2, v[7:8]
	s_delay_alu instid0(VALU_DEP_3) | instskip(NEXT) | instid1(VALU_DEP_2)
	v_add3_u32 v14, v14, v29, v2
	v_add_co_u32 v2, vcc_lo, s30, v7
	s_delay_alu instid0(VALU_DEP_2) | instskip(SKIP_1) | instid1(VALU_DEP_4)
	v_lshlrev_b64_e32 v[13:14], 2, v[13:14]
	s_wait_alu 0xfffd
	v_add_co_ci_u32_e64 v8, null, s31, v8, vcc_lo
	s_delay_alu instid0(VALU_DEP_2) | instskip(SKIP_1) | instid1(VALU_DEP_2)
	v_add_co_u32 v7, vcc_lo, v2, v13
	s_wait_alu 0xfffd
	v_add_co_ci_u32_e64 v8, null, v8, v14, vcc_lo
	v_or_b32_e32 v2, s37, v27
	global_load_b32 v14, v[7:8], off
                                        ; implicit-def: $vgpr7_vgpr8
	v_cmpx_ne_u64_e32 0, v[1:2]
	s_wait_alu 0xfffe
	s_xor_b32 s67, exec_lo, s0
	s_cbranch_execz .LBB39_25
; %bb.24:                               ;   in Loop: Header=BB39_3 Depth=1
	s_ashr_i32 s68, s37, 31
	v_add_co_u32 v2, vcc_lo, v24, v21
	s_wait_alu 0xfffe
	s_mov_b32 s69, s68
	s_wait_alu 0xfffd
	v_add_co_ci_u32_e64 v7, null, v27, v21, vcc_lo
	s_wait_alu 0xfffe
	s_add_nc_u64 s[70:71], s[36:37], s[68:69]
	v_xor_b32_e32 v2, v2, v21
	s_wait_alu 0xfffe
	s_xor_b64 s[70:71], s[70:71], s[68:69]
	v_xor_b32_e32 v13, v7, v21
	s_wait_alu 0xfffe
	s_cvt_f32_u32 s0, s70
	s_cvt_f32_u32 s69, s71
	s_sub_nc_u64 s[78:79], 0, s[70:71]
	s_wait_alu 0xfffe
	s_delay_alu instid0(SALU_CYCLE_1) | instskip(SKIP_1) | instid1(SALU_CYCLE_2)
	s_fmamk_f32 s0, s69, 0x4f800000, s0
	s_wait_alu 0xfffe
	v_s_rcp_f32 s0, s0
	s_delay_alu instid0(TRANS32_DEP_1) | instskip(SKIP_1) | instid1(SALU_CYCLE_2)
	s_mul_f32 s0, s0, 0x5f7ffffc
	s_wait_alu 0xfffe
	s_mul_f32 s69, s0, 0x2f800000
	s_wait_alu 0xfffe
	s_delay_alu instid0(SALU_CYCLE_2) | instskip(SKIP_1) | instid1(SALU_CYCLE_2)
	s_trunc_f32 s69, s69
	s_wait_alu 0xfffe
	s_fmamk_f32 s0, s69, 0xcf800000, s0
	s_cvt_u32_f32 s77, s69
	s_wait_alu 0xfffe
	s_delay_alu instid0(SALU_CYCLE_1) | instskip(NEXT) | instid1(SALU_CYCLE_3)
	s_cvt_u32_f32 s76, s0
	s_mul_u64 s[80:81], s[78:79], s[76:77]
	s_delay_alu instid0(SALU_CYCLE_1)
	s_mul_hi_u32 s83, s76, s81
	s_mul_i32 s82, s76, s81
	s_mul_hi_u32 s0, s76, s80
	s_mul_i32 s75, s77, s80
	s_wait_alu 0xfffe
	s_add_nc_u64 s[82:83], s[0:1], s[82:83]
	s_mul_hi_u32 s69, s77, s80
	s_mul_hi_u32 s84, s77, s81
	s_add_co_u32 s0, s82, s75
	s_wait_alu 0xfffe
	s_add_co_ci_u32 s0, s83, s69
	s_mul_i32 s80, s77, s81
	s_add_co_ci_u32 s81, s84, 0
	s_wait_alu 0xfffe
	s_add_nc_u64 s[80:81], s[0:1], s[80:81]
	s_delay_alu instid0(SALU_CYCLE_1) | instskip(SKIP_4) | instid1(SALU_CYCLE_1)
	s_add_co_u32 s76, s76, s80
	s_cselect_b32 s0, -1, 0
	s_wait_alu 0xfffe
	s_cmp_lg_u32 s0, 0
	s_add_co_ci_u32 s77, s77, s81
	s_mul_u64 s[78:79], s[78:79], s[76:77]
	s_delay_alu instid0(SALU_CYCLE_1)
	s_mul_hi_u32 s81, s76, s79
	s_mul_i32 s80, s76, s79
	s_mul_hi_u32 s0, s76, s78
	s_mul_i32 s75, s77, s78
	s_wait_alu 0xfffe
	s_add_nc_u64 s[80:81], s[0:1], s[80:81]
	s_mul_hi_u32 s69, s77, s78
	s_mul_hi_u32 s82, s77, s79
	s_add_co_u32 s0, s80, s75
	s_wait_alu 0xfffe
	s_add_co_ci_u32 s0, s81, s69
	s_mul_i32 s78, s77, s79
	s_add_co_ci_u32 s79, s82, 0
	s_wait_alu 0xfffe
	s_add_nc_u64 s[78:79], s[0:1], s[78:79]
	s_delay_alu instid0(SALU_CYCLE_1)
	s_add_co_u32 s0, s76, s78
	s_cselect_b32 s69, -1, 0
	s_wait_alu 0xfffe
	v_mul_hi_u32 v29, v2, s0
	s_cmp_lg_u32 s69, 0
	v_mad_co_u64_u32 v[23:24], null, v13, s0, 0
	s_add_co_ci_u32 s69, s77, s79
	s_wait_alu 0xfffe
	v_mad_co_u64_u32 v[7:8], null, v2, s69, 0
	v_mad_co_u64_u32 v[26:27], null, v13, s69, 0
	s_delay_alu instid0(VALU_DEP_2) | instskip(SKIP_1) | instid1(VALU_DEP_3)
	v_add_co_u32 v7, vcc_lo, v29, v7
	s_wait_alu 0xfffd
	v_add_co_ci_u32_e64 v8, null, 0, v8, vcc_lo
	s_delay_alu instid0(VALU_DEP_2) | instskip(SKIP_1) | instid1(VALU_DEP_2)
	v_add_co_u32 v7, vcc_lo, v7, v23
	s_wait_alu 0xfffd
	v_add_co_ci_u32_e32 v7, vcc_lo, v8, v24, vcc_lo
	s_wait_alu 0xfffd
	v_add_co_ci_u32_e32 v8, vcc_lo, 0, v27, vcc_lo
	s_delay_alu instid0(VALU_DEP_2) | instskip(SKIP_1) | instid1(VALU_DEP_2)
	v_add_co_u32 v23, vcc_lo, v7, v26
	s_wait_alu 0xfffd
	v_add_co_ci_u32_e64 v24, null, 0, v8, vcc_lo
	s_delay_alu instid0(VALU_DEP_2) | instskip(SKIP_1) | instid1(VALU_DEP_3)
	v_mul_lo_u32 v26, s71, v23
	v_mad_co_u64_u32 v[7:8], null, s70, v23, 0
	v_mul_lo_u32 v27, s70, v24
	s_delay_alu instid0(VALU_DEP_2) | instskip(NEXT) | instid1(VALU_DEP_2)
	v_sub_co_u32 v2, vcc_lo, v2, v7
	v_add3_u32 v8, v8, v27, v26
	s_delay_alu instid0(VALU_DEP_1) | instskip(SKIP_2) | instid1(VALU_DEP_2)
	v_sub_nc_u32_e32 v26, v13, v8
	s_wait_alu 0xfffd
	v_sub_co_ci_u32_e64 v8, null, v13, v8, vcc_lo
	v_subrev_co_ci_u32_e64 v7, null, s71, v26, vcc_lo
	v_add_co_u32 v26, s0, v23, 2
	s_wait_alu 0xf1ff
	v_add_co_ci_u32_e64 v27, null, 0, v24, s0
	v_sub_co_u32 v29, s0, v2, s70
	s_wait_alu 0xf1ff
	v_subrev_co_ci_u32_e64 v7, null, 0, v7, s0
	s_delay_alu instid0(VALU_DEP_2) | instskip(SKIP_2) | instid1(VALU_DEP_3)
	v_cmp_le_u32_e32 vcc_lo, s70, v29
	s_wait_alu 0xfffd
	v_cndmask_b32_e64 v13, 0, -1, vcc_lo
	v_cmp_le_u32_e32 vcc_lo, s71, v7
	s_wait_alu 0xfffd
	v_cndmask_b32_e64 v29, 0, -1, vcc_lo
	;; [unrolled: 3-line block ×4, first 2 shown]
	v_cmp_eq_u32_e32 vcc_lo, s71, v7
	s_wait_alu 0xfffd
	v_cndmask_b32_e32 v7, v29, v13, vcc_lo
	v_add_co_u32 v13, vcc_lo, v23, 1
	s_wait_alu 0xfffd
	v_add_co_ci_u32_e64 v29, null, 0, v24, vcc_lo
	v_cmp_eq_u32_e32 vcc_lo, s71, v8
	v_xor_b32_e32 v8, s68, v21
	s_wait_alu 0xfffd
	v_cndmask_b32_e32 v2, v30, v2, vcc_lo
	v_cmp_ne_u32_e32 vcc_lo, 0, v7
	s_delay_alu instid0(VALU_DEP_2) | instskip(SKIP_4) | instid1(VALU_DEP_2)
	v_cmp_ne_u32_e64 s0, 0, v2
	s_wait_alu 0xfffd
	v_cndmask_b32_e32 v2, v13, v26, vcc_lo
	v_cndmask_b32_e32 v7, v29, v27, vcc_lo
	s_wait_alu 0xf1ff
	v_cndmask_b32_e64 v2, v23, v2, s0
	s_delay_alu instid0(VALU_DEP_2) | instskip(NEXT) | instid1(VALU_DEP_2)
	v_cndmask_b32_e64 v7, v24, v7, s0
                                        ; implicit-def: $vgpr24
	v_xor_b32_e32 v2, v2, v8
	s_delay_alu instid0(VALU_DEP_2) | instskip(NEXT) | instid1(VALU_DEP_2)
	v_xor_b32_e32 v13, v7, v8
	v_sub_co_u32 v7, vcc_lo, v2, v8
	s_wait_alu 0xfffd
	s_delay_alu instid0(VALU_DEP_2)
	v_sub_co_ci_u32_e64 v8, null, v13, v8, vcc_lo
.LBB39_25:                              ;   in Loop: Header=BB39_3 Depth=1
	s_wait_alu 0xfffe
	s_and_not1_saveexec_b32 s0, s67
	s_cbranch_execz .LBB39_27
; %bb.26:                               ;   in Loop: Header=BB39_3 Depth=1
	v_rcp_iflag_f32_e32 v2, v20
	s_sub_co_i32 s67, 0, s36
	s_delay_alu instid0(TRANS32_DEP_1) | instskip(NEXT) | instid1(VALU_DEP_1)
	v_mul_f32_e32 v2, 0x4f7ffffe, v2
	v_cvt_u32_f32_e32 v2, v2
	s_wait_alu 0xfffe
	s_delay_alu instid0(VALU_DEP_1) | instskip(NEXT) | instid1(VALU_DEP_1)
	v_mul_lo_u32 v7, s67, v2
	v_mul_hi_u32 v7, v2, v7
	s_delay_alu instid0(VALU_DEP_1) | instskip(NEXT) | instid1(VALU_DEP_1)
	v_add_nc_u32_e32 v2, v2, v7
	v_mul_hi_u32 v2, v24, v2
	s_delay_alu instid0(VALU_DEP_1) | instskip(SKIP_1) | instid1(VALU_DEP_2)
	v_mul_lo_u32 v7, v2, s36
	v_add_nc_u32_e32 v8, 1, v2
	v_sub_nc_u32_e32 v7, v24, v7
	s_delay_alu instid0(VALU_DEP_1) | instskip(SKIP_2) | instid1(VALU_DEP_2)
	v_subrev_nc_u32_e32 v13, s36, v7
	v_cmp_le_u32_e32 vcc_lo, s36, v7
	s_wait_alu 0xfffd
	v_dual_cndmask_b32 v7, v7, v13 :: v_dual_cndmask_b32 v2, v2, v8
	s_delay_alu instid0(VALU_DEP_1) | instskip(NEXT) | instid1(VALU_DEP_2)
	v_cmp_le_u32_e32 vcc_lo, s36, v7
	v_add_nc_u32_e32 v8, 1, v2
	s_wait_alu 0xfffd
	s_delay_alu instid0(VALU_DEP_1)
	v_dual_cndmask_b32 v7, v2, v8 :: v_dual_mov_b32 v8, v1
.LBB39_27:                              ;   in Loop: Header=BB39_3 Depth=1
	s_wait_alu 0xfffe
	s_or_b32 exec_lo, exec_lo, s0
	s_delay_alu instid0(VALU_DEP_1) | instskip(NEXT) | instid1(VALU_DEP_2)
	v_mul_lo_u32 v2, v8, s36
	v_mul_lo_u32 v13, v7, s37
	v_mad_co_u64_u32 v[23:24], null, v7, s36, 0
	v_mul_lo_u32 v21, v7, s13
	s_mov_b32 s0, exec_lo
	s_delay_alu instid0(VALU_DEP_2) | instskip(SKIP_1) | instid1(VALU_DEP_4)
	v_add3_u32 v2, v24, v13, v2
	v_mul_lo_u32 v13, v8, s12
	v_sub_co_u32 v8, vcc_lo, v9, v23
	s_wait_alu 0xfffd
	s_delay_alu instid0(VALU_DEP_3) | instskip(NEXT) | instid1(VALU_DEP_2)
	v_sub_co_ci_u32_e64 v2, null, v10, v2, vcc_lo
	v_add_co_u32 v9, vcc_lo, v3, v8
	v_mad_co_u64_u32 v[7:8], null, v7, s12, 0
	s_wait_alu 0xfffd
	s_delay_alu instid0(VALU_DEP_3) | instskip(NEXT) | instid1(VALU_DEP_3)
	v_add_co_ci_u32_e64 v2, null, v4, v2, vcc_lo
	v_mul_lo_u32 v23, v9, s15
	v_mad_co_u64_u32 v[9:10], null, v9, s14, 0
	s_delay_alu instid0(VALU_DEP_3) | instskip(SKIP_1) | instid1(VALU_DEP_1)
	v_mul_lo_u32 v2, v2, s14
	v_add3_u32 v8, v8, v21, v13
	v_lshlrev_b64_e32 v[7:8], 2, v[7:8]
	s_delay_alu instid0(VALU_DEP_3) | instskip(NEXT) | instid1(VALU_DEP_2)
	v_add3_u32 v10, v10, v23, v2
	v_add_co_u32 v2, vcc_lo, s30, v7
	s_delay_alu instid0(VALU_DEP_2) | instskip(SKIP_1) | instid1(VALU_DEP_4)
	v_lshlrev_b64_e32 v[9:10], 2, v[9:10]
	s_wait_alu 0xfffd
	v_add_co_ci_u32_e64 v8, null, s31, v8, vcc_lo
	s_delay_alu instid0(VALU_DEP_2) | instskip(SKIP_1) | instid1(VALU_DEP_2)
	v_add_co_u32 v7, vcc_lo, v2, v9
	s_wait_alu 0xfffd
	v_add_co_ci_u32_e64 v8, null, v8, v10, vcc_lo
	v_or_b32_e32 v2, s37, v28
	global_load_b32 v9, v[7:8], off
                                        ; implicit-def: $vgpr7_vgpr8
	v_cmpx_ne_u64_e32 0, v[1:2]
	s_wait_alu 0xfffe
	s_xor_b32 s67, exec_lo, s0
	s_cbranch_execz .LBB39_29
; %bb.28:                               ;   in Loop: Header=BB39_3 Depth=1
	s_ashr_i32 s68, s37, 31
	v_add_co_u32 v2, vcc_lo, v25, v22
	s_wait_alu 0xfffe
	s_mov_b32 s69, s68
	s_wait_alu 0xfffd
	v_add_co_ci_u32_e64 v7, null, v28, v22, vcc_lo
	s_wait_alu 0xfffe
	s_add_nc_u64 s[70:71], s[36:37], s[68:69]
	v_xor_b32_e32 v2, v2, v22
	s_wait_alu 0xfffe
	s_xor_b64 s[70:71], s[70:71], s[68:69]
	v_xor_b32_e32 v10, v7, v22
	s_wait_alu 0xfffe
	s_cvt_f32_u32 s0, s70
	s_cvt_f32_u32 s69, s71
	s_sub_nc_u64 s[78:79], 0, s[70:71]
	s_wait_alu 0xfffe
	s_delay_alu instid0(SALU_CYCLE_1) | instskip(SKIP_1) | instid1(SALU_CYCLE_2)
	s_fmamk_f32 s0, s69, 0x4f800000, s0
	s_wait_alu 0xfffe
	v_s_rcp_f32 s0, s0
	s_delay_alu instid0(TRANS32_DEP_1) | instskip(SKIP_1) | instid1(SALU_CYCLE_2)
	s_mul_f32 s0, s0, 0x5f7ffffc
	s_wait_alu 0xfffe
	s_mul_f32 s69, s0, 0x2f800000
	s_wait_alu 0xfffe
	s_delay_alu instid0(SALU_CYCLE_2) | instskip(SKIP_1) | instid1(SALU_CYCLE_2)
	s_trunc_f32 s69, s69
	s_wait_alu 0xfffe
	s_fmamk_f32 s0, s69, 0xcf800000, s0
	s_cvt_u32_f32 s77, s69
	s_wait_alu 0xfffe
	s_delay_alu instid0(SALU_CYCLE_1) | instskip(NEXT) | instid1(SALU_CYCLE_3)
	s_cvt_u32_f32 s76, s0
	s_mul_u64 s[80:81], s[78:79], s[76:77]
	s_delay_alu instid0(SALU_CYCLE_1)
	s_mul_hi_u32 s83, s76, s81
	s_mul_i32 s82, s76, s81
	s_mul_hi_u32 s0, s76, s80
	s_mul_i32 s75, s77, s80
	s_wait_alu 0xfffe
	s_add_nc_u64 s[82:83], s[0:1], s[82:83]
	s_mul_hi_u32 s69, s77, s80
	s_mul_hi_u32 s84, s77, s81
	s_add_co_u32 s0, s82, s75
	s_wait_alu 0xfffe
	s_add_co_ci_u32 s0, s83, s69
	s_mul_i32 s80, s77, s81
	s_add_co_ci_u32 s81, s84, 0
	s_wait_alu 0xfffe
	s_add_nc_u64 s[80:81], s[0:1], s[80:81]
	s_delay_alu instid0(SALU_CYCLE_1) | instskip(SKIP_4) | instid1(SALU_CYCLE_1)
	s_add_co_u32 s76, s76, s80
	s_cselect_b32 s0, -1, 0
	s_wait_alu 0xfffe
	s_cmp_lg_u32 s0, 0
	s_add_co_ci_u32 s77, s77, s81
	s_mul_u64 s[78:79], s[78:79], s[76:77]
	s_delay_alu instid0(SALU_CYCLE_1)
	s_mul_hi_u32 s81, s76, s79
	s_mul_i32 s80, s76, s79
	s_mul_hi_u32 s0, s76, s78
	s_mul_i32 s75, s77, s78
	s_wait_alu 0xfffe
	s_add_nc_u64 s[80:81], s[0:1], s[80:81]
	s_mul_hi_u32 s69, s77, s78
	s_mul_hi_u32 s82, s77, s79
	s_add_co_u32 s0, s80, s75
	s_wait_alu 0xfffe
	s_add_co_ci_u32 s0, s81, s69
	s_mul_i32 s78, s77, s79
	s_add_co_ci_u32 s79, s82, 0
	s_wait_alu 0xfffe
	s_add_nc_u64 s[78:79], s[0:1], s[78:79]
	s_delay_alu instid0(SALU_CYCLE_1)
	s_add_co_u32 s0, s76, s78
	s_cselect_b32 s69, -1, 0
	s_wait_alu 0xfffe
	v_mul_hi_u32 v13, v2, s0
	s_cmp_lg_u32 s69, 0
	v_mad_co_u64_u32 v[20:21], null, v10, s0, 0
	s_add_co_ci_u32 s69, s77, s79
	s_wait_alu 0xfffe
	v_mad_co_u64_u32 v[7:8], null, v2, s69, 0
	v_mad_co_u64_u32 v[23:24], null, v10, s69, 0
	s_delay_alu instid0(VALU_DEP_2) | instskip(SKIP_1) | instid1(VALU_DEP_3)
	v_add_co_u32 v7, vcc_lo, v13, v7
	s_wait_alu 0xfffd
	v_add_co_ci_u32_e64 v8, null, 0, v8, vcc_lo
	s_delay_alu instid0(VALU_DEP_2) | instskip(SKIP_1) | instid1(VALU_DEP_2)
	v_add_co_u32 v7, vcc_lo, v7, v20
	s_wait_alu 0xfffd
	v_add_co_ci_u32_e32 v7, vcc_lo, v8, v21, vcc_lo
	s_wait_alu 0xfffd
	v_add_co_ci_u32_e32 v8, vcc_lo, 0, v24, vcc_lo
	s_delay_alu instid0(VALU_DEP_2) | instskip(SKIP_1) | instid1(VALU_DEP_2)
	v_add_co_u32 v13, vcc_lo, v7, v23
	s_wait_alu 0xfffd
	v_add_co_ci_u32_e64 v20, null, 0, v8, vcc_lo
	s_delay_alu instid0(VALU_DEP_2) | instskip(SKIP_1) | instid1(VALU_DEP_3)
	v_mul_lo_u32 v21, s71, v13
	v_mad_co_u64_u32 v[7:8], null, s70, v13, 0
	v_mul_lo_u32 v23, s70, v20
	s_delay_alu instid0(VALU_DEP_2) | instskip(NEXT) | instid1(VALU_DEP_2)
	v_sub_co_u32 v2, vcc_lo, v2, v7
	v_add3_u32 v8, v8, v23, v21
	s_delay_alu instid0(VALU_DEP_1) | instskip(SKIP_2) | instid1(VALU_DEP_2)
	v_sub_nc_u32_e32 v21, v10, v8
	s_wait_alu 0xfffd
	v_sub_co_ci_u32_e64 v8, null, v10, v8, vcc_lo
	v_subrev_co_ci_u32_e64 v7, null, s71, v21, vcc_lo
	v_add_co_u32 v21, s0, v13, 2
	s_wait_alu 0xf1ff
	v_add_co_ci_u32_e64 v23, null, 0, v20, s0
	v_sub_co_u32 v24, s0, v2, s70
	s_wait_alu 0xf1ff
	v_subrev_co_ci_u32_e64 v7, null, 0, v7, s0
	s_delay_alu instid0(VALU_DEP_2) | instskip(SKIP_2) | instid1(VALU_DEP_3)
	v_cmp_le_u32_e32 vcc_lo, s70, v24
	s_wait_alu 0xfffd
	v_cndmask_b32_e64 v10, 0, -1, vcc_lo
	v_cmp_le_u32_e32 vcc_lo, s71, v7
	s_wait_alu 0xfffd
	v_cndmask_b32_e64 v24, 0, -1, vcc_lo
	v_cmp_le_u32_e32 vcc_lo, s70, v2
	s_wait_alu 0xfffd
	v_cndmask_b32_e64 v2, 0, -1, vcc_lo
	v_cmp_le_u32_e32 vcc_lo, s71, v8
	s_wait_alu 0xfffd
	v_cndmask_b32_e64 v25, 0, -1, vcc_lo
	v_cmp_eq_u32_e32 vcc_lo, s71, v7
	s_wait_alu 0xfffd
	v_cndmask_b32_e32 v7, v24, v10, vcc_lo
	v_add_co_u32 v10, vcc_lo, v13, 1
	s_wait_alu 0xfffd
	v_add_co_ci_u32_e64 v24, null, 0, v20, vcc_lo
	v_cmp_eq_u32_e32 vcc_lo, s71, v8
	v_xor_b32_e32 v8, s68, v22
	s_wait_alu 0xfffd
	v_cndmask_b32_e32 v2, v25, v2, vcc_lo
	v_cmp_ne_u32_e32 vcc_lo, 0, v7
                                        ; implicit-def: $vgpr25
	s_wait_alu 0xfffd
	v_cndmask_b32_e32 v7, v24, v23, vcc_lo
	s_delay_alu instid0(VALU_DEP_3) | instskip(SKIP_2) | instid1(VALU_DEP_2)
	v_cmp_ne_u32_e64 s0, 0, v2
	v_cndmask_b32_e32 v2, v10, v21, vcc_lo
	s_wait_alu 0xf1ff
	v_cndmask_b32_e64 v7, v20, v7, s0
	s_delay_alu instid0(VALU_DEP_2) | instskip(NEXT) | instid1(VALU_DEP_2)
	v_cndmask_b32_e64 v2, v13, v2, s0
                                        ; implicit-def: $vgpr20
	v_xor_b32_e32 v10, v7, v8
	s_delay_alu instid0(VALU_DEP_2) | instskip(NEXT) | instid1(VALU_DEP_1)
	v_xor_b32_e32 v2, v2, v8
	v_sub_co_u32 v7, vcc_lo, v2, v8
	s_wait_alu 0xfffd
	s_delay_alu instid0(VALU_DEP_3)
	v_sub_co_ci_u32_e64 v8, null, v10, v8, vcc_lo
.LBB39_29:                              ;   in Loop: Header=BB39_3 Depth=1
	s_wait_alu 0xfffe
	s_and_not1_saveexec_b32 s0, s67
	s_cbranch_execz .LBB39_31
; %bb.30:                               ;   in Loop: Header=BB39_3 Depth=1
	v_rcp_iflag_f32_e32 v2, v20
	s_sub_co_i32 s67, 0, s36
	s_delay_alu instid0(TRANS32_DEP_1) | instskip(NEXT) | instid1(VALU_DEP_1)
	v_mul_f32_e32 v2, 0x4f7ffffe, v2
	v_cvt_u32_f32_e32 v2, v2
	s_wait_alu 0xfffe
	s_delay_alu instid0(VALU_DEP_1) | instskip(NEXT) | instid1(VALU_DEP_1)
	v_mul_lo_u32 v7, s67, v2
	v_mul_hi_u32 v7, v2, v7
	s_delay_alu instid0(VALU_DEP_1) | instskip(NEXT) | instid1(VALU_DEP_1)
	v_add_nc_u32_e32 v2, v2, v7
	v_mul_hi_u32 v2, v25, v2
	s_delay_alu instid0(VALU_DEP_1) | instskip(SKIP_1) | instid1(VALU_DEP_2)
	v_mul_lo_u32 v7, v2, s36
	v_add_nc_u32_e32 v8, 1, v2
	v_sub_nc_u32_e32 v7, v25, v7
	s_delay_alu instid0(VALU_DEP_1) | instskip(SKIP_2) | instid1(VALU_DEP_2)
	v_subrev_nc_u32_e32 v10, s36, v7
	v_cmp_le_u32_e32 vcc_lo, s36, v7
	s_wait_alu 0xfffd
	v_dual_cndmask_b32 v7, v7, v10 :: v_dual_cndmask_b32 v2, v2, v8
	s_delay_alu instid0(VALU_DEP_1) | instskip(NEXT) | instid1(VALU_DEP_2)
	v_cmp_le_u32_e32 vcc_lo, s36, v7
	v_add_nc_u32_e32 v8, 1, v2
	s_wait_alu 0xfffd
	s_delay_alu instid0(VALU_DEP_1)
	v_dual_cndmask_b32 v7, v2, v8 :: v_dual_mov_b32 v8, v1
.LBB39_31:                              ;   in Loop: Header=BB39_3 Depth=1
	s_wait_alu 0xfffe
	s_or_b32 exec_lo, exec_lo, s0
	s_delay_alu instid0(VALU_DEP_1) | instskip(NEXT) | instid1(VALU_DEP_2)
	v_mul_lo_u32 v2, v8, s36
	v_mul_lo_u32 v10, v7, s37
	v_mad_co_u64_u32 v[20:21], null, v7, s36, 0
	v_mul_lo_u32 v13, v8, s12
	s_mov_b32 s0, exec_lo
	s_delay_alu instid0(VALU_DEP_2) | instskip(NEXT) | instid1(VALU_DEP_3)
	v_add3_u32 v2, v21, v10, v2
	v_sub_co_u32 v8, vcc_lo, v11, v20
	s_wait_alu 0xfffd
	s_delay_alu instid0(VALU_DEP_2) | instskip(NEXT) | instid1(VALU_DEP_2)
	v_sub_co_ci_u32_e64 v2, null, v12, v2, vcc_lo
	v_add_co_u32 v10, vcc_lo, v3, v8
	v_mul_lo_u32 v12, v7, s13
	s_wait_alu 0xfffd
	s_delay_alu instid0(VALU_DEP_3) | instskip(SKIP_3) | instid1(VALU_DEP_4)
	v_add_co_ci_u32_e64 v2, null, v4, v2, vcc_lo
	v_mad_co_u64_u32 v[7:8], null, v7, s12, 0
	v_mul_lo_u32 v20, v10, s15
	v_mad_co_u64_u32 v[10:11], null, v10, s14, 0
	v_mul_lo_u32 v2, v2, s14
	s_delay_alu instid0(VALU_DEP_4) | instskip(NEXT) | instid1(VALU_DEP_2)
	v_add3_u32 v8, v8, v12, v13
	v_add3_u32 v11, v11, v20, v2
	s_delay_alu instid0(VALU_DEP_2) | instskip(NEXT) | instid1(VALU_DEP_2)
	v_lshlrev_b64_e32 v[7:8], 2, v[7:8]
	v_lshlrev_b64_e32 v[10:11], 2, v[10:11]
	s_delay_alu instid0(VALU_DEP_2) | instskip(SKIP_1) | instid1(VALU_DEP_3)
	v_add_co_u32 v2, vcc_lo, s30, v7
	s_wait_alu 0xfffd
	v_add_co_ci_u32_e64 v8, null, s31, v8, vcc_lo
	s_delay_alu instid0(VALU_DEP_2) | instskip(SKIP_1) | instid1(VALU_DEP_2)
	v_add_co_u32 v7, vcc_lo, v2, v10
	s_wait_alu 0xfffd
	v_add_co_ci_u32_e64 v8, null, v8, v11, vcc_lo
	v_or_b32_e32 v2, s47, v4
	global_load_b32 v10, v[7:8], off
                                        ; implicit-def: $vgpr7_vgpr8
	v_cmpx_ne_u64_e32 0, v[1:2]
	s_wait_alu 0xfffe
	s_xor_b32 s67, exec_lo, s0
	s_cbranch_execz .LBB39_33
; %bb.32:                               ;   in Loop: Header=BB39_3 Depth=1
	s_ashr_i32 s68, s47, 31
	v_add_co_u32 v2, vcc_lo, v3, v16
	s_wait_alu 0xfffe
	s_mov_b32 s69, s68
	s_wait_alu 0xfffd
	v_add_co_ci_u32_e64 v7, null, v4, v16, vcc_lo
	s_wait_alu 0xfffe
	s_add_nc_u64 s[70:71], s[46:47], s[68:69]
	v_xor_b32_e32 v2, v2, v16
	s_wait_alu 0xfffe
	s_xor_b64 s[70:71], s[70:71], s[68:69]
	v_xor_b32_e32 v13, v7, v16
	s_wait_alu 0xfffe
	s_cvt_f32_u32 s0, s70
	s_cvt_f32_u32 s69, s71
	s_sub_nc_u64 s[78:79], 0, s[70:71]
	s_wait_alu 0xfffe
	s_delay_alu instid0(SALU_CYCLE_1) | instskip(SKIP_1) | instid1(SALU_CYCLE_2)
	s_fmamk_f32 s0, s69, 0x4f800000, s0
	s_wait_alu 0xfffe
	v_s_rcp_f32 s0, s0
	s_delay_alu instid0(TRANS32_DEP_1) | instskip(SKIP_1) | instid1(SALU_CYCLE_2)
	s_mul_f32 s0, s0, 0x5f7ffffc
	s_wait_alu 0xfffe
	s_mul_f32 s69, s0, 0x2f800000
	s_wait_alu 0xfffe
	s_delay_alu instid0(SALU_CYCLE_2) | instskip(SKIP_1) | instid1(SALU_CYCLE_2)
	s_trunc_f32 s69, s69
	s_wait_alu 0xfffe
	s_fmamk_f32 s0, s69, 0xcf800000, s0
	s_cvt_u32_f32 s77, s69
	s_wait_alu 0xfffe
	s_delay_alu instid0(SALU_CYCLE_1) | instskip(NEXT) | instid1(SALU_CYCLE_3)
	s_cvt_u32_f32 s76, s0
	s_mul_u64 s[80:81], s[78:79], s[76:77]
	s_delay_alu instid0(SALU_CYCLE_1)
	s_mul_hi_u32 s83, s76, s81
	s_mul_i32 s82, s76, s81
	s_mul_hi_u32 s0, s76, s80
	s_mul_i32 s75, s77, s80
	s_wait_alu 0xfffe
	s_add_nc_u64 s[82:83], s[0:1], s[82:83]
	s_mul_hi_u32 s69, s77, s80
	s_mul_hi_u32 s84, s77, s81
	s_add_co_u32 s0, s82, s75
	s_wait_alu 0xfffe
	s_add_co_ci_u32 s0, s83, s69
	s_mul_i32 s80, s77, s81
	s_add_co_ci_u32 s81, s84, 0
	s_wait_alu 0xfffe
	s_add_nc_u64 s[80:81], s[0:1], s[80:81]
	s_delay_alu instid0(SALU_CYCLE_1) | instskip(SKIP_4) | instid1(SALU_CYCLE_1)
	s_add_co_u32 s76, s76, s80
	s_cselect_b32 s0, -1, 0
	s_wait_alu 0xfffe
	s_cmp_lg_u32 s0, 0
	s_add_co_ci_u32 s77, s77, s81
	s_mul_u64 s[78:79], s[78:79], s[76:77]
	s_delay_alu instid0(SALU_CYCLE_1)
	s_mul_hi_u32 s81, s76, s79
	s_mul_i32 s80, s76, s79
	s_mul_hi_u32 s0, s76, s78
	s_mul_i32 s75, s77, s78
	s_wait_alu 0xfffe
	s_add_nc_u64 s[80:81], s[0:1], s[80:81]
	s_mul_hi_u32 s69, s77, s78
	s_mul_hi_u32 s82, s77, s79
	s_add_co_u32 s0, s80, s75
	s_wait_alu 0xfffe
	s_add_co_ci_u32 s0, s81, s69
	s_mul_i32 s78, s77, s79
	s_add_co_ci_u32 s79, s82, 0
	s_wait_alu 0xfffe
	s_add_nc_u64 s[78:79], s[0:1], s[78:79]
	s_delay_alu instid0(SALU_CYCLE_1)
	s_add_co_u32 s0, s76, s78
	s_cselect_b32 s69, -1, 0
	s_wait_alu 0xfffe
	v_mul_hi_u32 v22, v2, s0
	s_cmp_lg_u32 s69, 0
	v_mad_co_u64_u32 v[11:12], null, v13, s0, 0
	s_add_co_ci_u32 s69, s77, s79
	s_wait_alu 0xfffe
	v_mad_co_u64_u32 v[7:8], null, v2, s69, 0
	v_mad_co_u64_u32 v[20:21], null, v13, s69, 0
	s_delay_alu instid0(VALU_DEP_2) | instskip(SKIP_1) | instid1(VALU_DEP_3)
	v_add_co_u32 v7, vcc_lo, v22, v7
	s_wait_alu 0xfffd
	v_add_co_ci_u32_e64 v8, null, 0, v8, vcc_lo
	s_delay_alu instid0(VALU_DEP_2) | instskip(SKIP_1) | instid1(VALU_DEP_2)
	v_add_co_u32 v7, vcc_lo, v7, v11
	s_wait_alu 0xfffd
	v_add_co_ci_u32_e32 v7, vcc_lo, v8, v12, vcc_lo
	s_wait_alu 0xfffd
	v_add_co_ci_u32_e32 v8, vcc_lo, 0, v21, vcc_lo
	s_delay_alu instid0(VALU_DEP_2) | instskip(SKIP_1) | instid1(VALU_DEP_2)
	v_add_co_u32 v11, vcc_lo, v7, v20
	s_wait_alu 0xfffd
	v_add_co_ci_u32_e64 v12, null, 0, v8, vcc_lo
	s_delay_alu instid0(VALU_DEP_2) | instskip(SKIP_1) | instid1(VALU_DEP_3)
	v_mul_lo_u32 v20, s71, v11
	v_mad_co_u64_u32 v[7:8], null, s70, v11, 0
	v_mul_lo_u32 v21, s70, v12
	s_delay_alu instid0(VALU_DEP_2) | instskip(NEXT) | instid1(VALU_DEP_2)
	v_sub_co_u32 v2, vcc_lo, v2, v7
	v_add3_u32 v8, v8, v21, v20
	s_delay_alu instid0(VALU_DEP_1) | instskip(SKIP_2) | instid1(VALU_DEP_2)
	v_sub_nc_u32_e32 v20, v13, v8
	s_wait_alu 0xfffd
	v_sub_co_ci_u32_e64 v8, null, v13, v8, vcc_lo
	v_subrev_co_ci_u32_e64 v7, null, s71, v20, vcc_lo
	v_add_co_u32 v20, s0, v11, 2
	s_wait_alu 0xf1ff
	v_add_co_ci_u32_e64 v21, null, 0, v12, s0
	v_sub_co_u32 v22, s0, v2, s70
	s_wait_alu 0xf1ff
	v_subrev_co_ci_u32_e64 v7, null, 0, v7, s0
	s_delay_alu instid0(VALU_DEP_2) | instskip(SKIP_2) | instid1(VALU_DEP_3)
	v_cmp_le_u32_e32 vcc_lo, s70, v22
	s_wait_alu 0xfffd
	v_cndmask_b32_e64 v13, 0, -1, vcc_lo
	v_cmp_le_u32_e32 vcc_lo, s71, v7
	s_wait_alu 0xfffd
	v_cndmask_b32_e64 v22, 0, -1, vcc_lo
	v_cmp_le_u32_e32 vcc_lo, s70, v2
	s_wait_alu 0xfffd
	v_cndmask_b32_e64 v2, 0, -1, vcc_lo
	v_cmp_le_u32_e32 vcc_lo, s71, v8
	s_wait_alu 0xfffd
	v_cndmask_b32_e64 v23, 0, -1, vcc_lo
	v_cmp_eq_u32_e32 vcc_lo, s71, v7
	s_wait_alu 0xfffd
	v_cndmask_b32_e32 v7, v22, v13, vcc_lo
	v_add_co_u32 v13, vcc_lo, v11, 1
	s_wait_alu 0xfffd
	v_add_co_ci_u32_e64 v22, null, 0, v12, vcc_lo
	v_cmp_eq_u32_e32 vcc_lo, s71, v8
	v_xor_b32_e32 v8, s68, v16
	s_wait_alu 0xfffd
	v_cndmask_b32_e32 v2, v23, v2, vcc_lo
	v_cmp_ne_u32_e32 vcc_lo, 0, v7
	s_delay_alu instid0(VALU_DEP_2) | instskip(SKIP_3) | instid1(VALU_DEP_1)
	v_cmp_ne_u32_e64 s0, 0, v2
	s_wait_alu 0xfffd
	v_dual_cndmask_b32 v7, v22, v21 :: v_dual_cndmask_b32 v2, v13, v20
	s_wait_alu 0xf1ff
	v_cndmask_b32_e64 v7, v12, v7, s0
	s_delay_alu instid0(VALU_DEP_2) | instskip(NEXT) | instid1(VALU_DEP_2)
	v_cndmask_b32_e64 v2, v11, v2, s0
	v_xor_b32_e32 v11, v7, v8
	s_delay_alu instid0(VALU_DEP_2) | instskip(NEXT) | instid1(VALU_DEP_1)
	v_xor_b32_e32 v2, v2, v8
	v_sub_co_u32 v7, vcc_lo, v2, v8
	s_wait_alu 0xfffd
	s_delay_alu instid0(VALU_DEP_3)
	v_sub_co_ci_u32_e64 v8, null, v11, v8, vcc_lo
.LBB39_33:                              ;   in Loop: Header=BB39_3 Depth=1
	s_wait_alu 0xfffe
	s_and_not1_saveexec_b32 s0, s67
	s_cbranch_execz .LBB39_35
; %bb.34:                               ;   in Loop: Header=BB39_3 Depth=1
	v_cvt_f32_u32_e32 v2, s46
	s_sub_co_i32 s67, 0, s46
	s_delay_alu instid0(VALU_DEP_1) | instskip(NEXT) | instid1(TRANS32_DEP_1)
	v_rcp_iflag_f32_e32 v2, v2
	v_mul_f32_e32 v2, 0x4f7ffffe, v2
	s_delay_alu instid0(VALU_DEP_1) | instskip(SKIP_1) | instid1(VALU_DEP_1)
	v_cvt_u32_f32_e32 v2, v2
	s_wait_alu 0xfffe
	v_mul_lo_u32 v7, s67, v2
	s_delay_alu instid0(VALU_DEP_1) | instskip(NEXT) | instid1(VALU_DEP_1)
	v_mul_hi_u32 v7, v2, v7
	v_add_nc_u32_e32 v2, v2, v7
	s_delay_alu instid0(VALU_DEP_1) | instskip(NEXT) | instid1(VALU_DEP_1)
	v_mul_hi_u32 v2, v3, v2
	v_mul_lo_u32 v7, v2, s46
	v_add_nc_u32_e32 v8, 1, v2
	s_delay_alu instid0(VALU_DEP_2) | instskip(NEXT) | instid1(VALU_DEP_1)
	v_sub_nc_u32_e32 v7, v3, v7
	v_subrev_nc_u32_e32 v11, s46, v7
	v_cmp_le_u32_e32 vcc_lo, s46, v7
	s_wait_alu 0xfffd
	s_delay_alu instid0(VALU_DEP_2) | instskip(NEXT) | instid1(VALU_DEP_1)
	v_dual_cndmask_b32 v7, v7, v11 :: v_dual_cndmask_b32 v2, v2, v8
	v_cmp_le_u32_e32 vcc_lo, s46, v7
	s_delay_alu instid0(VALU_DEP_2) | instskip(SKIP_1) | instid1(VALU_DEP_1)
	v_add_nc_u32_e32 v8, 1, v2
	s_wait_alu 0xfffd
	v_dual_cndmask_b32 v7, v2, v8 :: v_dual_mov_b32 v8, v1
.LBB39_35:                              ;   in Loop: Header=BB39_3 Depth=1
	s_wait_alu 0xfffe
	s_or_b32 exec_lo, exec_lo, s0
	s_delay_alu instid0(VALU_DEP_1) | instskip(NEXT) | instid1(VALU_DEP_2)
	v_mad_co_u64_u32 v[11:12], null, s62, v7, v[3:4]
	v_mul_lo_u32 v2, s62, v8
	v_mul_lo_u32 v13, s63, v7
	;; [unrolled: 1-line block ×4, first 2 shown]
	v_mad_co_u64_u32 v[7:8], null, v7, s16, 0
	s_mov_b32 s0, exec_lo
	v_add3_u32 v2, v13, v12, v2
	v_mul_lo_u32 v13, v11, s19
	v_mad_co_u64_u32 v[11:12], null, v11, s18, 0
	v_add3_u32 v8, v8, v21, v20
	s_delay_alu instid0(VALU_DEP_4) | instskip(NEXT) | instid1(VALU_DEP_2)
	v_mul_lo_u32 v2, v2, s18
	v_lshlrev_b64_e32 v[7:8], 2, v[7:8]
	s_delay_alu instid0(VALU_DEP_2) | instskip(NEXT) | instid1(VALU_DEP_2)
	v_add3_u32 v12, v12, v13, v2
	v_add_co_u32 v2, vcc_lo, s44, v7
	s_wait_alu 0xfffd
	s_delay_alu instid0(VALU_DEP_3) | instskip(NEXT) | instid1(VALU_DEP_3)
	v_add_co_ci_u32_e64 v8, null, s45, v8, vcc_lo
	v_lshlrev_b64_e32 v[11:12], 2, v[11:12]
	s_delay_alu instid0(VALU_DEP_1) | instskip(SKIP_1) | instid1(VALU_DEP_2)
	v_add_co_u32 v7, vcc_lo, v2, v11
	s_wait_alu 0xfffd
	v_add_co_ci_u32_e64 v8, null, v8, v12, vcc_lo
	v_or_b32_e32 v2, s51, v4
	global_load_b32 v13, v[7:8], off
                                        ; implicit-def: $vgpr7_vgpr8
	v_cmpx_ne_u64_e32 0, v[1:2]
	s_wait_alu 0xfffe
	s_xor_b32 s67, exec_lo, s0
	s_cbranch_execnz .LBB39_39
; %bb.36:                               ;   in Loop: Header=BB39_3 Depth=1
	s_wait_alu 0xfffe
	s_and_not1_saveexec_b32 s0, s67
	s_cbranch_execnz .LBB39_40
.LBB39_37:                              ;   in Loop: Header=BB39_3 Depth=1
	s_wait_alu 0xfffe
	s_or_b32 exec_lo, exec_lo, s0
	s_delay_alu instid0(SALU_CYCLE_1)
	s_and_not1_b32 vcc_lo, exec_lo, s33
	s_wait_alu 0xfffe
	s_cbranch_vccnz .LBB39_41
.LBB39_38:                              ;   in Loop: Header=BB39_3 Depth=1
	v_mad_co_u64_u32 v[11:12], null, s60, v5, v[3:4]
	v_mul_lo_u32 v2, s60, v6
	v_mul_lo_u32 v16, s61, v5
	v_sub_co_u32 v22, vcc_lo, 1, v5
	s_wait_alu 0xfffd
	v_sub_co_ci_u32_e64 v23, null, 0, v6, vcc_lo
	v_mad_co_u64_u32 v[20:21], null, v11, s38, 0
	s_delay_alu instid0(VALU_DEP_3) | instskip(SKIP_4) | instid1(VALU_DEP_4)
	v_mul_lo_u32 v24, s5, v22
	v_add3_u32 v2, v16, v12, v2
	v_mul_lo_u32 v12, v11, s39
	v_mul_lo_u32 v16, s4, v23
	v_mad_co_u64_u32 v[22:23], null, s4, v22, v[3:4]
	v_mul_lo_u32 v25, v2, s38
	v_mul_lo_u32 v31, v11, s43
	;; [unrolled: 1-line block ×3, first 2 shown]
	s_delay_alu instid0(VALU_DEP_4)
	v_add3_u32 v16, v24, v23, v16
	v_mul_lo_u32 v28, v22, s39
	v_add3_u32 v21, v21, v12, v25
	v_sub_co_u32 v12, vcc_lo, 2, v5
	s_wait_alu 0xfffd
	v_sub_co_ci_u32_e64 v25, null, 0, v6, vcc_lo
	v_mul_lo_u32 v27, v16, s38
	s_delay_alu instid0(VALU_DEP_3) | instskip(SKIP_1) | instid1(VALU_DEP_4)
	v_mul_lo_u32 v30, s5, v12
	v_mad_co_u64_u32 v[23:24], null, v22, s38, 0
	v_mul_lo_u32 v29, s4, v25
	v_mad_co_u64_u32 v[25:26], null, s4, v12, v[3:4]
	v_mad_co_u64_u32 v[11:12], null, v11, s42, 0
	v_mul_lo_u32 v16, v16, s42
	v_add3_u32 v24, v24, v28, v27
	v_mul_lo_u32 v32, v22, s43
	v_lshlrev_b64_e32 v[20:21], 2, v[20:21]
	v_add3_u32 v30, v30, v26, v29
	v_mul_lo_u32 v29, v25, s39
	v_mad_co_u64_u32 v[26:27], null, v25, s38, 0
	v_add3_u32 v12, v12, v31, v2
	s_delay_alu instid0(VALU_DEP_4)
	v_mul_lo_u32 v28, v30, s38
	v_mul_lo_u32 v2, v30, s42
	v_mad_co_u64_u32 v[30:31], null, v25, s42, 0
	v_lshlrev_b64_e32 v[23:24], 2, v[23:24]
	v_add_co_u32 v20, vcc_lo, s34, v20
	v_lshlrev_b64_e32 v[11:12], 2, v[11:12]
	v_add3_u32 v27, v27, v29, v28
	v_mad_co_u64_u32 v[28:29], null, v22, s42, 0
	v_mul_lo_u32 v22, v25, s43
	s_wait_alu 0xfffd
	v_add_co_ci_u32_e64 v21, null, s35, v21, vcc_lo
	v_lshlrev_b64_e32 v[26:27], 2, v[26:27]
	v_add_co_u32 v23, vcc_lo, s34, v23
	v_add3_u32 v29, v29, v32, v16
	s_wait_alu 0xfffd
	v_add_co_ci_u32_e64 v24, null, s35, v24, vcc_lo
	v_add3_u32 v31, v31, v22, v2
	v_add_co_u32 v25, vcc_lo, s34, v26
	s_wait_alu 0xfffd
	v_add_co_ci_u32_e64 v26, null, s35, v27, vcc_lo
	v_lshlrev_b64_e32 v[27:28], 2, v[28:29]
	v_add_co_u32 v32, vcc_lo, s40, v11
	s_wait_alu 0xfffd
	v_add_co_ci_u32_e64 v33, null, s41, v12, vcc_lo
	v_lshlrev_b64_e32 v[11:12], 2, v[30:31]
	s_delay_alu instid0(VALU_DEP_4) | instskip(SKIP_2) | instid1(VALU_DEP_3)
	v_add_co_u32 v27, vcc_lo, s40, v27
	s_wait_alu 0xfffd
	v_add_co_ci_u32_e64 v28, null, s41, v28, vcc_lo
	v_add_co_u32 v29, vcc_lo, s40, v11
	s_wait_alu 0xfffd
	v_add_co_ci_u32_e64 v30, null, s41, v12, vcc_lo
	s_clause 0x2
	global_load_b32 v21, v[20:21], off
	global_load_b32 v11, v[23:24], off
	global_load_b32 v2, v[25:26], off
	s_clause 0x2
	global_load_b32 v20, v[32:33], off
	global_load_b32 v12, v[27:28], off
	;; [unrolled: 1-line block ×3, first 2 shown]
	s_branch .LBB39_42
.LBB39_39:                              ;   in Loop: Header=BB39_3 Depth=1
	s_ashr_i32 s68, s51, 31
	v_add_co_u32 v2, vcc_lo, v3, v16
	s_wait_alu 0xfffe
	s_mov_b32 s69, s68
	s_wait_alu 0xfffd
	v_add_co_ci_u32_e64 v7, null, v4, v16, vcc_lo
	s_wait_alu 0xfffe
	s_add_nc_u64 s[70:71], s[50:51], s[68:69]
	v_xor_b32_e32 v2, v2, v16
	s_wait_alu 0xfffe
	s_xor_b64 s[70:71], s[70:71], s[68:69]
	v_xor_b32_e32 v22, v7, v16
	s_wait_alu 0xfffe
	s_cvt_f32_u32 s0, s70
	s_cvt_f32_u32 s69, s71
	s_sub_nc_u64 s[78:79], 0, s[70:71]
	s_wait_alu 0xfffe
	s_delay_alu instid0(SALU_CYCLE_1) | instskip(SKIP_1) | instid1(SALU_CYCLE_2)
	s_fmamk_f32 s0, s69, 0x4f800000, s0
	s_wait_alu 0xfffe
	v_s_rcp_f32 s0, s0
	s_delay_alu instid0(TRANS32_DEP_1) | instskip(SKIP_1) | instid1(SALU_CYCLE_2)
	s_mul_f32 s0, s0, 0x5f7ffffc
	s_wait_alu 0xfffe
	s_mul_f32 s69, s0, 0x2f800000
	s_wait_alu 0xfffe
	s_delay_alu instid0(SALU_CYCLE_2) | instskip(SKIP_1) | instid1(SALU_CYCLE_2)
	s_trunc_f32 s69, s69
	s_wait_alu 0xfffe
	s_fmamk_f32 s0, s69, 0xcf800000, s0
	s_cvt_u32_f32 s77, s69
	s_wait_alu 0xfffe
	s_delay_alu instid0(SALU_CYCLE_1) | instskip(NEXT) | instid1(SALU_CYCLE_3)
	s_cvt_u32_f32 s76, s0
	s_mul_u64 s[80:81], s[78:79], s[76:77]
	s_delay_alu instid0(SALU_CYCLE_1)
	s_mul_hi_u32 s83, s76, s81
	s_mul_i32 s82, s76, s81
	s_mul_hi_u32 s0, s76, s80
	s_mul_i32 s75, s77, s80
	s_wait_alu 0xfffe
	s_add_nc_u64 s[82:83], s[0:1], s[82:83]
	s_mul_hi_u32 s69, s77, s80
	s_mul_hi_u32 s84, s77, s81
	s_add_co_u32 s0, s82, s75
	s_wait_alu 0xfffe
	s_add_co_ci_u32 s0, s83, s69
	s_mul_i32 s80, s77, s81
	s_add_co_ci_u32 s81, s84, 0
	s_wait_alu 0xfffe
	s_add_nc_u64 s[80:81], s[0:1], s[80:81]
	s_delay_alu instid0(SALU_CYCLE_1) | instskip(SKIP_4) | instid1(SALU_CYCLE_1)
	s_add_co_u32 s76, s76, s80
	s_cselect_b32 s0, -1, 0
	s_wait_alu 0xfffe
	s_cmp_lg_u32 s0, 0
	s_add_co_ci_u32 s77, s77, s81
	s_mul_u64 s[78:79], s[78:79], s[76:77]
	s_delay_alu instid0(SALU_CYCLE_1)
	s_mul_hi_u32 s81, s76, s79
	s_mul_i32 s80, s76, s79
	s_mul_hi_u32 s0, s76, s78
	s_mul_i32 s75, s77, s78
	s_wait_alu 0xfffe
	s_add_nc_u64 s[80:81], s[0:1], s[80:81]
	s_mul_hi_u32 s69, s77, s78
	s_mul_hi_u32 s82, s77, s79
	s_add_co_u32 s0, s80, s75
	s_wait_alu 0xfffe
	s_add_co_ci_u32 s0, s81, s69
	s_mul_i32 s78, s77, s79
	s_add_co_ci_u32 s79, s82, 0
	s_wait_alu 0xfffe
	s_add_nc_u64 s[78:79], s[0:1], s[78:79]
	s_delay_alu instid0(SALU_CYCLE_1)
	s_add_co_u32 s0, s76, s78
	s_cselect_b32 s69, -1, 0
	s_wait_alu 0xfffe
	v_mul_hi_u32 v23, v2, s0
	s_cmp_lg_u32 s69, 0
	v_mad_co_u64_u32 v[11:12], null, v22, s0, 0
	s_add_co_ci_u32 s69, s77, s79
	s_wait_alu 0xfffe
	v_mad_co_u64_u32 v[7:8], null, v2, s69, 0
	v_mad_co_u64_u32 v[20:21], null, v22, s69, 0
	s_delay_alu instid0(VALU_DEP_2) | instskip(SKIP_1) | instid1(VALU_DEP_3)
	v_add_co_u32 v7, vcc_lo, v23, v7
	s_wait_alu 0xfffd
	v_add_co_ci_u32_e64 v8, null, 0, v8, vcc_lo
	s_delay_alu instid0(VALU_DEP_2) | instskip(SKIP_1) | instid1(VALU_DEP_2)
	v_add_co_u32 v7, vcc_lo, v7, v11
	s_wait_alu 0xfffd
	v_add_co_ci_u32_e32 v7, vcc_lo, v8, v12, vcc_lo
	s_wait_alu 0xfffd
	v_add_co_ci_u32_e32 v8, vcc_lo, 0, v21, vcc_lo
	s_delay_alu instid0(VALU_DEP_2) | instskip(SKIP_1) | instid1(VALU_DEP_2)
	v_add_co_u32 v11, vcc_lo, v7, v20
	s_wait_alu 0xfffd
	v_add_co_ci_u32_e64 v12, null, 0, v8, vcc_lo
	s_delay_alu instid0(VALU_DEP_2) | instskip(SKIP_1) | instid1(VALU_DEP_3)
	v_mul_lo_u32 v20, s71, v11
	v_mad_co_u64_u32 v[7:8], null, s70, v11, 0
	v_mul_lo_u32 v21, s70, v12
	s_delay_alu instid0(VALU_DEP_2) | instskip(NEXT) | instid1(VALU_DEP_2)
	v_sub_co_u32 v2, vcc_lo, v2, v7
	v_add3_u32 v8, v8, v21, v20
	s_delay_alu instid0(VALU_DEP_1) | instskip(SKIP_2) | instid1(VALU_DEP_2)
	v_sub_nc_u32_e32 v20, v22, v8
	s_wait_alu 0xfffd
	v_sub_co_ci_u32_e64 v8, null, v22, v8, vcc_lo
	v_subrev_co_ci_u32_e64 v7, null, s71, v20, vcc_lo
	v_add_co_u32 v20, s0, v11, 2
	s_wait_alu 0xf1ff
	v_add_co_ci_u32_e64 v21, null, 0, v12, s0
	v_sub_co_u32 v23, s0, v2, s70
	s_wait_alu 0xf1ff
	v_subrev_co_ci_u32_e64 v7, null, 0, v7, s0
	s_delay_alu instid0(VALU_DEP_2) | instskip(SKIP_2) | instid1(VALU_DEP_3)
	v_cmp_le_u32_e32 vcc_lo, s70, v23
	s_wait_alu 0xfffd
	v_cndmask_b32_e64 v22, 0, -1, vcc_lo
	v_cmp_le_u32_e32 vcc_lo, s71, v7
	s_wait_alu 0xfffd
	v_cndmask_b32_e64 v23, 0, -1, vcc_lo
	;; [unrolled: 3-line block ×4, first 2 shown]
	v_cmp_eq_u32_e32 vcc_lo, s71, v7
	s_wait_alu 0xfffd
	v_cndmask_b32_e32 v7, v23, v22, vcc_lo
	v_add_co_u32 v22, vcc_lo, v11, 1
	s_wait_alu 0xfffd
	v_add_co_ci_u32_e64 v23, null, 0, v12, vcc_lo
	v_cmp_eq_u32_e32 vcc_lo, s71, v8
	v_xor_b32_e32 v8, s68, v16
	s_wait_alu 0xfffd
	v_cndmask_b32_e32 v2, v24, v2, vcc_lo
	v_cmp_ne_u32_e32 vcc_lo, 0, v7
	s_wait_alu 0xfffd
	v_cndmask_b32_e32 v7, v23, v21, vcc_lo
	s_delay_alu instid0(VALU_DEP_3) | instskip(SKIP_2) | instid1(VALU_DEP_2)
	v_cmp_ne_u32_e64 s0, 0, v2
	v_cndmask_b32_e32 v2, v22, v20, vcc_lo
	s_wait_alu 0xf1ff
	v_cndmask_b32_e64 v7, v12, v7, s0
	s_delay_alu instid0(VALU_DEP_2) | instskip(NEXT) | instid1(VALU_DEP_2)
	v_cndmask_b32_e64 v2, v11, v2, s0
	v_xor_b32_e32 v11, v7, v8
	s_delay_alu instid0(VALU_DEP_2) | instskip(NEXT) | instid1(VALU_DEP_1)
	v_xor_b32_e32 v2, v2, v8
	v_sub_co_u32 v7, vcc_lo, v2, v8
	s_wait_alu 0xfffd
	s_delay_alu instid0(VALU_DEP_3)
	v_sub_co_ci_u32_e64 v8, null, v11, v8, vcc_lo
	s_and_not1_saveexec_b32 s0, s67
	s_cbranch_execz .LBB39_37
.LBB39_40:                              ;   in Loop: Header=BB39_3 Depth=1
	v_cvt_f32_u32_e32 v2, s50
	s_sub_co_i32 s67, 0, s50
	s_delay_alu instid0(VALU_DEP_1) | instskip(NEXT) | instid1(TRANS32_DEP_1)
	v_rcp_iflag_f32_e32 v2, v2
	v_mul_f32_e32 v2, 0x4f7ffffe, v2
	s_delay_alu instid0(VALU_DEP_1) | instskip(SKIP_1) | instid1(VALU_DEP_1)
	v_cvt_u32_f32_e32 v2, v2
	s_wait_alu 0xfffe
	v_mul_lo_u32 v7, s67, v2
	s_delay_alu instid0(VALU_DEP_1) | instskip(NEXT) | instid1(VALU_DEP_1)
	v_mul_hi_u32 v7, v2, v7
	v_add_nc_u32_e32 v2, v2, v7
	s_delay_alu instid0(VALU_DEP_1) | instskip(NEXT) | instid1(VALU_DEP_1)
	v_mul_hi_u32 v2, v3, v2
	v_mul_lo_u32 v7, v2, s50
	v_add_nc_u32_e32 v8, 1, v2
	s_delay_alu instid0(VALU_DEP_2) | instskip(NEXT) | instid1(VALU_DEP_1)
	v_sub_nc_u32_e32 v7, v3, v7
	v_subrev_nc_u32_e32 v11, s50, v7
	v_cmp_le_u32_e32 vcc_lo, s50, v7
	s_wait_alu 0xfffd
	s_delay_alu instid0(VALU_DEP_2) | instskip(NEXT) | instid1(VALU_DEP_1)
	v_dual_cndmask_b32 v7, v7, v11 :: v_dual_cndmask_b32 v2, v2, v8
	v_cmp_le_u32_e32 vcc_lo, s50, v7
	s_delay_alu instid0(VALU_DEP_2) | instskip(SKIP_1) | instid1(VALU_DEP_1)
	v_add_nc_u32_e32 v8, 1, v2
	s_wait_alu 0xfffd
	v_dual_cndmask_b32 v7, v2, v8 :: v_dual_mov_b32 v8, v1
	s_or_b32 exec_lo, exec_lo, s0
	s_delay_alu instid0(SALU_CYCLE_1)
	s_and_not1_b32 vcc_lo, exec_lo, s33
	s_wait_alu 0xfffe
	s_cbranch_vccz .LBB39_38
.LBB39_41:                              ;   in Loop: Header=BB39_3 Depth=1
	v_dual_mov_b32 v11, 0 :: v_dual_mov_b32 v2, 0
	v_dual_mov_b32 v20, 0 :: v_dual_mov_b32 v21, 0
	v_mov_b32_e32 v12, 0
	v_mov_b32_e32 v16, 0
.LBB39_42:                              ;   in Loop: Header=BB39_3 Depth=1
	s_wait_loadcnt 0x3
	v_add_f32_e32 v14, v17, v14
	v_add_f32_e32 v2, v19, v2
	s_delay_alu instid0(VALU_DEP_2) | instskip(SKIP_1) | instid1(VALU_DEP_1)
	v_add_f32_e32 v14, v14, v21
	s_wait_loadcnt 0x2
	v_add_f32_e32 v14, v20, v14
	s_delay_alu instid0(VALU_DEP_1) | instskip(NEXT) | instid1(VALU_DEP_1)
	v_mul_f32_e32 v17, 0xbfb8aa3b, v14
	v_fma_f32 v20, 0xbfb8aa3b, v14, -v17
	v_rndne_f32_e32 v21, v17
	s_delay_alu instid0(VALU_DEP_1) | instskip(SKIP_1) | instid1(VALU_DEP_2)
	v_dual_sub_f32 v17, v17, v21 :: v_dual_fmac_f32 v20, 0xb2a5705f, v14
	v_cmp_nlt_f32_e32 vcc_lo, 0x42ce8ed0, v14
	v_add_f32_e32 v17, v17, v20
	v_cvt_i32_f32_e32 v20, v21
	s_delay_alu instid0(VALU_DEP_2) | instskip(NEXT) | instid1(TRANS32_DEP_1)
	v_exp_f32_e32 v17, v17
	v_ldexp_f32 v17, v17, v20
	s_wait_alu 0xfffd
	s_delay_alu instid0(VALU_DEP_1) | instskip(SKIP_2) | instid1(VALU_DEP_2)
	v_cndmask_b32_e32 v17, 0, v17, vcc_lo
	v_cmp_ngt_f32_e32 vcc_lo, 0xc2b17218, v14
	s_wait_alu 0xfffd
	v_cndmask_b32_e32 v14, 0x7f800000, v17, vcc_lo
	s_delay_alu instid0(VALU_DEP_1) | instskip(NEXT) | instid1(VALU_DEP_1)
	v_add_f32_e32 v14, 1.0, v14
	v_div_scale_f32 v17, null, v14, v14, 1.0
	v_div_scale_f32 v22, vcc_lo, 1.0, v14, 1.0
	s_delay_alu instid0(VALU_DEP_2) | instskip(NEXT) | instid1(TRANS32_DEP_1)
	v_rcp_f32_e32 v20, v17
	v_fma_f32 v21, -v17, v20, 1.0
	s_delay_alu instid0(VALU_DEP_1) | instskip(NEXT) | instid1(VALU_DEP_1)
	v_fmac_f32_e32 v20, v21, v20
	v_mul_f32_e32 v21, v22, v20
	s_delay_alu instid0(VALU_DEP_1) | instskip(NEXT) | instid1(VALU_DEP_1)
	v_fma_f32 v23, -v17, v21, v22
	v_fmac_f32_e32 v21, v23, v20
	s_delay_alu instid0(VALU_DEP_1) | instskip(SKIP_1) | instid1(VALU_DEP_1)
	v_fma_f32 v17, -v17, v21, v22
	s_wait_alu 0xfffd
	v_div_fmas_f32 v17, v17, v20, v21
	s_delay_alu instid0(VALU_DEP_1) | instskip(SKIP_2) | instid1(VALU_DEP_1)
	v_div_fixup_f32 v19, v17, v14, 1.0
	s_wait_loadcnt 0x0
	v_add_f32_e32 v14, v10, v16
                                        ; implicit-def: $vgpr16
	v_fmac_f32_e32 v2, v14, v19
	s_delay_alu instid0(VALU_DEP_1)
	v_cmp_ngt_f32_e64 s0, 0x3f200000, |v2|
	s_and_saveexec_b32 s67, s0
	s_wait_alu 0xfffe
	s_xor_b32 s0, exec_lo, s67
	s_cbranch_execz .LBB39_44
; %bb.43:                               ;   in Loop: Header=BB39_3 Depth=1
	v_add_f32_e64 v10, |v2|, |v2|
	s_delay_alu instid0(VALU_DEP_1) | instskip(SKIP_1) | instid1(VALU_DEP_2)
	v_mul_f32_e32 v16, 0x3fb8aa3b, v10
	v_cmp_ngt_f32_e32 vcc_lo, 0xc2ce8ed0, v10
	v_rndne_f32_e32 v17, v16
	v_fma_f32 v20, 0x3fb8aa3b, v10, -v16
	s_delay_alu instid0(VALU_DEP_2) | instskip(NEXT) | instid1(VALU_DEP_2)
	v_sub_f32_e32 v16, v16, v17
	v_fmac_f32_e32 v20, 0x32a5705f, v10
	v_cvt_i32_f32_e32 v17, v17
	s_delay_alu instid0(VALU_DEP_2) | instskip(NEXT) | instid1(VALU_DEP_1)
	v_add_f32_e32 v16, v16, v20
	v_exp_f32_e32 v16, v16
	s_delay_alu instid0(TRANS32_DEP_1) | instskip(SKIP_1) | instid1(VALU_DEP_1)
	v_ldexp_f32 v16, v16, v17
	s_wait_alu 0xfffd
	v_cndmask_b32_e32 v16, 0, v16, vcc_lo
	v_cmp_nlt_f32_e32 vcc_lo, 0x42b17218, v10
	s_wait_alu 0xfffd
	s_delay_alu instid0(VALU_DEP_2) | instskip(NEXT) | instid1(VALU_DEP_1)
	v_cndmask_b32_e32 v10, 0x7f800000, v16, vcc_lo
	v_add_f32_e32 v10, 1.0, v10
	s_delay_alu instid0(VALU_DEP_1) | instskip(NEXT) | instid1(TRANS32_DEP_1)
	v_rcp_f32_e32 v10, v10
	v_fma_f32 v16, v10, -2.0, 1.0
.LBB39_44:                              ;   in Loop: Header=BB39_3 Depth=1
	s_wait_alu 0xfffe
	s_and_not1_saveexec_b32 s0, s0
	s_cbranch_execz .LBB39_46
; %bb.45:                               ;   in Loop: Header=BB39_3 Depth=1
	v_mul_f32_e32 v10, v2, v2
	s_delay_alu instid0(VALU_DEP_1) | instskip(NEXT) | instid1(VALU_DEP_1)
	v_fmaak_f32 v16, s73, v10, 0x3ca908c9
	v_fmaak_f32 v16, v10, v16, 0xbd5c1c4e
	s_delay_alu instid0(VALU_DEP_1) | instskip(NEXT) | instid1(VALU_DEP_1)
	v_fmaak_f32 v16, v10, v16, 0x3e088382
	v_fmaak_f32 v16, v10, v16, 0xbeaaaa99
	s_delay_alu instid0(VALU_DEP_1) | instskip(NEXT) | instid1(VALU_DEP_1)
	v_mul_f32_e64 v16, |v2|, v16
	v_fma_f32 v16, v10, v16, |v2|
.LBB39_46:                              ;   in Loop: Header=BB39_3 Depth=1
	s_wait_alu 0xfffe
	s_or_b32 exec_lo, exec_lo, s0
	v_add_f32_e32 v9, v18, v9
	v_mul_lo_u32 v26, s64, v8
	v_mul_lo_u32 v27, s65, v7
	;; [unrolled: 1-line block ×4, first 2 shown]
	v_add_f32_e32 v9, v9, v11
	v_mad_co_u64_u32 v[20:21], null, v7, s20, 0
	v_bfi_b32 v17, 0x7fffffff, v16, v2
	v_mul_lo_u32 v24, s59, v5
	s_delay_alu instid0(VALU_DEP_4) | instskip(SKIP_2) | instid1(VALU_DEP_3)
	v_add_f32_e32 v9, v9, v12
	v_mul_lo_u32 v25, s58, v6
	v_add3_u32 v21, v21, v29, v8
	v_mul_f32_e32 v10, 0xbfb8aa3b, v9
	s_delay_alu instid0(VALU_DEP_2) | instskip(NEXT) | instid1(VALU_DEP_2)
	v_lshlrev_b64_e32 v[20:21], 2, v[20:21]
	v_fma_f32 v11, 0xbfb8aa3b, v9, -v10
	v_rndne_f32_e32 v12, v10
	s_delay_alu instid0(VALU_DEP_1) | instskip(NEXT) | instid1(VALU_DEP_1)
	v_dual_fmac_f32 v11, 0xb2a5705f, v9 :: v_dual_sub_f32 v10, v10, v12
	v_add_f32_e32 v10, v10, v11
	v_cvt_i32_f32_e32 v11, v12
	v_cmp_nlt_f32_e32 vcc_lo, 0x42ce8ed0, v9
	s_delay_alu instid0(VALU_DEP_3) | instskip(NEXT) | instid1(TRANS32_DEP_1)
	v_exp_f32_e32 v10, v10
	v_ldexp_f32 v10, v10, v11
	v_mad_co_u64_u32 v[11:12], null, s64, v7, v[3:4]
	s_wait_alu 0xfffd
	s_delay_alu instid0(VALU_DEP_2) | instskip(SKIP_1) | instid1(VALU_DEP_3)
	v_cndmask_b32_e32 v10, 0, v10, vcc_lo
	v_cmp_ngt_f32_e32 vcc_lo, 0xc2b17218, v9
	v_add3_u32 v2, v27, v12, v26
	s_delay_alu instid0(VALU_DEP_4) | instskip(SKIP_4) | instid1(VALU_DEP_3)
	v_mul_lo_u32 v16, v11, s23
	s_wait_alu 0xfffd
	v_cndmask_b32_e32 v9, 0x7f800000, v10, vcc_lo
	v_mad_co_u64_u32 v[11:12], null, v11, s22, 0
	v_mul_lo_u32 v2, v2, s22
	v_add_f32_e32 v18, 1.0, v9
	s_delay_alu instid0(VALU_DEP_1) | instskip(SKIP_1) | instid1(VALU_DEP_4)
	v_div_scale_f32 v22, null, v18, v18, 1.0
	v_div_scale_f32 v28, vcc_lo, 1.0, v18, 1.0
	v_add3_u32 v12, v12, v16, v2
	s_delay_alu instid0(VALU_DEP_3) | instskip(SKIP_1) | instid1(VALU_DEP_2)
	v_rcp_f32_e32 v23, v22
	v_sub_f32_e32 v16, v13, v17
	v_lshlrev_b64_e32 v[11:12], 2, v[11:12]
	s_delay_alu instid0(TRANS32_DEP_1) | instskip(NEXT) | instid1(VALU_DEP_1)
	v_fma_f32 v9, -v22, v23, 1.0
	v_fmac_f32_e32 v23, v9, v23
	v_mad_co_u64_u32 v[9:10], null, s58, v5, 0
	s_delay_alu instid0(VALU_DEP_2) | instskip(NEXT) | instid1(VALU_DEP_2)
	v_mul_f32_e32 v30, v28, v23
	v_add3_u32 v10, v10, v25, v24
	s_delay_alu instid0(VALU_DEP_2) | instskip(NEXT) | instid1(VALU_DEP_1)
	v_fma_f32 v7, -v22, v30, v28
	v_fmac_f32_e32 v30, v7, v23
	v_add_co_u32 v7, s0, v3, v9
	s_wait_alu 0xf1ff
	v_add_co_ci_u32_e64 v8, null, v4, v10, s0
	s_delay_alu instid0(VALU_DEP_3) | instskip(SKIP_1) | instid1(VALU_DEP_2)
	v_fma_f32 v22, -v22, v30, v28
	s_mov_b32 s0, exec_lo
	v_or_b32_e32 v2, s55, v8
	s_wait_alu 0xfffd
	s_delay_alu instid0(VALU_DEP_2) | instskip(SKIP_3) | instid1(VALU_DEP_3)
	v_div_fmas_f32 v22, v22, v23, v30
	v_add_co_u32 v20, vcc_lo, s48, v20
	s_wait_alu 0xfffd
	v_add_co_ci_u32_e64 v21, null, s49, v21, vcc_lo
	v_div_fixup_f32 v18, v22, v18, 1.0
	s_delay_alu instid0(VALU_DEP_3) | instskip(SKIP_1) | instid1(VALU_DEP_3)
	v_add_co_u32 v11, vcc_lo, v20, v11
	s_wait_alu 0xfffd
	v_add_co_ci_u32_e64 v12, null, v21, v12, vcc_lo
	s_delay_alu instid0(VALU_DEP_3)
	v_fma_f32 v16, v18, v16, v17
	global_store_b32 v[11:12], v16, off
                                        ; implicit-def: $vgpr11_vgpr12
	v_cmpx_ne_u64_e32 0, v[1:2]
	s_wait_alu 0xfffe
	s_xor_b32 s67, exec_lo, s0
	s_cbranch_execz .LBB39_48
; %bb.47:                               ;   in Loop: Header=BB39_3 Depth=1
	s_ashr_i32 s68, s55, 31
	v_ashrrev_i32_e32 v2, 31, v8
	s_wait_alu 0xfffe
	s_mov_b32 s69, s68
	s_wait_alu 0xfffe
	s_add_nc_u64 s[70:71], s[54:55], s[68:69]
	v_add_co_u32 v7, vcc_lo, v7, v2
	s_wait_alu 0xfffe
	s_xor_b64 s[70:71], s[70:71], s[68:69]
	s_wait_alu 0xfffd
	v_add_co_ci_u32_e64 v8, null, v8, v2, vcc_lo
	s_wait_alu 0xfffe
	s_cvt_f32_u32 s0, s70
	s_cvt_f32_u32 s69, s71
	s_sub_nc_u64 s[78:79], 0, s[70:71]
	v_xor_b32_e32 v16, v7, v2
	v_xor_b32_e32 v22, v8, v2
	s_wait_alu 0xfffe
	s_fmamk_f32 s0, s69, 0x4f800000, s0
	v_xor_b32_e32 v2, s68, v2
	s_wait_alu 0xfffe
	s_delay_alu instid0(SALU_CYCLE_1) | instskip(NEXT) | instid1(TRANS32_DEP_1)
	v_s_rcp_f32 s0, s0
	s_mul_f32 s0, s0, 0x5f7ffffc
	s_wait_alu 0xfffe
	s_delay_alu instid0(SALU_CYCLE_2) | instskip(SKIP_1) | instid1(SALU_CYCLE_2)
	s_mul_f32 s69, s0, 0x2f800000
	s_wait_alu 0xfffe
	s_trunc_f32 s69, s69
	s_wait_alu 0xfffe
	s_delay_alu instid0(SALU_CYCLE_2) | instskip(SKIP_2) | instid1(SALU_CYCLE_1)
	s_fmamk_f32 s0, s69, 0xcf800000, s0
	s_cvt_u32_f32 s77, s69
	s_wait_alu 0xfffe
	s_cvt_u32_f32 s76, s0
	s_delay_alu instid0(SALU_CYCLE_3) | instskip(NEXT) | instid1(SALU_CYCLE_1)
	s_mul_u64 s[80:81], s[78:79], s[76:77]
	s_mul_hi_u32 s83, s76, s81
	s_mul_i32 s82, s76, s81
	s_mul_hi_u32 s0, s76, s80
	s_mul_i32 s75, s77, s80
	s_wait_alu 0xfffe
	s_add_nc_u64 s[82:83], s[0:1], s[82:83]
	s_mul_hi_u32 s69, s77, s80
	s_mul_hi_u32 s84, s77, s81
	s_add_co_u32 s0, s82, s75
	s_wait_alu 0xfffe
	s_add_co_ci_u32 s0, s83, s69
	s_mul_i32 s80, s77, s81
	s_add_co_ci_u32 s81, s84, 0
	s_wait_alu 0xfffe
	s_add_nc_u64 s[80:81], s[0:1], s[80:81]
	s_delay_alu instid0(SALU_CYCLE_1) | instskip(SKIP_4) | instid1(SALU_CYCLE_1)
	s_add_co_u32 s76, s76, s80
	s_cselect_b32 s0, -1, 0
	s_wait_alu 0xfffe
	s_cmp_lg_u32 s0, 0
	s_add_co_ci_u32 s77, s77, s81
	s_mul_u64 s[78:79], s[78:79], s[76:77]
	s_delay_alu instid0(SALU_CYCLE_1)
	s_mul_hi_u32 s81, s76, s79
	s_mul_i32 s80, s76, s79
	s_mul_hi_u32 s0, s76, s78
	s_mul_i32 s75, s77, s78
	s_wait_alu 0xfffe
	s_add_nc_u64 s[80:81], s[0:1], s[80:81]
	s_mul_hi_u32 s69, s77, s78
	s_mul_hi_u32 s82, s77, s79
	s_add_co_u32 s0, s80, s75
	s_wait_alu 0xfffe
	s_add_co_ci_u32 s0, s81, s69
	s_mul_i32 s78, s77, s79
	s_add_co_ci_u32 s79, s82, 0
	s_wait_alu 0xfffe
	s_add_nc_u64 s[78:79], s[0:1], s[78:79]
	s_delay_alu instid0(SALU_CYCLE_1)
	s_add_co_u32 s0, s76, s78
	s_cselect_b32 s69, -1, 0
	s_wait_alu 0xfffe
	v_mul_hi_u32 v23, v16, s0
	s_cmp_lg_u32 s69, 0
	v_mad_co_u64_u32 v[11:12], null, v22, s0, 0
	s_add_co_ci_u32 s69, s77, s79
	s_wait_alu 0xfffe
	v_mad_co_u64_u32 v[7:8], null, v16, s69, 0
	v_mad_co_u64_u32 v[20:21], null, v22, s69, 0
	s_delay_alu instid0(VALU_DEP_2) | instskip(SKIP_1) | instid1(VALU_DEP_3)
	v_add_co_u32 v7, vcc_lo, v23, v7
	s_wait_alu 0xfffd
	v_add_co_ci_u32_e64 v8, null, 0, v8, vcc_lo
	s_delay_alu instid0(VALU_DEP_2) | instskip(SKIP_1) | instid1(VALU_DEP_2)
	v_add_co_u32 v7, vcc_lo, v7, v11
	s_wait_alu 0xfffd
	v_add_co_ci_u32_e32 v7, vcc_lo, v8, v12, vcc_lo
	s_wait_alu 0xfffd
	v_add_co_ci_u32_e32 v8, vcc_lo, 0, v21, vcc_lo
	s_delay_alu instid0(VALU_DEP_2) | instskip(SKIP_1) | instid1(VALU_DEP_2)
	v_add_co_u32 v11, vcc_lo, v7, v20
	s_wait_alu 0xfffd
	v_add_co_ci_u32_e64 v12, null, 0, v8, vcc_lo
	s_delay_alu instid0(VALU_DEP_2) | instskip(SKIP_1) | instid1(VALU_DEP_3)
	v_mul_lo_u32 v20, s71, v11
	v_mad_co_u64_u32 v[7:8], null, s70, v11, 0
	v_mul_lo_u32 v21, s70, v12
	s_delay_alu instid0(VALU_DEP_2) | instskip(NEXT) | instid1(VALU_DEP_2)
	v_sub_co_u32 v7, vcc_lo, v16, v7
	v_add3_u32 v8, v8, v21, v20
	s_delay_alu instid0(VALU_DEP_1) | instskip(SKIP_2) | instid1(VALU_DEP_2)
	v_sub_nc_u32_e32 v20, v22, v8
	s_wait_alu 0xfffd
	v_sub_co_ci_u32_e64 v8, null, v22, v8, vcc_lo
	v_subrev_co_ci_u32_e64 v16, null, s71, v20, vcc_lo
	v_add_co_u32 v20, s0, v11, 2
	s_wait_alu 0xf1ff
	v_add_co_ci_u32_e64 v21, null, 0, v12, s0
	v_sub_co_u32 v23, s0, v7, s70
	s_wait_alu 0xf1ff
	v_subrev_co_ci_u32_e64 v16, null, 0, v16, s0
	s_delay_alu instid0(VALU_DEP_2) | instskip(SKIP_2) | instid1(VALU_DEP_3)
	v_cmp_le_u32_e32 vcc_lo, s70, v23
	s_wait_alu 0xfffd
	v_cndmask_b32_e64 v22, 0, -1, vcc_lo
	v_cmp_le_u32_e32 vcc_lo, s71, v16
	s_wait_alu 0xfffd
	v_cndmask_b32_e64 v23, 0, -1, vcc_lo
	;; [unrolled: 3-line block ×4, first 2 shown]
	v_cmp_eq_u32_e32 vcc_lo, s71, v16
	s_wait_alu 0xfffd
	v_cndmask_b32_e32 v16, v23, v22, vcc_lo
	v_add_co_u32 v22, vcc_lo, v11, 1
	s_wait_alu 0xfffd
	v_add_co_ci_u32_e64 v23, null, 0, v12, vcc_lo
	v_cmp_eq_u32_e32 vcc_lo, s71, v8
	s_wait_alu 0xfffd
	v_cndmask_b32_e32 v7, v24, v7, vcc_lo
	v_cmp_ne_u32_e32 vcc_lo, 0, v16
	s_delay_alu instid0(VALU_DEP_2) | instskip(SKIP_3) | instid1(VALU_DEP_1)
	v_cmp_ne_u32_e64 s0, 0, v7
	s_wait_alu 0xfffd
	v_dual_cndmask_b32 v8, v23, v21 :: v_dual_cndmask_b32 v7, v22, v20
	s_wait_alu 0xf1ff
	v_cndmask_b32_e64 v8, v12, v8, s0
	s_delay_alu instid0(VALU_DEP_2) | instskip(NEXT) | instid1(VALU_DEP_2)
	v_cndmask_b32_e64 v7, v11, v7, s0
	v_xor_b32_e32 v8, v8, v2
	s_delay_alu instid0(VALU_DEP_2) | instskip(NEXT) | instid1(VALU_DEP_1)
	v_xor_b32_e32 v7, v7, v2
	v_sub_co_u32 v11, vcc_lo, v7, v2
	s_wait_alu 0xfffd
	s_delay_alu instid0(VALU_DEP_3)
	v_sub_co_ci_u32_e64 v12, null, v8, v2, vcc_lo
                                        ; implicit-def: $vgpr7
.LBB39_48:                              ;   in Loop: Header=BB39_3 Depth=1
	s_wait_alu 0xfffe
	s_or_saveexec_b32 s0, s67
	v_cvt_f32_u32_e32 v16, s54
	s_wait_alu 0xfffe
	s_xor_b32 exec_lo, exec_lo, s0
	s_cbranch_execz .LBB39_50
; %bb.49:                               ;   in Loop: Header=BB39_3 Depth=1
	s_delay_alu instid0(VALU_DEP_1) | instskip(SKIP_2) | instid1(TRANS32_DEP_1)
	v_rcp_iflag_f32_e32 v2, v16
	s_sub_co_i32 s67, 0, s54
	v_mov_b32_e32 v12, v1
	v_mul_f32_e32 v2, 0x4f7ffffe, v2
	s_delay_alu instid0(VALU_DEP_1) | instskip(SKIP_1) | instid1(VALU_DEP_1)
	v_cvt_u32_f32_e32 v2, v2
	s_wait_alu 0xfffe
	v_mul_lo_u32 v8, s67, v2
	s_delay_alu instid0(VALU_DEP_1) | instskip(NEXT) | instid1(VALU_DEP_1)
	v_mul_hi_u32 v8, v2, v8
	v_add_nc_u32_e32 v2, v2, v8
	s_delay_alu instid0(VALU_DEP_1) | instskip(NEXT) | instid1(VALU_DEP_1)
	v_mul_hi_u32 v2, v7, v2
	v_mul_lo_u32 v8, v2, s54
	s_delay_alu instid0(VALU_DEP_1) | instskip(SKIP_1) | instid1(VALU_DEP_2)
	v_sub_nc_u32_e32 v7, v7, v8
	v_add_nc_u32_e32 v8, 1, v2
	v_subrev_nc_u32_e32 v11, s54, v7
	v_cmp_le_u32_e32 vcc_lo, s54, v7
	s_wait_alu 0xfffd
	s_delay_alu instid0(VALU_DEP_2) | instskip(NEXT) | instid1(VALU_DEP_1)
	v_dual_cndmask_b32 v7, v7, v11 :: v_dual_cndmask_b32 v2, v2, v8
	v_cmp_le_u32_e32 vcc_lo, s54, v7
	s_delay_alu instid0(VALU_DEP_2) | instskip(SKIP_1) | instid1(VALU_DEP_1)
	v_add_nc_u32_e32 v8, 1, v2
	s_wait_alu 0xfffd
	v_cndmask_b32_e32 v11, v2, v8, vcc_lo
.LBB39_50:                              ;   in Loop: Header=BB39_3 Depth=1
	s_or_b32 exec_lo, exec_lo, s0
	v_mul_lo_u32 v2, v12, s54
	s_delay_alu instid0(VALU_DEP_2) | instskip(SKIP_4) | instid1(VALU_DEP_3)
	v_mul_lo_u32 v7, v11, s55
	v_mad_co_u64_u32 v[20:21], null, v11, s54, 0
	v_mul_lo_u32 v12, v12, s24
	v_mul_lo_u32 v22, v11, s25
	s_mov_b32 s0, exec_lo
	v_add3_u32 v2, v21, v7, v2
	s_delay_alu instid0(VALU_DEP_4)
	v_sub_co_u32 v9, vcc_lo, v9, v20
	v_lshlrev_b64_e32 v[7:8], 2, v[5:6]
	v_alignbit_b32 v5, v6, v5, 30
	s_wait_alu 0xfffd
	v_sub_co_ci_u32_e64 v2, null, v10, v2, vcc_lo
	v_add_co_u32 v20, vcc_lo, v3, v9
	v_mad_co_u64_u32 v[9:10], null, v11, s24, 0
	s_wait_alu 0xfffd
	s_delay_alu instid0(VALU_DEP_3) | instskip(NEXT) | instid1(VALU_DEP_3)
	v_add_co_ci_u32_e64 v2, null, v4, v2, vcc_lo
	v_mul_lo_u32 v24, v20, s27
	v_mad_co_u64_u32 v[20:21], null, v20, s26, 0
	s_delay_alu instid0(VALU_DEP_3)
	v_mul_lo_u32 v2, v2, s26
	v_mul_lo_u32 v11, s4, v5
	;; [unrolled: 1-line block ×3, first 2 shown]
	v_mad_co_u64_u32 v[5:6], null, s4, v7, s[4:5]
	v_add3_u32 v10, v10, v22, v12
	v_add3_u32 v21, v21, v24, v2
	s_delay_alu instid0(VALU_DEP_2) | instskip(NEXT) | instid1(VALU_DEP_4)
	v_lshlrev_b64_e32 v[9:10], 2, v[9:10]
	v_add3_u32 v6, v23, v6, v11
	v_add_co_u32 v11, vcc_lo, v3, v5
	s_delay_alu instid0(VALU_DEP_4) | instskip(SKIP_1) | instid1(VALU_DEP_3)
	v_lshlrev_b64_e32 v[20:21], 2, v[20:21]
	s_wait_alu 0xfffd
	v_add_co_ci_u32_e64 v12, null, v4, v6, vcc_lo
	v_add_co_u32 v9, vcc_lo, s52, v9
	s_wait_alu 0xfffd
	v_add_co_ci_u32_e64 v10, null, s53, v10, vcc_lo
	s_delay_alu instid0(VALU_DEP_3) | instskip(NEXT) | instid1(VALU_DEP_3)
	v_or_b32_e32 v2, s55, v12
	v_add_co_u32 v9, vcc_lo, v9, v20
	s_wait_alu 0xfffd
	s_delay_alu instid0(VALU_DEP_3)
	v_add_co_ci_u32_e64 v10, null, v10, v21, vcc_lo
	global_store_b32 v[9:10], v19, off
                                        ; implicit-def: $vgpr9_vgpr10
	v_cmpx_ne_u64_e32 0, v[1:2]
	s_wait_alu 0xfffe
	s_xor_b32 s67, exec_lo, s0
	s_cbranch_execz .LBB39_52
; %bb.51:                               ;   in Loop: Header=BB39_3 Depth=1
	s_ashr_i32 s68, s55, 31
	v_ashrrev_i32_e32 v2, 31, v12
	s_wait_alu 0xfffe
	s_mov_b32 s69, s68
	s_wait_alu 0xfffe
	s_add_nc_u64 s[70:71], s[54:55], s[68:69]
	v_add_co_u32 v9, vcc_lo, v11, v2
	s_wait_alu 0xfffe
	s_xor_b64 s[70:71], s[70:71], s[68:69]
	s_wait_alu 0xfffd
	v_add_co_ci_u32_e64 v10, null, v12, v2, vcc_lo
	s_wait_alu 0xfffe
	s_cvt_f32_u32 s0, s70
	s_cvt_f32_u32 s69, s71
	s_sub_nc_u64 s[78:79], 0, s[70:71]
	v_xor_b32_e32 v21, v9, v2
	v_xor_b32_e32 v22, v10, v2
	s_wait_alu 0xfffe
	s_fmamk_f32 s0, s69, 0x4f800000, s0
	v_xor_b32_e32 v2, s68, v2
	s_wait_alu 0xfffe
	s_delay_alu instid0(SALU_CYCLE_1) | instskip(NEXT) | instid1(TRANS32_DEP_1)
	v_s_rcp_f32 s0, s0
	s_mul_f32 s0, s0, 0x5f7ffffc
	s_wait_alu 0xfffe
	s_delay_alu instid0(SALU_CYCLE_2) | instskip(SKIP_1) | instid1(SALU_CYCLE_2)
	s_mul_f32 s69, s0, 0x2f800000
	s_wait_alu 0xfffe
	s_trunc_f32 s69, s69
	s_wait_alu 0xfffe
	s_delay_alu instid0(SALU_CYCLE_2) | instskip(SKIP_2) | instid1(SALU_CYCLE_1)
	s_fmamk_f32 s0, s69, 0xcf800000, s0
	s_cvt_u32_f32 s77, s69
	s_wait_alu 0xfffe
	s_cvt_u32_f32 s76, s0
	s_delay_alu instid0(SALU_CYCLE_3) | instskip(NEXT) | instid1(SALU_CYCLE_1)
	s_mul_u64 s[80:81], s[78:79], s[76:77]
	s_mul_hi_u32 s83, s76, s81
	s_mul_i32 s82, s76, s81
	s_mul_hi_u32 s0, s76, s80
	s_mul_i32 s75, s77, s80
	s_wait_alu 0xfffe
	s_add_nc_u64 s[82:83], s[0:1], s[82:83]
	s_mul_hi_u32 s69, s77, s80
	s_mul_hi_u32 s84, s77, s81
	s_add_co_u32 s0, s82, s75
	s_wait_alu 0xfffe
	s_add_co_ci_u32 s0, s83, s69
	s_mul_i32 s80, s77, s81
	s_add_co_ci_u32 s81, s84, 0
	s_wait_alu 0xfffe
	s_add_nc_u64 s[80:81], s[0:1], s[80:81]
	s_delay_alu instid0(SALU_CYCLE_1) | instskip(SKIP_4) | instid1(SALU_CYCLE_1)
	s_add_co_u32 s76, s76, s80
	s_cselect_b32 s0, -1, 0
	s_wait_alu 0xfffe
	s_cmp_lg_u32 s0, 0
	s_add_co_ci_u32 s77, s77, s81
	s_mul_u64 s[78:79], s[78:79], s[76:77]
	s_delay_alu instid0(SALU_CYCLE_1)
	s_mul_hi_u32 s81, s76, s79
	s_mul_i32 s80, s76, s79
	s_mul_hi_u32 s0, s76, s78
	s_mul_i32 s75, s77, s78
	s_wait_alu 0xfffe
	s_add_nc_u64 s[80:81], s[0:1], s[80:81]
	s_mul_hi_u32 s69, s77, s78
	s_mul_hi_u32 s82, s77, s79
	s_add_co_u32 s0, s80, s75
	s_wait_alu 0xfffe
	s_add_co_ci_u32 s0, s81, s69
	s_mul_i32 s78, s77, s79
	s_add_co_ci_u32 s79, s82, 0
	s_wait_alu 0xfffe
	s_add_nc_u64 s[78:79], s[0:1], s[78:79]
	s_delay_alu instid0(SALU_CYCLE_1)
	s_add_co_u32 s0, s76, s78
	s_cselect_b32 s69, -1, 0
	s_wait_alu 0xfffe
	v_mul_hi_u32 v23, v21, s0
	s_cmp_lg_u32 s69, 0
	v_mad_co_u64_u32 v[11:12], null, v22, s0, 0
	s_add_co_ci_u32 s69, s77, s79
	s_wait_alu 0xfffe
	v_mad_co_u64_u32 v[9:10], null, v21, s69, 0
	v_mad_co_u64_u32 v[19:20], null, v22, s69, 0
	s_delay_alu instid0(VALU_DEP_2) | instskip(SKIP_1) | instid1(VALU_DEP_3)
	v_add_co_u32 v9, vcc_lo, v23, v9
	s_wait_alu 0xfffd
	v_add_co_ci_u32_e64 v10, null, 0, v10, vcc_lo
	s_delay_alu instid0(VALU_DEP_2) | instskip(SKIP_1) | instid1(VALU_DEP_2)
	v_add_co_u32 v9, vcc_lo, v9, v11
	s_wait_alu 0xfffd
	v_add_co_ci_u32_e32 v9, vcc_lo, v10, v12, vcc_lo
	s_wait_alu 0xfffd
	v_add_co_ci_u32_e32 v10, vcc_lo, 0, v20, vcc_lo
	s_delay_alu instid0(VALU_DEP_2) | instskip(SKIP_1) | instid1(VALU_DEP_2)
	v_add_co_u32 v11, vcc_lo, v9, v19
	s_wait_alu 0xfffd
	v_add_co_ci_u32_e64 v12, null, 0, v10, vcc_lo
	s_delay_alu instid0(VALU_DEP_2) | instskip(SKIP_1) | instid1(VALU_DEP_3)
	v_mul_lo_u32 v19, s71, v11
	v_mad_co_u64_u32 v[9:10], null, s70, v11, 0
	v_mul_lo_u32 v20, s70, v12
	s_delay_alu instid0(VALU_DEP_2) | instskip(NEXT) | instid1(VALU_DEP_2)
	v_sub_co_u32 v9, vcc_lo, v21, v9
	v_add3_u32 v10, v10, v20, v19
	v_add_co_u32 v20, s0, v11, 2
	s_wait_alu 0xf1ff
	v_add_co_ci_u32_e64 v21, null, 0, v12, s0
	s_delay_alu instid0(VALU_DEP_3) | instskip(SKIP_3) | instid1(VALU_DEP_3)
	v_sub_nc_u32_e32 v19, v22, v10
	v_sub_co_u32 v23, s0, v9, s70
	s_wait_alu 0xfffd
	v_sub_co_ci_u32_e64 v10, null, v22, v10, vcc_lo
	v_subrev_co_ci_u32_e64 v19, null, s71, v19, vcc_lo
	s_delay_alu instid0(VALU_DEP_3) | instskip(SKIP_1) | instid1(VALU_DEP_2)
	v_cmp_le_u32_e32 vcc_lo, s70, v23
	s_wait_alu 0xf1ff
	v_subrev_co_ci_u32_e64 v19, null, 0, v19, s0
	s_wait_alu 0xfffd
	v_cndmask_b32_e64 v22, 0, -1, vcc_lo
	s_delay_alu instid0(VALU_DEP_2)
	v_cmp_le_u32_e32 vcc_lo, s71, v19
	s_wait_alu 0xfffd
	v_cndmask_b32_e64 v23, 0, -1, vcc_lo
	v_cmp_le_u32_e32 vcc_lo, s70, v9
	s_wait_alu 0xfffd
	v_cndmask_b32_e64 v9, 0, -1, vcc_lo
	;; [unrolled: 3-line block ×3, first 2 shown]
	v_cmp_eq_u32_e32 vcc_lo, s71, v19
	s_wait_alu 0xfffd
	v_cndmask_b32_e32 v19, v23, v22, vcc_lo
	v_add_co_u32 v22, vcc_lo, v11, 1
	s_wait_alu 0xfffd
	v_add_co_ci_u32_e64 v23, null, 0, v12, vcc_lo
	v_cmp_eq_u32_e32 vcc_lo, s71, v10
	s_wait_alu 0xfffd
	v_cndmask_b32_e32 v9, v24, v9, vcc_lo
	v_cmp_ne_u32_e32 vcc_lo, 0, v19
	s_delay_alu instid0(VALU_DEP_2) | instskip(SKIP_3) | instid1(VALU_DEP_1)
	v_cmp_ne_u32_e64 s0, 0, v9
	s_wait_alu 0xfffd
	v_dual_cndmask_b32 v10, v23, v21 :: v_dual_cndmask_b32 v9, v22, v20
	s_wait_alu 0xf1ff
	v_cndmask_b32_e64 v10, v12, v10, s0
	s_delay_alu instid0(VALU_DEP_2) | instskip(NEXT) | instid1(VALU_DEP_2)
	v_cndmask_b32_e64 v9, v11, v9, s0
                                        ; implicit-def: $vgpr11
	v_xor_b32_e32 v10, v10, v2
	s_delay_alu instid0(VALU_DEP_2) | instskip(NEXT) | instid1(VALU_DEP_1)
	v_xor_b32_e32 v9, v9, v2
	v_sub_co_u32 v9, vcc_lo, v9, v2
	s_wait_alu 0xfffd
	s_delay_alu instid0(VALU_DEP_3)
	v_sub_co_ci_u32_e64 v10, null, v10, v2, vcc_lo
.LBB39_52:                              ;   in Loop: Header=BB39_3 Depth=1
	s_wait_alu 0xfffe
	s_and_not1_saveexec_b32 s0, s67
	s_cbranch_execz .LBB39_54
; %bb.53:                               ;   in Loop: Header=BB39_3 Depth=1
	v_rcp_iflag_f32_e32 v2, v16
	s_sub_co_i32 s67, 0, s54
	s_delay_alu instid0(TRANS32_DEP_1) | instskip(NEXT) | instid1(VALU_DEP_1)
	v_mul_f32_e32 v2, 0x4f7ffffe, v2
	v_cvt_u32_f32_e32 v2, v2
	s_wait_alu 0xfffe
	s_delay_alu instid0(VALU_DEP_1) | instskip(NEXT) | instid1(VALU_DEP_1)
	v_mul_lo_u32 v9, s67, v2
	v_mul_hi_u32 v9, v2, v9
	s_delay_alu instid0(VALU_DEP_1) | instskip(NEXT) | instid1(VALU_DEP_1)
	v_add_nc_u32_e32 v2, v2, v9
	v_mul_hi_u32 v2, v11, v2
	s_delay_alu instid0(VALU_DEP_1) | instskip(SKIP_1) | instid1(VALU_DEP_2)
	v_mul_lo_u32 v9, v2, s54
	v_add_nc_u32_e32 v10, 1, v2
	v_sub_nc_u32_e32 v9, v11, v9
	s_delay_alu instid0(VALU_DEP_1) | instskip(SKIP_2) | instid1(VALU_DEP_2)
	v_subrev_nc_u32_e32 v11, s54, v9
	v_cmp_le_u32_e32 vcc_lo, s54, v9
	s_wait_alu 0xfffd
	v_dual_cndmask_b32 v9, v9, v11 :: v_dual_cndmask_b32 v2, v2, v10
	s_delay_alu instid0(VALU_DEP_1) | instskip(NEXT) | instid1(VALU_DEP_2)
	v_cmp_le_u32_e32 vcc_lo, s54, v9
	v_add_nc_u32_e32 v10, 1, v2
	s_wait_alu 0xfffd
	s_delay_alu instid0(VALU_DEP_1)
	v_dual_cndmask_b32 v9, v2, v10 :: v_dual_mov_b32 v10, v1
.LBB39_54:                              ;   in Loop: Header=BB39_3 Depth=1
	s_wait_alu 0xfffe
	s_or_b32 exec_lo, exec_lo, s0
	s_delay_alu instid0(VALU_DEP_1) | instskip(NEXT) | instid1(VALU_DEP_2)
	v_mul_lo_u32 v2, v10, s54
	v_mul_lo_u32 v19, v9, s55
	v_mad_co_u64_u32 v[11:12], null, v9, s54, 0
	v_mul_lo_u32 v20, v10, s24
	s_mov_b32 s0, exec_lo
	s_delay_alu instid0(VALU_DEP_2) | instskip(NEXT) | instid1(VALU_DEP_3)
	v_add3_u32 v2, v12, v19, v2
	v_sub_co_u32 v5, vcc_lo, v5, v11
	v_mul_lo_u32 v19, v9, s25
	v_mad_co_u64_u32 v[9:10], null, v9, s24, 0
	s_wait_alu 0xfffd
	v_sub_co_ci_u32_e64 v2, null, v6, v2, vcc_lo
	v_add_co_u32 v5, vcc_lo, v3, v5
	s_wait_alu 0xfffd
	s_delay_alu instid0(VALU_DEP_2)
	v_add_co_ci_u32_e64 v2, null, v4, v2, vcc_lo
	v_add_co_u32 v6, vcc_lo, v7, 2
	s_wait_alu 0xfffd
	v_add_co_ci_u32_e64 v21, null, 0, v8, vcc_lo
	v_mul_lo_u32 v22, v5, s27
	v_mul_lo_u32 v2, v2, s26
	v_mad_co_u64_u32 v[11:12], null, v5, s26, 0
	v_mul_lo_u32 v23, s5, v6
	v_mul_lo_u32 v21, s4, v21
	v_mad_co_u64_u32 v[5:6], null, s4, v6, 0
	v_add3_u32 v10, v10, v19, v20
	v_add3_u32 v12, v12, v22, v2
	s_delay_alu instid0(VALU_DEP_2) | instskip(NEXT) | instid1(VALU_DEP_4)
	v_lshlrev_b64_e32 v[9:10], 2, v[9:10]
	v_add3_u32 v6, v6, v21, v23
	s_delay_alu instid0(VALU_DEP_3) | instskip(SKIP_2) | instid1(VALU_DEP_3)
	v_lshlrev_b64_e32 v[19:20], 2, v[11:12]
	v_add_co_u32 v11, vcc_lo, v3, v5
	s_wait_alu 0xfffd
	v_add_co_ci_u32_e64 v12, null, v4, v6, vcc_lo
	v_add_co_u32 v9, vcc_lo, s52, v9
	s_wait_alu 0xfffd
	v_add_co_ci_u32_e64 v10, null, s53, v10, vcc_lo
	s_delay_alu instid0(VALU_DEP_3) | instskip(NEXT) | instid1(VALU_DEP_3)
	v_or_b32_e32 v2, s55, v12
	v_add_co_u32 v9, vcc_lo, v9, v19
	s_wait_alu 0xfffd
	s_delay_alu instid0(VALU_DEP_3)
	v_add_co_ci_u32_e64 v10, null, v10, v20, vcc_lo
	global_store_b32 v[9:10], v18, off
                                        ; implicit-def: $vgpr9_vgpr10
	v_cmpx_ne_u64_e32 0, v[1:2]
	s_wait_alu 0xfffe
	s_xor_b32 s67, exec_lo, s0
	s_cbranch_execz .LBB39_56
; %bb.55:                               ;   in Loop: Header=BB39_3 Depth=1
	s_ashr_i32 s68, s55, 31
	v_ashrrev_i32_e32 v2, 31, v12
	s_wait_alu 0xfffe
	s_mov_b32 s69, s68
	s_wait_alu 0xfffe
	s_add_nc_u64 s[70:71], s[54:55], s[68:69]
	v_add_co_u32 v9, vcc_lo, v11, v2
	s_wait_alu 0xfffe
	s_xor_b64 s[70:71], s[70:71], s[68:69]
	s_wait_alu 0xfffd
	v_add_co_ci_u32_e64 v10, null, v12, v2, vcc_lo
	s_wait_alu 0xfffe
	s_cvt_f32_u32 s0, s70
	s_cvt_f32_u32 s69, s71
	s_sub_nc_u64 s[78:79], 0, s[70:71]
	v_xor_b32_e32 v20, v9, v2
	v_xor_b32_e32 v21, v10, v2
	s_wait_alu 0xfffe
	s_fmamk_f32 s0, s69, 0x4f800000, s0
	v_xor_b32_e32 v2, s68, v2
	s_wait_alu 0xfffe
	s_delay_alu instid0(SALU_CYCLE_1) | instskip(NEXT) | instid1(TRANS32_DEP_1)
	v_s_rcp_f32 s0, s0
	s_mul_f32 s0, s0, 0x5f7ffffc
	s_wait_alu 0xfffe
	s_delay_alu instid0(SALU_CYCLE_2) | instskip(SKIP_1) | instid1(SALU_CYCLE_2)
	s_mul_f32 s69, s0, 0x2f800000
	s_wait_alu 0xfffe
	s_trunc_f32 s69, s69
	s_wait_alu 0xfffe
	s_delay_alu instid0(SALU_CYCLE_2) | instskip(SKIP_2) | instid1(SALU_CYCLE_1)
	s_fmamk_f32 s0, s69, 0xcf800000, s0
	s_cvt_u32_f32 s77, s69
	s_wait_alu 0xfffe
	s_cvt_u32_f32 s76, s0
	s_delay_alu instid0(SALU_CYCLE_3) | instskip(NEXT) | instid1(SALU_CYCLE_1)
	s_mul_u64 s[80:81], s[78:79], s[76:77]
	s_mul_hi_u32 s83, s76, s81
	s_mul_i32 s82, s76, s81
	s_mul_hi_u32 s0, s76, s80
	s_mul_i32 s75, s77, s80
	s_wait_alu 0xfffe
	s_add_nc_u64 s[82:83], s[0:1], s[82:83]
	s_mul_hi_u32 s69, s77, s80
	s_mul_hi_u32 s84, s77, s81
	s_add_co_u32 s0, s82, s75
	s_wait_alu 0xfffe
	s_add_co_ci_u32 s0, s83, s69
	s_mul_i32 s80, s77, s81
	s_add_co_ci_u32 s81, s84, 0
	s_wait_alu 0xfffe
	s_add_nc_u64 s[80:81], s[0:1], s[80:81]
	s_delay_alu instid0(SALU_CYCLE_1) | instskip(SKIP_4) | instid1(SALU_CYCLE_1)
	s_add_co_u32 s76, s76, s80
	s_cselect_b32 s0, -1, 0
	s_wait_alu 0xfffe
	s_cmp_lg_u32 s0, 0
	s_add_co_ci_u32 s77, s77, s81
	s_mul_u64 s[78:79], s[78:79], s[76:77]
	s_delay_alu instid0(SALU_CYCLE_1)
	s_mul_hi_u32 s81, s76, s79
	s_mul_i32 s80, s76, s79
	s_mul_hi_u32 s0, s76, s78
	s_mul_i32 s75, s77, s78
	s_wait_alu 0xfffe
	s_add_nc_u64 s[80:81], s[0:1], s[80:81]
	s_mul_hi_u32 s69, s77, s78
	s_mul_hi_u32 s82, s77, s79
	s_add_co_u32 s0, s80, s75
	s_wait_alu 0xfffe
	s_add_co_ci_u32 s0, s81, s69
	s_mul_i32 s78, s77, s79
	s_add_co_ci_u32 s79, s82, 0
	s_wait_alu 0xfffe
	s_add_nc_u64 s[78:79], s[0:1], s[78:79]
	s_delay_alu instid0(SALU_CYCLE_1)
	s_add_co_u32 s0, s76, s78
	s_cselect_b32 s69, -1, 0
	s_wait_alu 0xfffe
	v_mul_hi_u32 v22, v20, s0
	s_cmp_lg_u32 s69, 0
	v_mad_co_u64_u32 v[11:12], null, v21, s0, 0
	s_add_co_ci_u32 s69, s77, s79
	s_wait_alu 0xfffe
	v_mad_co_u64_u32 v[9:10], null, v20, s69, 0
	v_mad_co_u64_u32 v[18:19], null, v21, s69, 0
	s_delay_alu instid0(VALU_DEP_2) | instskip(SKIP_1) | instid1(VALU_DEP_3)
	v_add_co_u32 v9, vcc_lo, v22, v9
	s_wait_alu 0xfffd
	v_add_co_ci_u32_e64 v10, null, 0, v10, vcc_lo
	s_delay_alu instid0(VALU_DEP_2) | instskip(SKIP_1) | instid1(VALU_DEP_2)
	v_add_co_u32 v9, vcc_lo, v9, v11
	s_wait_alu 0xfffd
	v_add_co_ci_u32_e32 v9, vcc_lo, v10, v12, vcc_lo
	s_wait_alu 0xfffd
	v_add_co_ci_u32_e32 v10, vcc_lo, 0, v19, vcc_lo
	s_delay_alu instid0(VALU_DEP_2) | instskip(SKIP_1) | instid1(VALU_DEP_2)
	v_add_co_u32 v11, vcc_lo, v9, v18
	s_wait_alu 0xfffd
	v_add_co_ci_u32_e64 v12, null, 0, v10, vcc_lo
	s_delay_alu instid0(VALU_DEP_2) | instskip(SKIP_1) | instid1(VALU_DEP_3)
	v_mul_lo_u32 v18, s71, v11
	v_mad_co_u64_u32 v[9:10], null, s70, v11, 0
	v_mul_lo_u32 v19, s70, v12
	s_delay_alu instid0(VALU_DEP_2) | instskip(NEXT) | instid1(VALU_DEP_2)
	v_sub_co_u32 v9, vcc_lo, v20, v9
	v_add3_u32 v10, v10, v19, v18
	v_add_co_u32 v19, s0, v11, 2
	s_wait_alu 0xf1ff
	v_add_co_ci_u32_e64 v20, null, 0, v12, s0
	s_delay_alu instid0(VALU_DEP_3) | instskip(SKIP_3) | instid1(VALU_DEP_3)
	v_sub_nc_u32_e32 v18, v21, v10
	v_sub_co_u32 v22, s0, v9, s70
	s_wait_alu 0xfffd
	v_sub_co_ci_u32_e64 v10, null, v21, v10, vcc_lo
	v_subrev_co_ci_u32_e64 v18, null, s71, v18, vcc_lo
	s_delay_alu instid0(VALU_DEP_3) | instskip(SKIP_1) | instid1(VALU_DEP_2)
	v_cmp_le_u32_e32 vcc_lo, s70, v22
	s_wait_alu 0xf1ff
	v_subrev_co_ci_u32_e64 v18, null, 0, v18, s0
	s_wait_alu 0xfffd
	v_cndmask_b32_e64 v21, 0, -1, vcc_lo
	s_delay_alu instid0(VALU_DEP_2)
	v_cmp_le_u32_e32 vcc_lo, s71, v18
	s_wait_alu 0xfffd
	v_cndmask_b32_e64 v22, 0, -1, vcc_lo
	v_cmp_le_u32_e32 vcc_lo, s70, v9
	s_wait_alu 0xfffd
	v_cndmask_b32_e64 v9, 0, -1, vcc_lo
	;; [unrolled: 3-line block ×3, first 2 shown]
	v_cmp_eq_u32_e32 vcc_lo, s71, v18
	s_wait_alu 0xfffd
	v_cndmask_b32_e32 v18, v22, v21, vcc_lo
	v_add_co_u32 v21, vcc_lo, v11, 1
	s_wait_alu 0xfffd
	v_add_co_ci_u32_e64 v22, null, 0, v12, vcc_lo
	v_cmp_eq_u32_e32 vcc_lo, s71, v10
	s_wait_alu 0xfffd
	v_cndmask_b32_e32 v9, v23, v9, vcc_lo
	v_cmp_ne_u32_e32 vcc_lo, 0, v18
	s_wait_alu 0xfffd
	v_cndmask_b32_e32 v10, v22, v20, vcc_lo
	s_delay_alu instid0(VALU_DEP_3) | instskip(SKIP_2) | instid1(VALU_DEP_2)
	v_cmp_ne_u32_e64 s0, 0, v9
	v_cndmask_b32_e32 v9, v21, v19, vcc_lo
	s_wait_alu 0xf1ff
	v_cndmask_b32_e64 v10, v12, v10, s0
	s_delay_alu instid0(VALU_DEP_2) | instskip(NEXT) | instid1(VALU_DEP_2)
	v_cndmask_b32_e64 v9, v11, v9, s0
                                        ; implicit-def: $vgpr11
	v_xor_b32_e32 v10, v10, v2
	s_delay_alu instid0(VALU_DEP_2) | instskip(NEXT) | instid1(VALU_DEP_1)
	v_xor_b32_e32 v9, v9, v2
	v_sub_co_u32 v9, vcc_lo, v9, v2
	s_wait_alu 0xfffd
	s_delay_alu instid0(VALU_DEP_3)
	v_sub_co_ci_u32_e64 v10, null, v10, v2, vcc_lo
.LBB39_56:                              ;   in Loop: Header=BB39_3 Depth=1
	s_wait_alu 0xfffe
	s_and_not1_saveexec_b32 s0, s67
	s_cbranch_execz .LBB39_58
; %bb.57:                               ;   in Loop: Header=BB39_3 Depth=1
	v_rcp_iflag_f32_e32 v2, v16
	s_sub_co_i32 s67, 0, s54
	s_delay_alu instid0(TRANS32_DEP_1) | instskip(NEXT) | instid1(VALU_DEP_1)
	v_mul_f32_e32 v2, 0x4f7ffffe, v2
	v_cvt_u32_f32_e32 v2, v2
	s_wait_alu 0xfffe
	s_delay_alu instid0(VALU_DEP_1) | instskip(NEXT) | instid1(VALU_DEP_1)
	v_mul_lo_u32 v9, s67, v2
	v_mul_hi_u32 v9, v2, v9
	s_delay_alu instid0(VALU_DEP_1) | instskip(NEXT) | instid1(VALU_DEP_1)
	v_add_nc_u32_e32 v2, v2, v9
	v_mul_hi_u32 v2, v11, v2
	s_delay_alu instid0(VALU_DEP_1) | instskip(SKIP_1) | instid1(VALU_DEP_2)
	v_mul_lo_u32 v9, v2, s54
	v_add_nc_u32_e32 v10, 1, v2
	v_sub_nc_u32_e32 v9, v11, v9
	s_delay_alu instid0(VALU_DEP_1) | instskip(SKIP_2) | instid1(VALU_DEP_2)
	v_subrev_nc_u32_e32 v11, s54, v9
	v_cmp_le_u32_e32 vcc_lo, s54, v9
	s_wait_alu 0xfffd
	v_dual_cndmask_b32 v9, v9, v11 :: v_dual_cndmask_b32 v2, v2, v10
	s_delay_alu instid0(VALU_DEP_1) | instskip(NEXT) | instid1(VALU_DEP_2)
	v_cmp_le_u32_e32 vcc_lo, s54, v9
	v_add_nc_u32_e32 v10, 1, v2
	s_wait_alu 0xfffd
	s_delay_alu instid0(VALU_DEP_1)
	v_dual_cndmask_b32 v9, v2, v10 :: v_dual_mov_b32 v10, v1
.LBB39_58:                              ;   in Loop: Header=BB39_3 Depth=1
	s_wait_alu 0xfffe
	s_or_b32 exec_lo, exec_lo, s0
	s_delay_alu instid0(VALU_DEP_1) | instskip(NEXT) | instid1(VALU_DEP_2)
	v_mul_lo_u32 v2, v10, s54
	v_mul_lo_u32 v18, v9, s55
	v_mad_co_u64_u32 v[11:12], null, v9, s54, 0
	v_mul_lo_u32 v19, v10, s24
	s_mov_b32 s0, exec_lo
	s_delay_alu instid0(VALU_DEP_2) | instskip(NEXT) | instid1(VALU_DEP_3)
	v_add3_u32 v2, v12, v18, v2
	v_sub_co_u32 v5, vcc_lo, v5, v11
	v_mul_lo_u32 v18, v9, s25
	v_mad_co_u64_u32 v[9:10], null, v9, s24, 0
	s_wait_alu 0xfffd
	v_sub_co_ci_u32_e64 v2, null, v6, v2, vcc_lo
	v_add_co_u32 v5, vcc_lo, v3, v5
	s_wait_alu 0xfffd
	s_delay_alu instid0(VALU_DEP_2)
	v_add_co_ci_u32_e64 v2, null, v4, v2, vcc_lo
	v_add_co_u32 v6, vcc_lo, v7, 3
	s_wait_alu 0xfffd
	v_add_co_ci_u32_e64 v20, null, 0, v8, vcc_lo
	v_mul_lo_u32 v21, v5, s27
	v_mul_lo_u32 v2, v2, s26
	v_mad_co_u64_u32 v[11:12], null, v5, s26, 0
	v_mul_lo_u32 v22, s5, v6
	v_mul_lo_u32 v20, s4, v20
	v_mad_co_u64_u32 v[5:6], null, s4, v6, 0
	v_add3_u32 v10, v10, v18, v19
	v_add3_u32 v12, v12, v21, v2
	s_delay_alu instid0(VALU_DEP_2) | instskip(NEXT) | instid1(VALU_DEP_4)
	v_lshlrev_b64_e32 v[9:10], 2, v[9:10]
	v_add3_u32 v6, v6, v20, v22
	s_delay_alu instid0(VALU_DEP_3) | instskip(SKIP_2) | instid1(VALU_DEP_3)
	v_lshlrev_b64_e32 v[18:19], 2, v[11:12]
	v_add_co_u32 v11, vcc_lo, v3, v5
	s_wait_alu 0xfffd
	v_add_co_ci_u32_e64 v12, null, v4, v6, vcc_lo
	v_add_co_u32 v9, vcc_lo, s52, v9
	s_wait_alu 0xfffd
	v_add_co_ci_u32_e64 v10, null, s53, v10, vcc_lo
	s_delay_alu instid0(VALU_DEP_3) | instskip(NEXT) | instid1(VALU_DEP_3)
	v_or_b32_e32 v2, s55, v12
	v_add_co_u32 v9, vcc_lo, v9, v18
	s_wait_alu 0xfffd
	s_delay_alu instid0(VALU_DEP_3)
	v_add_co_ci_u32_e64 v10, null, v10, v19, vcc_lo
	global_store_b32 v[9:10], v17, off
                                        ; implicit-def: $vgpr9_vgpr10
	v_cmpx_ne_u64_e32 0, v[1:2]
	s_wait_alu 0xfffe
	s_xor_b32 s67, exec_lo, s0
	s_cbranch_execz .LBB39_60
; %bb.59:                               ;   in Loop: Header=BB39_3 Depth=1
	s_ashr_i32 s68, s55, 31
	v_ashrrev_i32_e32 v2, 31, v12
	s_wait_alu 0xfffe
	s_mov_b32 s69, s68
	s_wait_alu 0xfffe
	s_add_nc_u64 s[70:71], s[54:55], s[68:69]
	v_add_co_u32 v9, vcc_lo, v11, v2
	s_wait_alu 0xfffe
	s_xor_b64 s[70:71], s[70:71], s[68:69]
	s_wait_alu 0xfffd
	v_add_co_ci_u32_e64 v10, null, v12, v2, vcc_lo
	s_wait_alu 0xfffe
	s_cvt_f32_u32 s0, s70
	s_cvt_f32_u32 s69, s71
	s_sub_nc_u64 s[78:79], 0, s[70:71]
	v_xor_b32_e32 v19, v9, v2
	v_xor_b32_e32 v20, v10, v2
	s_wait_alu 0xfffe
	s_fmamk_f32 s0, s69, 0x4f800000, s0
	v_xor_b32_e32 v2, s68, v2
	s_wait_alu 0xfffe
	s_delay_alu instid0(SALU_CYCLE_1) | instskip(NEXT) | instid1(TRANS32_DEP_1)
	v_s_rcp_f32 s0, s0
	s_mul_f32 s0, s0, 0x5f7ffffc
	s_wait_alu 0xfffe
	s_delay_alu instid0(SALU_CYCLE_2) | instskip(SKIP_1) | instid1(SALU_CYCLE_2)
	s_mul_f32 s69, s0, 0x2f800000
	s_wait_alu 0xfffe
	s_trunc_f32 s69, s69
	s_wait_alu 0xfffe
	s_delay_alu instid0(SALU_CYCLE_2) | instskip(SKIP_2) | instid1(SALU_CYCLE_1)
	s_fmamk_f32 s0, s69, 0xcf800000, s0
	s_cvt_u32_f32 s77, s69
	s_wait_alu 0xfffe
	s_cvt_u32_f32 s76, s0
	s_delay_alu instid0(SALU_CYCLE_3) | instskip(NEXT) | instid1(SALU_CYCLE_1)
	s_mul_u64 s[80:81], s[78:79], s[76:77]
	s_mul_hi_u32 s83, s76, s81
	s_mul_i32 s82, s76, s81
	s_mul_hi_u32 s0, s76, s80
	s_mul_i32 s75, s77, s80
	s_wait_alu 0xfffe
	s_add_nc_u64 s[82:83], s[0:1], s[82:83]
	s_mul_hi_u32 s69, s77, s80
	s_mul_hi_u32 s84, s77, s81
	s_add_co_u32 s0, s82, s75
	s_wait_alu 0xfffe
	s_add_co_ci_u32 s0, s83, s69
	s_mul_i32 s80, s77, s81
	s_add_co_ci_u32 s81, s84, 0
	s_wait_alu 0xfffe
	s_add_nc_u64 s[80:81], s[0:1], s[80:81]
	s_delay_alu instid0(SALU_CYCLE_1) | instskip(SKIP_4) | instid1(SALU_CYCLE_1)
	s_add_co_u32 s76, s76, s80
	s_cselect_b32 s0, -1, 0
	s_wait_alu 0xfffe
	s_cmp_lg_u32 s0, 0
	s_add_co_ci_u32 s77, s77, s81
	s_mul_u64 s[78:79], s[78:79], s[76:77]
	s_delay_alu instid0(SALU_CYCLE_1)
	s_mul_hi_u32 s81, s76, s79
	s_mul_i32 s80, s76, s79
	s_mul_hi_u32 s0, s76, s78
	s_mul_i32 s75, s77, s78
	s_wait_alu 0xfffe
	s_add_nc_u64 s[80:81], s[0:1], s[80:81]
	s_mul_hi_u32 s69, s77, s78
	s_mul_hi_u32 s82, s77, s79
	s_add_co_u32 s0, s80, s75
	s_wait_alu 0xfffe
	s_add_co_ci_u32 s0, s81, s69
	s_mul_i32 s78, s77, s79
	s_add_co_ci_u32 s79, s82, 0
	s_wait_alu 0xfffe
	s_add_nc_u64 s[78:79], s[0:1], s[78:79]
	s_delay_alu instid0(SALU_CYCLE_1)
	s_add_co_u32 s0, s76, s78
	s_cselect_b32 s69, -1, 0
	s_wait_alu 0xfffe
	v_mul_hi_u32 v21, v19, s0
	s_cmp_lg_u32 s69, 0
	v_mad_co_u64_u32 v[11:12], null, v20, s0, 0
	s_add_co_ci_u32 s69, s77, s79
	s_wait_alu 0xfffe
	v_mad_co_u64_u32 v[9:10], null, v19, s69, 0
	v_mad_co_u64_u32 v[17:18], null, v20, s69, 0
	s_delay_alu instid0(VALU_DEP_2) | instskip(SKIP_1) | instid1(VALU_DEP_3)
	v_add_co_u32 v9, vcc_lo, v21, v9
	s_wait_alu 0xfffd
	v_add_co_ci_u32_e64 v10, null, 0, v10, vcc_lo
	s_delay_alu instid0(VALU_DEP_2) | instskip(SKIP_1) | instid1(VALU_DEP_2)
	v_add_co_u32 v9, vcc_lo, v9, v11
	s_wait_alu 0xfffd
	v_add_co_ci_u32_e32 v9, vcc_lo, v10, v12, vcc_lo
	s_wait_alu 0xfffd
	v_add_co_ci_u32_e32 v10, vcc_lo, 0, v18, vcc_lo
	s_delay_alu instid0(VALU_DEP_2) | instskip(SKIP_1) | instid1(VALU_DEP_2)
	v_add_co_u32 v11, vcc_lo, v9, v17
	s_wait_alu 0xfffd
	v_add_co_ci_u32_e64 v12, null, 0, v10, vcc_lo
	s_delay_alu instid0(VALU_DEP_2) | instskip(SKIP_1) | instid1(VALU_DEP_3)
	v_mul_lo_u32 v17, s71, v11
	v_mad_co_u64_u32 v[9:10], null, s70, v11, 0
	v_mul_lo_u32 v18, s70, v12
	s_delay_alu instid0(VALU_DEP_2) | instskip(NEXT) | instid1(VALU_DEP_2)
	v_sub_co_u32 v9, vcc_lo, v19, v9
	v_add3_u32 v10, v10, v18, v17
	v_add_co_u32 v18, s0, v11, 2
	s_wait_alu 0xf1ff
	v_add_co_ci_u32_e64 v19, null, 0, v12, s0
	s_delay_alu instid0(VALU_DEP_3) | instskip(SKIP_3) | instid1(VALU_DEP_3)
	v_sub_nc_u32_e32 v17, v20, v10
	v_sub_co_u32 v21, s0, v9, s70
	s_wait_alu 0xfffd
	v_sub_co_ci_u32_e64 v10, null, v20, v10, vcc_lo
	v_subrev_co_ci_u32_e64 v17, null, s71, v17, vcc_lo
	s_delay_alu instid0(VALU_DEP_3) | instskip(SKIP_1) | instid1(VALU_DEP_2)
	v_cmp_le_u32_e32 vcc_lo, s70, v21
	s_wait_alu 0xf1ff
	v_subrev_co_ci_u32_e64 v17, null, 0, v17, s0
	s_wait_alu 0xfffd
	v_cndmask_b32_e64 v20, 0, -1, vcc_lo
	s_delay_alu instid0(VALU_DEP_2)
	v_cmp_le_u32_e32 vcc_lo, s71, v17
	s_wait_alu 0xfffd
	v_cndmask_b32_e64 v21, 0, -1, vcc_lo
	v_cmp_le_u32_e32 vcc_lo, s70, v9
	s_wait_alu 0xfffd
	v_cndmask_b32_e64 v9, 0, -1, vcc_lo
	;; [unrolled: 3-line block ×3, first 2 shown]
	v_cmp_eq_u32_e32 vcc_lo, s71, v17
	s_wait_alu 0xfffd
	v_cndmask_b32_e32 v17, v21, v20, vcc_lo
	v_add_co_u32 v20, vcc_lo, v11, 1
	s_wait_alu 0xfffd
	v_add_co_ci_u32_e64 v21, null, 0, v12, vcc_lo
	v_cmp_eq_u32_e32 vcc_lo, s71, v10
	s_wait_alu 0xfffd
	v_cndmask_b32_e32 v9, v22, v9, vcc_lo
	v_cmp_ne_u32_e32 vcc_lo, 0, v17
	s_wait_alu 0xfffd
	v_cndmask_b32_e32 v10, v21, v19, vcc_lo
	s_delay_alu instid0(VALU_DEP_3) | instskip(SKIP_2) | instid1(VALU_DEP_2)
	v_cmp_ne_u32_e64 s0, 0, v9
	v_cndmask_b32_e32 v9, v20, v18, vcc_lo
	s_wait_alu 0xf1ff
	v_cndmask_b32_e64 v10, v12, v10, s0
	s_delay_alu instid0(VALU_DEP_2) | instskip(NEXT) | instid1(VALU_DEP_2)
	v_cndmask_b32_e64 v9, v11, v9, s0
                                        ; implicit-def: $vgpr11
	v_xor_b32_e32 v10, v10, v2
	s_delay_alu instid0(VALU_DEP_2) | instskip(NEXT) | instid1(VALU_DEP_1)
	v_xor_b32_e32 v9, v9, v2
	v_sub_co_u32 v9, vcc_lo, v9, v2
	s_wait_alu 0xfffd
	s_delay_alu instid0(VALU_DEP_3)
	v_sub_co_ci_u32_e64 v10, null, v10, v2, vcc_lo
.LBB39_60:                              ;   in Loop: Header=BB39_3 Depth=1
	s_wait_alu 0xfffe
	s_and_not1_saveexec_b32 s0, s67
	s_cbranch_execz .LBB39_62
; %bb.61:                               ;   in Loop: Header=BB39_3 Depth=1
	v_rcp_iflag_f32_e32 v2, v16
	s_sub_co_i32 s67, 0, s54
	s_delay_alu instid0(TRANS32_DEP_1) | instskip(NEXT) | instid1(VALU_DEP_1)
	v_mul_f32_e32 v2, 0x4f7ffffe, v2
	v_cvt_u32_f32_e32 v2, v2
	s_wait_alu 0xfffe
	s_delay_alu instid0(VALU_DEP_1) | instskip(NEXT) | instid1(VALU_DEP_1)
	v_mul_lo_u32 v9, s67, v2
	v_mul_hi_u32 v9, v2, v9
	s_delay_alu instid0(VALU_DEP_1) | instskip(NEXT) | instid1(VALU_DEP_1)
	v_add_nc_u32_e32 v2, v2, v9
	v_mul_hi_u32 v2, v11, v2
	s_delay_alu instid0(VALU_DEP_1) | instskip(SKIP_1) | instid1(VALU_DEP_2)
	v_mul_lo_u32 v9, v2, s54
	v_add_nc_u32_e32 v10, 1, v2
	v_sub_nc_u32_e32 v9, v11, v9
	s_delay_alu instid0(VALU_DEP_1) | instskip(SKIP_2) | instid1(VALU_DEP_2)
	v_subrev_nc_u32_e32 v11, s54, v9
	v_cmp_le_u32_e32 vcc_lo, s54, v9
	s_wait_alu 0xfffd
	v_dual_cndmask_b32 v9, v9, v11 :: v_dual_cndmask_b32 v2, v2, v10
	s_delay_alu instid0(VALU_DEP_1) | instskip(NEXT) | instid1(VALU_DEP_2)
	v_cmp_le_u32_e32 vcc_lo, s54, v9
	v_add_nc_u32_e32 v10, 1, v2
	s_wait_alu 0xfffd
	s_delay_alu instid0(VALU_DEP_1)
	v_dual_cndmask_b32 v9, v2, v10 :: v_dual_mov_b32 v10, v1
.LBB39_62:                              ;   in Loop: Header=BB39_3 Depth=1
	s_wait_alu 0xfffe
	s_or_b32 exec_lo, exec_lo, s0
	s_delay_alu instid0(VALU_DEP_1) | instskip(NEXT) | instid1(VALU_DEP_2)
	v_mul_lo_u32 v2, v10, s54
	v_mul_lo_u32 v17, v9, s55
	v_mad_co_u64_u32 v[11:12], null, v9, s54, 0
	v_mul_lo_u32 v18, v10, s24
	s_mov_b32 s0, exec_lo
	s_delay_alu instid0(VALU_DEP_2) | instskip(NEXT) | instid1(VALU_DEP_3)
	v_add3_u32 v2, v12, v17, v2
	v_sub_co_u32 v5, vcc_lo, v5, v11
	v_mul_lo_u32 v12, v9, s25
	v_mad_co_u64_u32 v[9:10], null, v9, s24, 0
	s_wait_alu 0xfffd
	v_sub_co_ci_u32_e64 v2, null, v6, v2, vcc_lo
	v_add_co_u32 v5, vcc_lo, v3, v5
	s_wait_alu 0xfffd
	s_delay_alu instid0(VALU_DEP_2)
	v_add_co_ci_u32_e64 v2, null, v4, v2, vcc_lo
	v_add_co_u32 v6, vcc_lo, v7, 4
	s_wait_alu 0xfffd
	v_add_co_ci_u32_e64 v11, null, 0, v8, vcc_lo
	v_mul_lo_u32 v17, v5, s27
	v_mul_lo_u32 v2, v2, s26
	v_mad_co_u64_u32 v[7:8], null, v5, s26, 0
	v_mul_lo_u32 v19, s5, v6
	v_mul_lo_u32 v20, s4, v11
	v_mad_co_u64_u32 v[5:6], null, s4, v6, 0
	v_add3_u32 v10, v10, v12, v18
	v_add3_u32 v8, v8, v17, v2
	s_delay_alu instid0(VALU_DEP_2) | instskip(NEXT) | instid1(VALU_DEP_4)
	v_lshlrev_b64_e32 v[11:12], 2, v[9:10]
	v_add3_u32 v6, v6, v20, v19
	v_add_co_u32 v9, vcc_lo, v3, v5
	s_delay_alu instid0(VALU_DEP_4) | instskip(SKIP_1) | instid1(VALU_DEP_3)
	v_lshlrev_b64_e32 v[7:8], 2, v[7:8]
	s_wait_alu 0xfffd
	v_add_co_ci_u32_e64 v10, null, v4, v6, vcc_lo
	v_add_co_u32 v11, vcc_lo, s52, v11
	s_wait_alu 0xfffd
	v_add_co_ci_u32_e64 v12, null, s53, v12, vcc_lo
	s_delay_alu instid0(VALU_DEP_3) | instskip(NEXT) | instid1(VALU_DEP_3)
	v_or_b32_e32 v2, s55, v10
	v_add_co_u32 v7, vcc_lo, v11, v7
	s_wait_alu 0xfffd
	s_delay_alu instid0(VALU_DEP_3)
	v_add_co_ci_u32_e64 v8, null, v12, v8, vcc_lo
	global_store_b32 v[7:8], v13, off
                                        ; implicit-def: $vgpr7_vgpr8
	v_cmpx_ne_u64_e32 0, v[1:2]
	s_wait_alu 0xfffe
	s_xor_b32 s67, exec_lo, s0
	s_cbranch_execz .LBB39_64
; %bb.63:                               ;   in Loop: Header=BB39_3 Depth=1
	s_ashr_i32 s68, s55, 31
	v_ashrrev_i32_e32 v2, 31, v10
	s_wait_alu 0xfffe
	s_mov_b32 s69, s68
	s_wait_alu 0xfffe
	s_add_nc_u64 s[70:71], s[54:55], s[68:69]
	v_add_co_u32 v7, vcc_lo, v9, v2
	s_wait_alu 0xfffe
	s_xor_b64 s[70:71], s[70:71], s[68:69]
	s_wait_alu 0xfffd
	v_add_co_ci_u32_e64 v8, null, v10, v2, vcc_lo
	s_wait_alu 0xfffe
	s_cvt_f32_u32 s0, s70
	s_cvt_f32_u32 s69, s71
	s_sub_nc_u64 s[78:79], 0, s[70:71]
	v_xor_b32_e32 v13, v7, v2
	v_xor_b32_e32 v16, v8, v2
	s_wait_alu 0xfffe
	s_fmamk_f32 s0, s69, 0x4f800000, s0
	v_xor_b32_e32 v2, s68, v2
	s_wait_alu 0xfffe
	s_delay_alu instid0(SALU_CYCLE_1) | instskip(NEXT) | instid1(TRANS32_DEP_1)
	v_s_rcp_f32 s0, s0
	s_mul_f32 s0, s0, 0x5f7ffffc
	s_wait_alu 0xfffe
	s_delay_alu instid0(SALU_CYCLE_2) | instskip(SKIP_1) | instid1(SALU_CYCLE_2)
	s_mul_f32 s69, s0, 0x2f800000
	s_wait_alu 0xfffe
	s_trunc_f32 s69, s69
	s_wait_alu 0xfffe
	s_delay_alu instid0(SALU_CYCLE_2) | instskip(SKIP_2) | instid1(SALU_CYCLE_1)
	s_fmamk_f32 s0, s69, 0xcf800000, s0
	s_cvt_u32_f32 s77, s69
	s_wait_alu 0xfffe
	s_cvt_u32_f32 s76, s0
	s_delay_alu instid0(SALU_CYCLE_3) | instskip(NEXT) | instid1(SALU_CYCLE_1)
	s_mul_u64 s[80:81], s[78:79], s[76:77]
	s_mul_hi_u32 s83, s76, s81
	s_mul_i32 s82, s76, s81
	s_mul_hi_u32 s0, s76, s80
	s_mul_i32 s75, s77, s80
	s_wait_alu 0xfffe
	s_add_nc_u64 s[82:83], s[0:1], s[82:83]
	s_mul_hi_u32 s69, s77, s80
	s_mul_hi_u32 s84, s77, s81
	s_add_co_u32 s0, s82, s75
	s_wait_alu 0xfffe
	s_add_co_ci_u32 s0, s83, s69
	s_mul_i32 s80, s77, s81
	s_add_co_ci_u32 s81, s84, 0
	s_wait_alu 0xfffe
	s_add_nc_u64 s[80:81], s[0:1], s[80:81]
	s_delay_alu instid0(SALU_CYCLE_1) | instskip(SKIP_4) | instid1(SALU_CYCLE_1)
	s_add_co_u32 s76, s76, s80
	s_cselect_b32 s0, -1, 0
	s_wait_alu 0xfffe
	s_cmp_lg_u32 s0, 0
	s_add_co_ci_u32 s77, s77, s81
	s_mul_u64 s[78:79], s[78:79], s[76:77]
	s_delay_alu instid0(SALU_CYCLE_1)
	s_mul_hi_u32 s81, s76, s79
	s_mul_i32 s80, s76, s79
	s_mul_hi_u32 s0, s76, s78
	s_mul_i32 s75, s77, s78
	s_wait_alu 0xfffe
	s_add_nc_u64 s[80:81], s[0:1], s[80:81]
	s_mul_hi_u32 s69, s77, s78
	s_mul_hi_u32 s82, s77, s79
	s_add_co_u32 s0, s80, s75
	s_wait_alu 0xfffe
	s_add_co_ci_u32 s0, s81, s69
	s_mul_i32 s78, s77, s79
	s_add_co_ci_u32 s79, s82, 0
	s_wait_alu 0xfffe
	s_add_nc_u64 s[78:79], s[0:1], s[78:79]
	s_delay_alu instid0(SALU_CYCLE_1)
	s_add_co_u32 s0, s76, s78
	s_cselect_b32 s69, -1, 0
	s_wait_alu 0xfffe
	v_mul_hi_u32 v17, v13, s0
	s_cmp_lg_u32 s69, 0
	v_mad_co_u64_u32 v[9:10], null, v16, s0, 0
	s_add_co_ci_u32 s69, s77, s79
	s_wait_alu 0xfffe
	v_mad_co_u64_u32 v[7:8], null, v13, s69, 0
	v_mad_co_u64_u32 v[11:12], null, v16, s69, 0
	s_delay_alu instid0(VALU_DEP_2) | instskip(SKIP_1) | instid1(VALU_DEP_3)
	v_add_co_u32 v7, vcc_lo, v17, v7
	s_wait_alu 0xfffd
	v_add_co_ci_u32_e64 v8, null, 0, v8, vcc_lo
	s_delay_alu instid0(VALU_DEP_2) | instskip(SKIP_1) | instid1(VALU_DEP_2)
	v_add_co_u32 v7, vcc_lo, v7, v9
	s_wait_alu 0xfffd
	v_add_co_ci_u32_e32 v7, vcc_lo, v8, v10, vcc_lo
	s_wait_alu 0xfffd
	v_add_co_ci_u32_e32 v8, vcc_lo, 0, v12, vcc_lo
	s_delay_alu instid0(VALU_DEP_2) | instskip(SKIP_1) | instid1(VALU_DEP_2)
	v_add_co_u32 v9, vcc_lo, v7, v11
	s_wait_alu 0xfffd
	v_add_co_ci_u32_e64 v10, null, 0, v8, vcc_lo
	s_delay_alu instid0(VALU_DEP_2) | instskip(SKIP_1) | instid1(VALU_DEP_3)
	v_mul_lo_u32 v11, s71, v9
	v_mad_co_u64_u32 v[7:8], null, s70, v9, 0
	v_mul_lo_u32 v12, s70, v10
	s_delay_alu instid0(VALU_DEP_2) | instskip(NEXT) | instid1(VALU_DEP_2)
	v_sub_co_u32 v7, vcc_lo, v13, v7
	v_add3_u32 v8, v8, v12, v11
	v_add_co_u32 v12, s0, v9, 2
	s_wait_alu 0xf1ff
	v_add_co_ci_u32_e64 v13, null, 0, v10, s0
	s_delay_alu instid0(VALU_DEP_3) | instskip(SKIP_3) | instid1(VALU_DEP_3)
	v_sub_nc_u32_e32 v11, v16, v8
	v_sub_co_u32 v17, s0, v7, s70
	s_wait_alu 0xfffd
	v_sub_co_ci_u32_e64 v8, null, v16, v8, vcc_lo
	v_subrev_co_ci_u32_e64 v11, null, s71, v11, vcc_lo
	s_delay_alu instid0(VALU_DEP_3) | instskip(SKIP_1) | instid1(VALU_DEP_2)
	v_cmp_le_u32_e32 vcc_lo, s70, v17
	s_wait_alu 0xf1ff
	v_subrev_co_ci_u32_e64 v11, null, 0, v11, s0
	s_wait_alu 0xfffd
	v_cndmask_b32_e64 v16, 0, -1, vcc_lo
	s_delay_alu instid0(VALU_DEP_2)
	v_cmp_le_u32_e32 vcc_lo, s71, v11
	s_wait_alu 0xfffd
	v_cndmask_b32_e64 v17, 0, -1, vcc_lo
	v_cmp_le_u32_e32 vcc_lo, s70, v7
	s_wait_alu 0xfffd
	v_cndmask_b32_e64 v7, 0, -1, vcc_lo
	v_cmp_le_u32_e32 vcc_lo, s71, v8
	s_wait_alu 0xfffd
	v_cndmask_b32_e64 v18, 0, -1, vcc_lo
	v_cmp_eq_u32_e32 vcc_lo, s71, v11
	s_wait_alu 0xfffd
	v_cndmask_b32_e32 v11, v17, v16, vcc_lo
	v_add_co_u32 v16, vcc_lo, v9, 1
	s_wait_alu 0xfffd
	v_add_co_ci_u32_e64 v17, null, 0, v10, vcc_lo
	v_cmp_eq_u32_e32 vcc_lo, s71, v8
	s_wait_alu 0xfffd
	v_cndmask_b32_e32 v7, v18, v7, vcc_lo
	v_cmp_ne_u32_e32 vcc_lo, 0, v11
	s_wait_alu 0xfffd
	v_cndmask_b32_e32 v8, v17, v13, vcc_lo
	s_delay_alu instid0(VALU_DEP_3) | instskip(SKIP_2) | instid1(VALU_DEP_2)
	v_cmp_ne_u32_e64 s0, 0, v7
	v_cndmask_b32_e32 v7, v16, v12, vcc_lo
                                        ; implicit-def: $vgpr16
	s_wait_alu 0xf1ff
	v_cndmask_b32_e64 v8, v10, v8, s0
	s_delay_alu instid0(VALU_DEP_2) | instskip(NEXT) | instid1(VALU_DEP_2)
	v_cndmask_b32_e64 v7, v9, v7, s0
                                        ; implicit-def: $vgpr9
	v_xor_b32_e32 v8, v8, v2
	s_delay_alu instid0(VALU_DEP_2) | instskip(NEXT) | instid1(VALU_DEP_1)
	v_xor_b32_e32 v7, v7, v2
	v_sub_co_u32 v7, vcc_lo, v7, v2
	s_wait_alu 0xfffd
	s_delay_alu instid0(VALU_DEP_3)
	v_sub_co_ci_u32_e64 v8, null, v8, v2, vcc_lo
.LBB39_64:                              ;   in Loop: Header=BB39_3 Depth=1
	s_wait_alu 0xfffe
	s_and_not1_saveexec_b32 s0, s67
	s_cbranch_execz .LBB39_2
; %bb.65:                               ;   in Loop: Header=BB39_3 Depth=1
	v_rcp_iflag_f32_e32 v2, v16
	s_sub_co_i32 s67, 0, s54
	s_delay_alu instid0(TRANS32_DEP_1) | instskip(NEXT) | instid1(VALU_DEP_1)
	v_mul_f32_e32 v2, 0x4f7ffffe, v2
	v_cvt_u32_f32_e32 v2, v2
	s_wait_alu 0xfffe
	s_delay_alu instid0(VALU_DEP_1) | instskip(NEXT) | instid1(VALU_DEP_1)
	v_mul_lo_u32 v7, s67, v2
	v_mul_hi_u32 v7, v2, v7
	s_delay_alu instid0(VALU_DEP_1) | instskip(NEXT) | instid1(VALU_DEP_1)
	v_add_nc_u32_e32 v2, v2, v7
	v_mul_hi_u32 v2, v9, v2
	s_delay_alu instid0(VALU_DEP_1) | instskip(SKIP_1) | instid1(VALU_DEP_2)
	v_mul_lo_u32 v7, v2, s54
	v_add_nc_u32_e32 v8, 1, v2
	v_sub_nc_u32_e32 v7, v9, v7
	s_delay_alu instid0(VALU_DEP_1) | instskip(SKIP_2) | instid1(VALU_DEP_2)
	v_subrev_nc_u32_e32 v9, s54, v7
	v_cmp_le_u32_e32 vcc_lo, s54, v7
	s_wait_alu 0xfffd
	v_dual_cndmask_b32 v7, v7, v9 :: v_dual_cndmask_b32 v2, v2, v8
	s_delay_alu instid0(VALU_DEP_1) | instskip(NEXT) | instid1(VALU_DEP_2)
	v_cmp_le_u32_e32 vcc_lo, s54, v7
	v_add_nc_u32_e32 v8, 1, v2
	s_wait_alu 0xfffd
	s_delay_alu instid0(VALU_DEP_1)
	v_dual_cndmask_b32 v7, v2, v8 :: v_dual_mov_b32 v8, v1
	s_branch .LBB39_2
.LBB39_66:
	s_endpgm
	.section	.rodata,"a",@progbits
	.p2align	6, 0x0
	.amdhsa_kernel _ZN2at6native12_GLOBAL__N_16kernel16gru_cell_forwardIfflLi2EEEvNS_4cuda6detail10TensorInfoIT_T1_EES9_S9_S9_S9_S9_S9_S8_S8_
		.amdhsa_group_segment_fixed_size 0
		.amdhsa_private_segment_fixed_size 0
		.amdhsa_kernarg_size 3184
		.amdhsa_user_sgpr_count 2
		.amdhsa_user_sgpr_dispatch_ptr 0
		.amdhsa_user_sgpr_queue_ptr 0
		.amdhsa_user_sgpr_kernarg_segment_ptr 1
		.amdhsa_user_sgpr_dispatch_id 0
		.amdhsa_user_sgpr_private_segment_size 0
		.amdhsa_wavefront_size32 1
		.amdhsa_uses_dynamic_stack 0
		.amdhsa_enable_private_segment 0
		.amdhsa_system_sgpr_workgroup_id_x 1
		.amdhsa_system_sgpr_workgroup_id_y 0
		.amdhsa_system_sgpr_workgroup_id_z 0
		.amdhsa_system_sgpr_workgroup_info 0
		.amdhsa_system_vgpr_workitem_id 0
		.amdhsa_next_free_vgpr 35
		.amdhsa_next_free_sgpr 85
		.amdhsa_reserve_vcc 1
		.amdhsa_float_round_mode_32 0
		.amdhsa_float_round_mode_16_64 0
		.amdhsa_float_denorm_mode_32 3
		.amdhsa_float_denorm_mode_16_64 3
		.amdhsa_fp16_overflow 0
		.amdhsa_workgroup_processor_mode 1
		.amdhsa_memory_ordered 1
		.amdhsa_forward_progress 1
		.amdhsa_inst_pref_size 146
		.amdhsa_round_robin_scheduling 0
		.amdhsa_exception_fp_ieee_invalid_op 0
		.amdhsa_exception_fp_denorm_src 0
		.amdhsa_exception_fp_ieee_div_zero 0
		.amdhsa_exception_fp_ieee_overflow 0
		.amdhsa_exception_fp_ieee_underflow 0
		.amdhsa_exception_fp_ieee_inexact 0
		.amdhsa_exception_int_div_zero 0
	.end_amdhsa_kernel
	.section	.text._ZN2at6native12_GLOBAL__N_16kernel16gru_cell_forwardIfflLi2EEEvNS_4cuda6detail10TensorInfoIT_T1_EES9_S9_S9_S9_S9_S9_S8_S8_,"axG",@progbits,_ZN2at6native12_GLOBAL__N_16kernel16gru_cell_forwardIfflLi2EEEvNS_4cuda6detail10TensorInfoIT_T1_EES9_S9_S9_S9_S9_S9_S8_S8_,comdat
.Lfunc_end39:
	.size	_ZN2at6native12_GLOBAL__N_16kernel16gru_cell_forwardIfflLi2EEEvNS_4cuda6detail10TensorInfoIT_T1_EES9_S9_S9_S9_S9_S9_S8_S8_, .Lfunc_end39-_ZN2at6native12_GLOBAL__N_16kernel16gru_cell_forwardIfflLi2EEEvNS_4cuda6detail10TensorInfoIT_T1_EES9_S9_S9_S9_S9_S9_S8_S8_
                                        ; -- End function
	.set _ZN2at6native12_GLOBAL__N_16kernel16gru_cell_forwardIfflLi2EEEvNS_4cuda6detail10TensorInfoIT_T1_EES9_S9_S9_S9_S9_S9_S8_S8_.num_vgpr, 35
	.set _ZN2at6native12_GLOBAL__N_16kernel16gru_cell_forwardIfflLi2EEEvNS_4cuda6detail10TensorInfoIT_T1_EES9_S9_S9_S9_S9_S9_S8_S8_.num_agpr, 0
	.set _ZN2at6native12_GLOBAL__N_16kernel16gru_cell_forwardIfflLi2EEEvNS_4cuda6detail10TensorInfoIT_T1_EES9_S9_S9_S9_S9_S9_S8_S8_.numbered_sgpr, 85
	.set _ZN2at6native12_GLOBAL__N_16kernel16gru_cell_forwardIfflLi2EEEvNS_4cuda6detail10TensorInfoIT_T1_EES9_S9_S9_S9_S9_S9_S8_S8_.num_named_barrier, 0
	.set _ZN2at6native12_GLOBAL__N_16kernel16gru_cell_forwardIfflLi2EEEvNS_4cuda6detail10TensorInfoIT_T1_EES9_S9_S9_S9_S9_S9_S8_S8_.private_seg_size, 0
	.set _ZN2at6native12_GLOBAL__N_16kernel16gru_cell_forwardIfflLi2EEEvNS_4cuda6detail10TensorInfoIT_T1_EES9_S9_S9_S9_S9_S9_S8_S8_.uses_vcc, 1
	.set _ZN2at6native12_GLOBAL__N_16kernel16gru_cell_forwardIfflLi2EEEvNS_4cuda6detail10TensorInfoIT_T1_EES9_S9_S9_S9_S9_S9_S8_S8_.uses_flat_scratch, 0
	.set _ZN2at6native12_GLOBAL__N_16kernel16gru_cell_forwardIfflLi2EEEvNS_4cuda6detail10TensorInfoIT_T1_EES9_S9_S9_S9_S9_S9_S8_S8_.has_dyn_sized_stack, 0
	.set _ZN2at6native12_GLOBAL__N_16kernel16gru_cell_forwardIfflLi2EEEvNS_4cuda6detail10TensorInfoIT_T1_EES9_S9_S9_S9_S9_S9_S8_S8_.has_recursion, 0
	.set _ZN2at6native12_GLOBAL__N_16kernel16gru_cell_forwardIfflLi2EEEvNS_4cuda6detail10TensorInfoIT_T1_EES9_S9_S9_S9_S9_S9_S8_S8_.has_indirect_call, 0
	.section	.AMDGPU.csdata,"",@progbits
; Kernel info:
; codeLenInByte = 18596
; TotalNumSgprs: 87
; NumVgprs: 35
; ScratchSize: 0
; MemoryBound: 0
; FloatMode: 240
; IeeeMode: 1
; LDSByteSize: 0 bytes/workgroup (compile time only)
; SGPRBlocks: 0
; VGPRBlocks: 4
; NumSGPRsForWavesPerEU: 87
; NumVGPRsForWavesPerEU: 35
; Occupancy: 16
; WaveLimiterHint : 1
; COMPUTE_PGM_RSRC2:SCRATCH_EN: 0
; COMPUTE_PGM_RSRC2:USER_SGPR: 2
; COMPUTE_PGM_RSRC2:TRAP_HANDLER: 0
; COMPUTE_PGM_RSRC2:TGID_X_EN: 1
; COMPUTE_PGM_RSRC2:TGID_Y_EN: 0
; COMPUTE_PGM_RSRC2:TGID_Z_EN: 0
; COMPUTE_PGM_RSRC2:TIDIG_COMP_CNT: 0
	.section	.text._ZN2at6native12_GLOBAL__N_16kernel16gru_cell_forwardIN3c104HalfEfiLi1EEEvNS_4cuda6detail10TensorInfoIT_T1_EESB_SB_SB_SB_SB_SB_SA_SA_,"axG",@progbits,_ZN2at6native12_GLOBAL__N_16kernel16gru_cell_forwardIN3c104HalfEfiLi1EEEvNS_4cuda6detail10TensorInfoIT_T1_EESB_SB_SB_SB_SB_SB_SA_SA_,comdat
	.globl	_ZN2at6native12_GLOBAL__N_16kernel16gru_cell_forwardIN3c104HalfEfiLi1EEEvNS_4cuda6detail10TensorInfoIT_T1_EESB_SB_SB_SB_SB_SB_SA_SA_ ; -- Begin function _ZN2at6native12_GLOBAL__N_16kernel16gru_cell_forwardIN3c104HalfEfiLi1EEEvNS_4cuda6detail10TensorInfoIT_T1_EESB_SB_SB_SB_SB_SB_SA_SA_
	.p2align	8
	.type	_ZN2at6native12_GLOBAL__N_16kernel16gru_cell_forwardIN3c104HalfEfiLi1EEEvNS_4cuda6detail10TensorInfoIT_T1_EESB_SB_SB_SB_SB_SB_SA_SA_,@function
_ZN2at6native12_GLOBAL__N_16kernel16gru_cell_forwardIN3c104HalfEfiLi1EEEvNS_4cuda6detail10TensorInfoIT_T1_EESB_SB_SB_SB_SB_SB_SA_SA_: ; @_ZN2at6native12_GLOBAL__N_16kernel16gru_cell_forwardIN3c104HalfEfiLi1EEEvNS_4cuda6detail10TensorInfoIT_T1_EESB_SB_SB_SB_SB_SB_SA_SA_
; %bb.0:
	s_clause 0x1
	s_load_b32 s4, s[0:1], 0x5fc
	s_load_b64 s[2:3], s[0:1], 0x5e8
	s_wait_kmcnt 0x0
	s_and_b32 s25, s4, 0xffff
	s_mov_b32 s4, exec_lo
	v_mad_co_u64_u32 v[0:1], null, ttmp9, s25, v[0:1]
	s_delay_alu instid0(VALU_DEP_1)
	v_cmpx_gt_i32_e64 s3, v0
	s_cbranch_execz .LBB40_10
; %bb.1:
	s_load_b64 s[4:5], s[0:1], 0x1b0
	s_add_nc_u64 s[8:9], s[0:1], 0x5f0
	s_clause 0x4
	s_load_b32 s18, s[0:1], 0x21c
	s_load_b64 s[6:7], s[0:1], 0x288
	s_load_b32 s19, s[0:1], 0x2f4
	s_load_b32 s30, s[0:1], 0x3cc
	;; [unrolled: 1-line block ×4, first 2 shown]
	s_mov_b32 s24, 0
	s_mov_b32 s34, 0xbbbac73d
	s_wait_kmcnt 0x0
	s_cmp_lg_u64 s[4:5], 0
	v_mul_lo_u32 v3, v0, s31
	s_cselect_b32 s20, -1, 0
	s_abs_i32 s21, s2
	s_mul_i32 s25, s26, s25
	s_cvt_f32_u32 s8, s21
	s_sub_co_i32 s33, 0, s21
	s_ashr_i32 s26, s2, 31
	s_lshl_b32 s27, s2, 1
	v_rcp_iflag_f32_e32 v1, s8
	s_clause 0x7
	s_load_b64 s[8:9], s[0:1], 0x360
	s_load_b64 s[10:11], s[0:1], 0x438
	;; [unrolled: 1-line block ×3, first 2 shown]
	s_load_b32 s22, s[0:1], 0x6c
	s_load_b64 s[14:15], s[0:1], 0xd8
	s_load_b32 s23, s[0:1], 0x144
	s_load_b64 s[16:17], s[0:1], 0x510
	s_load_b32 s1, s[0:1], 0x57c
	s_lshl_b32 s28, s2, 2
	s_sub_co_i32 s29, 0, s2
	s_mul_i32 s31, s25, s31
	v_readfirstlane_b32 s0, v1
	v_mul_lo_u32 v1, v0, s30
	s_mul_i32 s30, s25, s30
	s_mul_f32 s0, s0, 0x4f7ffffe
	s_wait_alu 0xfffe
	s_delay_alu instid0(SALU_CYCLE_2) | instskip(SKIP_1) | instid1(SALU_CYCLE_2)
	s_cvt_u32_f32 s0, s0
	s_wait_alu 0xfffe
	s_mul_i32 s33, s33, s0
	s_delay_alu instid0(SALU_CYCLE_1) | instskip(NEXT) | instid1(SALU_CYCLE_1)
	s_mul_hi_u32 s33, s0, s33
	s_add_co_i32 s33, s0, s33
	s_branch .LBB40_3
.LBB40_2:                               ;   in Loop: Header=BB40_3 Depth=1
	s_wait_alu 0xfffe
	s_or_b32 exec_lo, exec_lo, s0
	v_cvt_f32_f16_e32 v7, v7
	v_cvt_f32_f16_e32 v8, v8
	v_cvt_f16_f32_e32 v17, v10
	v_bfi_b32 v16, 0x7fffffff, v12, v11
	v_cvt_f16_f32_e32 v18, v9
	s_delay_alu instid0(VALU_DEP_4) | instskip(SKIP_1) | instid1(VALU_DEP_4)
	v_dual_add_f32 v7, v7, v8 :: v_dual_lshlrev_b32 v10, 2, v5
	v_lshlrev_b32_e32 v6, 2, v6
	v_cvt_f16_f32_e32 v20, v16
	s_delay_alu instid0(VALU_DEP_3) | instskip(NEXT) | instid1(VALU_DEP_1)
	v_add_f32_e32 v7, v7, v14
	v_add_f32_e32 v13, v13, v7
	s_delay_alu instid0(VALU_DEP_1) | instskip(SKIP_1) | instid1(VALU_DEP_2)
	v_mul_f32_e32 v7, 0xbfb8aa3b, v13
	v_cmp_nlt_f32_e32 vcc_lo, 0x42ce8ed0, v13
	v_fma_f32 v8, 0xbfb8aa3b, v13, -v7
	v_rndne_f32_e32 v14, v7
	s_delay_alu instid0(VALU_DEP_1) | instskip(SKIP_1) | instid1(VALU_DEP_2)
	v_dual_fmac_f32 v8, 0xb2a5705f, v13 :: v_dual_sub_f32 v7, v7, v14
	v_cvt_i32_f32_e32 v11, v14
	v_add_f32_e32 v7, v7, v8
	s_delay_alu instid0(VALU_DEP_1)
	v_exp_f32_e32 v15, v7
	v_mad_co_u64_u32 v[7:8], null, s28, v4, v[0:1]
	s_wait_loadcnt 0x0
	v_cvt_f32_f16_e32 v8, v2
	v_add_nc_u32_e32 v1, s30, v1
	v_ashrrev_i32_e32 v4, 31, v3
	s_delay_alu instid0(VALU_DEP_3) | instskip(NEXT) | instid1(TRANS32_DEP_1)
	v_sub_f32_e32 v19, v8, v16
	v_ldexp_f32 v9, v15, v11
	s_delay_alu instid0(VALU_DEP_3) | instskip(SKIP_1) | instid1(VALU_DEP_2)
	v_lshlrev_b64_e32 v[4:5], 1, v[3:4]
	s_wait_alu 0xfffd
	v_dual_cndmask_b32 v8, 0, v9 :: v_dual_add_nc_u32 v3, s31, v3
	v_cmp_ngt_f32_e32 vcc_lo, 0xc2b17218, v13
	v_sub_nc_u32_e32 v9, v6, v10
	v_mul_lo_u32 v6, v7, s1
	s_wait_alu 0xfffd
	v_cndmask_b32_e32 v8, 0x7f800000, v8, vcc_lo
	s_delay_alu instid0(VALU_DEP_3) | instskip(SKIP_2) | instid1(VALU_DEP_4)
	v_or_b32_e32 v7, 1, v9
	v_or_b32_e32 v10, 2, v9
	;; [unrolled: 1-line block ×3, first 2 shown]
	v_dual_add_f32 v21, 1.0, v8 :: v_dual_add_nc_u32 v12, 4, v9
	s_delay_alu instid0(VALU_DEP_4) | instskip(NEXT) | instid1(VALU_DEP_4)
	v_mad_co_u64_u32 v[8:9], null, s2, v7, v[0:1]
	v_mad_co_u64_u32 v[9:10], null, s2, v10, v[0:1]
	s_delay_alu instid0(VALU_DEP_3) | instskip(SKIP_2) | instid1(VALU_DEP_3)
	v_div_scale_f32 v22, null, v21, v21, 1.0
	v_mad_co_u64_u32 v[10:11], null, s2, v11, v[0:1]
	v_mad_co_u64_u32 v[11:12], null, s2, v12, v[0:1]
	v_rcp_f32_e32 v23, v22
	v_div_scale_f32 v24, s0, 1.0, v21, 1.0
	v_mul_lo_u32 v8, v8, s1
	v_ashrrev_i32_e32 v7, 31, v6
	v_add_nc_u32_e32 v0, s25, v0
	v_add_co_u32 v4, vcc_lo, s10, v4
	s_wait_alu 0xfffd
	v_add_co_ci_u32_e64 v5, null, s11, v5, vcc_lo
	s_delay_alu instid0(TRANS32_DEP_1)
	v_fma_f32 v12, -v22, v23, 1.0
	v_lshlrev_b64_e32 v[6:7], 1, v[6:7]
	v_cmp_le_i32_e32 vcc_lo, s3, v0
	v_mul_lo_u32 v10, v10, s1
	v_mul_lo_u32 v14, v11, s1
	v_fmac_f32_e32 v23, v12, v23
	v_mul_lo_u32 v12, v9, s1
	v_ashrrev_i32_e32 v9, 31, v8
	s_or_b32 s24, vcc_lo, s24
	v_add_co_u32 v6, vcc_lo, s16, v6
	v_mul_f32_e32 v25, v24, v23
	s_delay_alu instid0(VALU_DEP_3)
	v_lshlrev_b64_e32 v[8:9], 1, v[8:9]
	s_wait_alu 0xfffd
	v_add_co_ci_u32_e64 v7, null, s17, v7, vcc_lo
	v_ashrrev_i32_e32 v13, 31, v12
	v_fma_f32 v26, -v22, v25, v24
	v_ashrrev_i32_e32 v11, 31, v10
	v_add_co_u32 v8, vcc_lo, s16, v8
	s_wait_alu 0xfffd
	v_add_co_ci_u32_e64 v9, null, s17, v9, vcc_lo
	v_fmac_f32_e32 v25, v26, v23
	s_mov_b32 vcc_lo, s0
	v_ashrrev_i32_e32 v15, 31, v14
	v_lshlrev_b64_e32 v[12:13], 1, v[12:13]
	v_lshlrev_b64_e32 v[10:11], 1, v[10:11]
	v_fma_f32 v22, -v22, v25, v24
	s_delay_alu instid0(VALU_DEP_4) | instskip(SKIP_1) | instid1(VALU_DEP_2)
	v_lshlrev_b64_e32 v[14:15], 1, v[14:15]
	s_wait_alu 0xfffe
	v_div_fmas_f32 v22, v22, v23, v25
	v_add_co_u32 v12, vcc_lo, s16, v12
	s_wait_alu 0xfffd
	v_add_co_ci_u32_e64 v13, null, s17, v13, vcc_lo
	s_delay_alu instid0(VALU_DEP_3) | instskip(SKIP_3) | instid1(VALU_DEP_3)
	v_div_fixup_f32 v21, v22, v21, 1.0
	v_add_co_u32 v10, vcc_lo, s16, v10
	s_wait_alu 0xfffd
	v_add_co_ci_u32_e64 v11, null, s17, v11, vcc_lo
	v_fma_mixlo_f16 v16, v21, v19, v16
	v_cvt_f16_f32_e32 v19, v21
	v_add_co_u32 v14, vcc_lo, s16, v14
	s_wait_alu 0xfffd
	v_add_co_ci_u32_e64 v15, null, s17, v15, vcc_lo
	global_store_b16 v[4:5], v16, off
	s_clause 0x4
	global_store_b16 v[6:7], v17, off
	global_store_b16 v[8:9], v19, off
	;; [unrolled: 1-line block ×5, first 2 shown]
	s_and_not1_b32 exec_lo, exec_lo, s24
	s_cbranch_execz .LBB40_10
.LBB40_3:                               ; =>This Inner Loop Header: Depth=1
	v_sub_nc_u32_e32 v2, 0, v0
	s_delay_alu instid0(VALU_DEP_1) | instskip(NEXT) | instid1(VALU_DEP_1)
	v_max_i32_e32 v2, v0, v2
	v_mul_hi_u32 v4, v2, s33
	s_delay_alu instid0(VALU_DEP_1) | instskip(NEXT) | instid1(VALU_DEP_1)
	v_mul_lo_u32 v5, v4, s21
	v_sub_nc_u32_e32 v2, v2, v5
	s_delay_alu instid0(VALU_DEP_1) | instskip(SKIP_2) | instid1(VALU_DEP_2)
	v_subrev_nc_u32_e32 v6, s21, v2
	v_cmp_le_u32_e32 vcc_lo, s21, v2
	s_wait_alu 0xfffd
	v_dual_cndmask_b32 v2, v2, v6 :: v_dual_add_nc_u32 v5, 1, v4
	s_delay_alu instid0(VALU_DEP_1) | instskip(SKIP_1) | instid1(VALU_DEP_3)
	v_cndmask_b32_e32 v4, v4, v5, vcc_lo
	v_ashrrev_i32_e32 v5, 31, v0
	v_cmp_le_u32_e32 vcc_lo, s21, v2
	s_delay_alu instid0(VALU_DEP_3) | instskip(NEXT) | instid1(VALU_DEP_3)
	v_add_nc_u32_e32 v6, 1, v4
	v_xor_b32_e32 v5, s26, v5
	s_wait_alu 0xfffd
	s_delay_alu instid0(VALU_DEP_2) | instskip(NEXT) | instid1(VALU_DEP_1)
	v_cndmask_b32_e32 v2, v4, v6, vcc_lo
	v_xor_b32_e32 v6, v2, v5
	v_lshlrev_b32_e32 v2, 1, v5
	s_delay_alu instid0(VALU_DEP_2) | instskip(SKIP_1) | instid1(VALU_DEP_2)
	v_sub_nc_u32_e32 v4, v6, v5
	v_lshlrev_b32_e32 v9, 1, v6
	v_mad_co_u64_u32 v[7:8], null, s27, v4, v[0:1]
	s_delay_alu instid0(VALU_DEP_2) | instskip(SKIP_1) | instid1(VALU_DEP_2)
	v_sub_nc_u32_e32 v8, v9, v2
	v_ashrrev_i32_e32 v2, 31, v1
	v_or_b32_e32 v9, 1, v8
	v_add_nc_u32_e32 v11, 2, v8
	s_wait_kmcnt 0x0
	v_mul_lo_u32 v8, v7, s22
	v_mul_lo_u32 v10, v7, s23
	v_mad_co_u64_u32 v[12:13], null, s2, v9, v[0:1]
	v_mad_co_u64_u32 v[13:14], null, s2, v11, v[0:1]
	v_lshlrev_b64_e32 v[14:15], 1, v[1:2]
	v_ashrrev_i32_e32 v9, 31, v8
	v_ashrrev_i32_e32 v11, 31, v10
	v_mul_lo_u32 v7, v12, s22
	v_mul_lo_u32 v12, v12, s23
	;; [unrolled: 1-line block ×3, first 2 shown]
	v_lshlrev_b64_e32 v[20:21], 1, v[8:9]
	v_mul_lo_u32 v18, v13, s23
	v_lshlrev_b64_e32 v[9:10], 1, v[10:11]
	v_add_co_u32 v14, vcc_lo, s8, v14
	v_ashrrev_i32_e32 v8, 31, v7
	s_wait_alu 0xfffd
	v_add_co_ci_u32_e64 v15, null, s9, v15, vcc_lo
	v_ashrrev_i32_e32 v17, 31, v16
	v_add_co_u32 v20, vcc_lo, s12, v20
	v_ashrrev_i32_e32 v13, 31, v12
	s_wait_alu 0xfffd
	v_add_co_ci_u32_e64 v21, null, s13, v21, vcc_lo
	v_lshlrev_b64_e32 v[7:8], 1, v[7:8]
	v_add_co_u32 v22, vcc_lo, s14, v9
	v_ashrrev_i32_e32 v19, 31, v18
	s_wait_alu 0xfffd
	v_add_co_ci_u32_e64 v23, null, s15, v10, vcc_lo
	v_lshlrev_b64_e32 v[9:10], 1, v[16:17]
	v_lshlrev_b64_e32 v[11:12], 1, v[12:13]
	;; [unrolled: 1-line block ×3, first 2 shown]
	v_add_co_u32 v7, vcc_lo, s12, v7
	s_wait_alu 0xfffd
	v_add_co_ci_u32_e64 v8, null, s13, v8, vcc_lo
	v_add_co_u32 v9, vcc_lo, s12, v9
	s_wait_alu 0xfffd
	v_add_co_ci_u32_e64 v10, null, s13, v10, vcc_lo
	;; [unrolled: 3-line block ×4, first 2 shown]
	s_clause 0x2
	global_load_u16 v11, v[20:21], off
	global_load_u16 v7, v[7:8], off
	;; [unrolled: 1-line block ×3, first 2 shown]
	s_clause 0x2
	global_load_u16 v12, v[22:23], off
	global_load_u16 v8, v[18:19], off
	;; [unrolled: 1-line block ×4, first 2 shown]
	s_and_not1_b32 vcc_lo, exec_lo, s20
	s_wait_alu 0xfffe
	s_cbranch_vccnz .LBB40_5
; %bb.4:                                ;   in Loop: Header=BB40_3 Depth=1
	v_mad_co_u64_u32 v[13:14], null, s29, v4, v[0:1]
	v_sub_nc_u32_e32 v14, v5, v6
	s_delay_alu instid0(VALU_DEP_1) | instskip(SKIP_1) | instid1(VALU_DEP_4)
	v_mul_lo_u32 v15, s2, v14
	v_add_nc_u32_e32 v17, 2, v14
	v_mul_lo_u32 v14, v13, s18
	v_mul_lo_u32 v16, v13, s19
	s_delay_alu instid0(VALU_DEP_3) | instskip(SKIP_1) | instid1(VALU_DEP_4)
	v_mad_co_u64_u32 v[18:19], null, s2, v17, v[0:1]
	v_add3_u32 v20, v15, s2, v0
	v_ashrrev_i32_e32 v15, 31, v14
	s_delay_alu instid0(VALU_DEP_4) | instskip(NEXT) | instid1(VALU_DEP_3)
	v_ashrrev_i32_e32 v17, 31, v16
	v_mul_lo_u32 v13, v20, s18
	v_mul_lo_u32 v19, v18, s18
	;; [unrolled: 1-line block ×3, first 2 shown]
	v_lshlrev_b64_e32 v[24:25], 1, v[14:15]
	v_mul_lo_u32 v23, v18, s19
	v_lshlrev_b64_e32 v[15:16], 1, v[16:17]
	v_ashrrev_i32_e32 v14, 31, v13
	v_ashrrev_i32_e32 v20, 31, v19
	v_add_co_u32 v17, vcc_lo, s4, v24
	v_ashrrev_i32_e32 v22, 31, v21
	s_delay_alu instid0(VALU_DEP_4) | instskip(NEXT) | instid1(VALU_DEP_4)
	v_lshlrev_b64_e32 v[13:14], 1, v[13:14]
	v_lshlrev_b64_e32 v[19:20], 1, v[19:20]
	s_wait_alu 0xfffd
	v_add_co_ci_u32_e64 v18, null, s5, v25, vcc_lo
	v_ashrrev_i32_e32 v24, 31, v23
	v_lshlrev_b64_e32 v[21:22], 1, v[21:22]
	v_add_co_u32 v13, vcc_lo, s4, v13
	global_load_u16 v25, v[17:18], off
	s_wait_alu 0xfffd
	v_add_co_ci_u32_e64 v14, null, s5, v14, vcc_lo
	v_add_co_u32 v17, vcc_lo, s4, v19
	s_wait_alu 0xfffd
	v_add_co_ci_u32_e64 v18, null, s5, v20, vcc_lo
	v_lshlrev_b64_e32 v[19:20], 1, v[23:24]
	v_add_co_u32 v15, vcc_lo, s6, v15
	s_wait_alu 0xfffd
	v_add_co_ci_u32_e64 v16, null, s7, v16, vcc_lo
	v_add_co_u32 v21, vcc_lo, s6, v21
	s_wait_alu 0xfffd
	v_add_co_ci_u32_e64 v22, null, s7, v22, vcc_lo
	;; [unrolled: 3-line block ×3, first 2 shown]
	global_load_u16 v15, v[15:16], off
	global_load_u16 v13, v[13:14], off
	;; [unrolled: 1-line block ×5, first 2 shown]
	s_wait_loadcnt 0x5
	v_cvt_f32_f16_e32 v18, v25
	s_wait_loadcnt 0x4
	v_cvt_f32_f16_e32 v17, v15
	;; [unrolled: 2-line block ×6, first 2 shown]
	s_branch .LBB40_6
.LBB40_5:                               ;   in Loop: Header=BB40_3 Depth=1
	v_dual_mov_b32 v15, 0 :: v_dual_mov_b32 v16, 0
	v_dual_mov_b32 v13, 0 :: v_dual_mov_b32 v14, 0
	v_dual_mov_b32 v17, 0 :: v_dual_mov_b32 v18, 0
.LBB40_6:                               ;   in Loop: Header=BB40_3 Depth=1
	s_wait_loadcnt 0x6
	v_cvt_f32_f16_e32 v11, v11
	s_wait_loadcnt 0x3
	v_cvt_f32_f16_e32 v12, v12
	v_cvt_f32_f16_e32 v10, v10
	s_wait_loadcnt 0x1
	v_cvt_f32_f16_e32 v9, v9
	s_delay_alu instid0(VALU_DEP_3) | instskip(NEXT) | instid1(VALU_DEP_2)
	v_add_f32_e32 v11, v11, v12
	v_add_f32_e32 v9, v15, v9
	s_delay_alu instid0(VALU_DEP_2) | instskip(NEXT) | instid1(VALU_DEP_1)
	v_add_f32_e32 v11, v11, v18
	v_add_f32_e32 v11, v17, v11
	s_delay_alu instid0(VALU_DEP_1) | instskip(SKIP_1) | instid1(VALU_DEP_2)
	v_mul_f32_e32 v12, 0xbfb8aa3b, v11
	v_cmp_nlt_f32_e32 vcc_lo, 0x42ce8ed0, v11
	v_fma_f32 v17, 0xbfb8aa3b, v11, -v12
	v_rndne_f32_e32 v18, v12
	s_delay_alu instid0(VALU_DEP_1) | instskip(NEXT) | instid1(VALU_DEP_1)
	v_dual_fmac_f32 v17, 0xb2a5705f, v11 :: v_dual_sub_f32 v12, v12, v18
	v_add_f32_e32 v12, v12, v17
	v_cvt_i32_f32_e32 v17, v18
	s_delay_alu instid0(VALU_DEP_2) | instskip(NEXT) | instid1(TRANS32_DEP_1)
	v_exp_f32_e32 v12, v12
	v_ldexp_f32 v12, v12, v17
	s_wait_alu 0xfffd
	s_delay_alu instid0(VALU_DEP_1) | instskip(SKIP_2) | instid1(VALU_DEP_2)
	v_cndmask_b32_e32 v12, 0, v12, vcc_lo
	v_cmp_ngt_f32_e32 vcc_lo, 0xc2b17218, v11
	s_wait_alu 0xfffd
	v_cndmask_b32_e32 v11, 0x7f800000, v12, vcc_lo
	s_delay_alu instid0(VALU_DEP_1) | instskip(NEXT) | instid1(VALU_DEP_1)
	v_add_f32_e32 v12, 1.0, v11
	v_div_scale_f32 v11, null, v12, v12, 1.0
	v_div_scale_f32 v19, vcc_lo, 1.0, v12, 1.0
	s_delay_alu instid0(VALU_DEP_2) | instskip(NEXT) | instid1(TRANS32_DEP_1)
	v_rcp_f32_e32 v17, v11
	v_fma_f32 v18, -v11, v17, 1.0
	s_delay_alu instid0(VALU_DEP_1) | instskip(NEXT) | instid1(VALU_DEP_1)
	v_fmac_f32_e32 v17, v18, v17
	v_mul_f32_e32 v18, v19, v17
	s_delay_alu instid0(VALU_DEP_1) | instskip(NEXT) | instid1(VALU_DEP_1)
	v_fma_f32 v20, -v11, v18, v19
	v_fmac_f32_e32 v18, v20, v17
	s_delay_alu instid0(VALU_DEP_1) | instskip(SKIP_1) | instid1(VALU_DEP_1)
	v_fma_f32 v11, -v11, v18, v19
	s_wait_alu 0xfffd
	v_div_fmas_f32 v17, v11, v17, v18
	v_add_f32_e32 v11, v16, v10
	s_delay_alu instid0(VALU_DEP_2) | instskip(NEXT) | instid1(VALU_DEP_1)
	v_div_fixup_f32 v10, v17, v12, 1.0
                                        ; implicit-def: $vgpr12
	v_fmac_f32_e32 v11, v9, v10
	s_delay_alu instid0(VALU_DEP_1)
	v_cmp_ngt_f32_e64 s0, 0x3f200000, |v11|
	s_and_saveexec_b32 s35, s0
	s_wait_alu 0xfffe
	s_xor_b32 s0, exec_lo, s35
	s_cbranch_execz .LBB40_8
; %bb.7:                                ;   in Loop: Header=BB40_3 Depth=1
	v_add_f32_e64 v12, |v11|, |v11|
	s_delay_alu instid0(VALU_DEP_1) | instskip(SKIP_1) | instid1(VALU_DEP_2)
	v_mul_f32_e32 v15, 0x3fb8aa3b, v12
	v_cmp_ngt_f32_e32 vcc_lo, 0xc2ce8ed0, v12
	v_rndne_f32_e32 v16, v15
	v_fma_f32 v17, 0x3fb8aa3b, v12, -v15
	s_delay_alu instid0(VALU_DEP_2) | instskip(NEXT) | instid1(VALU_DEP_2)
	v_sub_f32_e32 v15, v15, v16
	v_fmac_f32_e32 v17, 0x32a5705f, v12
	v_cvt_i32_f32_e32 v16, v16
	s_delay_alu instid0(VALU_DEP_2) | instskip(NEXT) | instid1(VALU_DEP_1)
	v_add_f32_e32 v15, v15, v17
	v_exp_f32_e32 v15, v15
	s_delay_alu instid0(TRANS32_DEP_1) | instskip(SKIP_1) | instid1(VALU_DEP_1)
	v_ldexp_f32 v15, v15, v16
	s_wait_alu 0xfffd
	v_cndmask_b32_e32 v15, 0, v15, vcc_lo
	v_cmp_nlt_f32_e32 vcc_lo, 0x42b17218, v12
	s_wait_alu 0xfffd
	s_delay_alu instid0(VALU_DEP_2) | instskip(NEXT) | instid1(VALU_DEP_1)
	v_cndmask_b32_e32 v12, 0x7f800000, v15, vcc_lo
	v_add_f32_e32 v12, 1.0, v12
	s_delay_alu instid0(VALU_DEP_1) | instskip(NEXT) | instid1(TRANS32_DEP_1)
	v_rcp_f32_e32 v12, v12
	v_fma_f32 v12, v12, -2.0, 1.0
.LBB40_8:                               ;   in Loop: Header=BB40_3 Depth=1
	s_wait_alu 0xfffe
	s_and_not1_saveexec_b32 s0, s0
	s_cbranch_execz .LBB40_2
; %bb.9:                                ;   in Loop: Header=BB40_3 Depth=1
	v_mul_f32_e32 v12, v11, v11
	s_delay_alu instid0(VALU_DEP_1) | instskip(NEXT) | instid1(VALU_DEP_1)
	v_fmaak_f32 v15, s34, v12, 0x3ca908c9
	v_fmaak_f32 v15, v12, v15, 0xbd5c1c4e
	s_delay_alu instid0(VALU_DEP_1) | instskip(NEXT) | instid1(VALU_DEP_1)
	v_fmaak_f32 v15, v12, v15, 0x3e088382
	v_fmaak_f32 v15, v12, v15, 0xbeaaaa99
	s_delay_alu instid0(VALU_DEP_1) | instskip(NEXT) | instid1(VALU_DEP_1)
	v_mul_f32_e64 v15, |v11|, v15
	v_fma_f32 v12, v12, v15, |v11|
	s_branch .LBB40_2
.LBB40_10:
	s_endpgm
	.section	.rodata,"a",@progbits
	.p2align	6, 0x0
	.amdhsa_kernel _ZN2at6native12_GLOBAL__N_16kernel16gru_cell_forwardIN3c104HalfEfiLi1EEEvNS_4cuda6detail10TensorInfoIT_T1_EESB_SB_SB_SB_SB_SB_SA_SA_
		.amdhsa_group_segment_fixed_size 0
		.amdhsa_private_segment_fixed_size 0
		.amdhsa_kernarg_size 1776
		.amdhsa_user_sgpr_count 2
		.amdhsa_user_sgpr_dispatch_ptr 0
		.amdhsa_user_sgpr_queue_ptr 0
		.amdhsa_user_sgpr_kernarg_segment_ptr 1
		.amdhsa_user_sgpr_dispatch_id 0
		.amdhsa_user_sgpr_private_segment_size 0
		.amdhsa_wavefront_size32 1
		.amdhsa_uses_dynamic_stack 0
		.amdhsa_enable_private_segment 0
		.amdhsa_system_sgpr_workgroup_id_x 1
		.amdhsa_system_sgpr_workgroup_id_y 0
		.amdhsa_system_sgpr_workgroup_id_z 0
		.amdhsa_system_sgpr_workgroup_info 0
		.amdhsa_system_vgpr_workitem_id 0
		.amdhsa_next_free_vgpr 27
		.amdhsa_next_free_sgpr 36
		.amdhsa_reserve_vcc 1
		.amdhsa_float_round_mode_32 0
		.amdhsa_float_round_mode_16_64 0
		.amdhsa_float_denorm_mode_32 3
		.amdhsa_float_denorm_mode_16_64 3
		.amdhsa_fp16_overflow 0
		.amdhsa_workgroup_processor_mode 1
		.amdhsa_memory_ordered 1
		.amdhsa_forward_progress 1
		.amdhsa_inst_pref_size 20
		.amdhsa_round_robin_scheduling 0
		.amdhsa_exception_fp_ieee_invalid_op 0
		.amdhsa_exception_fp_denorm_src 0
		.amdhsa_exception_fp_ieee_div_zero 0
		.amdhsa_exception_fp_ieee_overflow 0
		.amdhsa_exception_fp_ieee_underflow 0
		.amdhsa_exception_fp_ieee_inexact 0
		.amdhsa_exception_int_div_zero 0
	.end_amdhsa_kernel
	.section	.text._ZN2at6native12_GLOBAL__N_16kernel16gru_cell_forwardIN3c104HalfEfiLi1EEEvNS_4cuda6detail10TensorInfoIT_T1_EESB_SB_SB_SB_SB_SB_SA_SA_,"axG",@progbits,_ZN2at6native12_GLOBAL__N_16kernel16gru_cell_forwardIN3c104HalfEfiLi1EEEvNS_4cuda6detail10TensorInfoIT_T1_EESB_SB_SB_SB_SB_SB_SA_SA_,comdat
.Lfunc_end40:
	.size	_ZN2at6native12_GLOBAL__N_16kernel16gru_cell_forwardIN3c104HalfEfiLi1EEEvNS_4cuda6detail10TensorInfoIT_T1_EESB_SB_SB_SB_SB_SB_SA_SA_, .Lfunc_end40-_ZN2at6native12_GLOBAL__N_16kernel16gru_cell_forwardIN3c104HalfEfiLi1EEEvNS_4cuda6detail10TensorInfoIT_T1_EESB_SB_SB_SB_SB_SB_SA_SA_
                                        ; -- End function
	.set _ZN2at6native12_GLOBAL__N_16kernel16gru_cell_forwardIN3c104HalfEfiLi1EEEvNS_4cuda6detail10TensorInfoIT_T1_EESB_SB_SB_SB_SB_SB_SA_SA_.num_vgpr, 27
	.set _ZN2at6native12_GLOBAL__N_16kernel16gru_cell_forwardIN3c104HalfEfiLi1EEEvNS_4cuda6detail10TensorInfoIT_T1_EESB_SB_SB_SB_SB_SB_SA_SA_.num_agpr, 0
	.set _ZN2at6native12_GLOBAL__N_16kernel16gru_cell_forwardIN3c104HalfEfiLi1EEEvNS_4cuda6detail10TensorInfoIT_T1_EESB_SB_SB_SB_SB_SB_SA_SA_.numbered_sgpr, 36
	.set _ZN2at6native12_GLOBAL__N_16kernel16gru_cell_forwardIN3c104HalfEfiLi1EEEvNS_4cuda6detail10TensorInfoIT_T1_EESB_SB_SB_SB_SB_SB_SA_SA_.num_named_barrier, 0
	.set _ZN2at6native12_GLOBAL__N_16kernel16gru_cell_forwardIN3c104HalfEfiLi1EEEvNS_4cuda6detail10TensorInfoIT_T1_EESB_SB_SB_SB_SB_SB_SA_SA_.private_seg_size, 0
	.set _ZN2at6native12_GLOBAL__N_16kernel16gru_cell_forwardIN3c104HalfEfiLi1EEEvNS_4cuda6detail10TensorInfoIT_T1_EESB_SB_SB_SB_SB_SB_SA_SA_.uses_vcc, 1
	.set _ZN2at6native12_GLOBAL__N_16kernel16gru_cell_forwardIN3c104HalfEfiLi1EEEvNS_4cuda6detail10TensorInfoIT_T1_EESB_SB_SB_SB_SB_SB_SA_SA_.uses_flat_scratch, 0
	.set _ZN2at6native12_GLOBAL__N_16kernel16gru_cell_forwardIN3c104HalfEfiLi1EEEvNS_4cuda6detail10TensorInfoIT_T1_EESB_SB_SB_SB_SB_SB_SA_SA_.has_dyn_sized_stack, 0
	.set _ZN2at6native12_GLOBAL__N_16kernel16gru_cell_forwardIN3c104HalfEfiLi1EEEvNS_4cuda6detail10TensorInfoIT_T1_EESB_SB_SB_SB_SB_SB_SA_SA_.has_recursion, 0
	.set _ZN2at6native12_GLOBAL__N_16kernel16gru_cell_forwardIN3c104HalfEfiLi1EEEvNS_4cuda6detail10TensorInfoIT_T1_EESB_SB_SB_SB_SB_SB_SA_SA_.has_indirect_call, 0
	.section	.AMDGPU.csdata,"",@progbits
; Kernel info:
; codeLenInByte = 2476
; TotalNumSgprs: 38
; NumVgprs: 27
; ScratchSize: 0
; MemoryBound: 0
; FloatMode: 240
; IeeeMode: 1
; LDSByteSize: 0 bytes/workgroup (compile time only)
; SGPRBlocks: 0
; VGPRBlocks: 3
; NumSGPRsForWavesPerEU: 38
; NumVGPRsForWavesPerEU: 27
; Occupancy: 16
; WaveLimiterHint : 1
; COMPUTE_PGM_RSRC2:SCRATCH_EN: 0
; COMPUTE_PGM_RSRC2:USER_SGPR: 2
; COMPUTE_PGM_RSRC2:TRAP_HANDLER: 0
; COMPUTE_PGM_RSRC2:TGID_X_EN: 1
; COMPUTE_PGM_RSRC2:TGID_Y_EN: 0
; COMPUTE_PGM_RSRC2:TGID_Z_EN: 0
; COMPUTE_PGM_RSRC2:TIDIG_COMP_CNT: 0
	.section	.text._ZN2at6native12_GLOBAL__N_16kernel16gru_cell_forwardIN3c104HalfEfiLi2EEEvNS_4cuda6detail10TensorInfoIT_T1_EESB_SB_SB_SB_SB_SB_SA_SA_,"axG",@progbits,_ZN2at6native12_GLOBAL__N_16kernel16gru_cell_forwardIN3c104HalfEfiLi2EEEvNS_4cuda6detail10TensorInfoIT_T1_EESB_SB_SB_SB_SB_SB_SA_SA_,comdat
	.globl	_ZN2at6native12_GLOBAL__N_16kernel16gru_cell_forwardIN3c104HalfEfiLi2EEEvNS_4cuda6detail10TensorInfoIT_T1_EESB_SB_SB_SB_SB_SB_SA_SA_ ; -- Begin function _ZN2at6native12_GLOBAL__N_16kernel16gru_cell_forwardIN3c104HalfEfiLi2EEEvNS_4cuda6detail10TensorInfoIT_T1_EESB_SB_SB_SB_SB_SB_SA_SA_
	.p2align	8
	.type	_ZN2at6native12_GLOBAL__N_16kernel16gru_cell_forwardIN3c104HalfEfiLi2EEEvNS_4cuda6detail10TensorInfoIT_T1_EESB_SB_SB_SB_SB_SB_SA_SA_,@function
_ZN2at6native12_GLOBAL__N_16kernel16gru_cell_forwardIN3c104HalfEfiLi2EEEvNS_4cuda6detail10TensorInfoIT_T1_EESB_SB_SB_SB_SB_SB_SA_SA_: ; @_ZN2at6native12_GLOBAL__N_16kernel16gru_cell_forwardIN3c104HalfEfiLi2EEEvNS_4cuda6detail10TensorInfoIT_T1_EESB_SB_SB_SB_SB_SB_SA_SA_
; %bb.0:
	s_clause 0x1
	s_load_b32 s2, s[0:1], 0x5fc
	s_load_b64 s[4:5], s[0:1], 0x5e8
	s_mov_b32 s3, exec_lo
	s_wait_kmcnt 0x0
	s_and_b32 s2, s2, 0xffff
	s_delay_alu instid0(SALU_CYCLE_1) | instskip(NEXT) | instid1(VALU_DEP_1)
	v_mad_co_u64_u32 v[0:1], null, ttmp9, s2, v[0:1]
	v_cmpx_gt_i32_e64 s5, v0
	s_cbranch_execz .LBB41_9
; %bb.1:
	s_clause 0x1
	s_load_b64 s[6:7], s[0:1], 0x1b0
	s_load_b32 s3, s[0:1], 0xc
	s_add_nc_u64 s[16:17], s[0:1], 0x5f0
	s_clause 0x5
	s_load_b32 s30, s[0:1], 0xe4
	s_load_b64 s[8:9], s[0:1], 0x0
	s_load_b64 s[10:11], s[0:1], 0x6c
	;; [unrolled: 1-line block ×4, first 2 shown]
	s_load_b32 s31, s[0:1], 0x21c
	s_load_b32 s40, s[16:17], 0x0
	s_clause 0x7
	s_load_b64 s[16:17], s[0:1], 0x288
	s_load_b32 s33, s[0:1], 0x2f4
	s_load_b64 s[18:19], s[0:1], 0x360
	s_load_b32 s59, s[0:1], 0x36c
	s_load_b32 s60, s[0:1], 0x444
	s_load_b64 s[20:21], s[0:1], 0x3cc
	s_load_b64 s[22:23], s[0:1], 0x438
	;; [unrolled: 1-line block ×3, first 2 shown]
	s_mov_b32 s39, 0
	s_mov_b32 s61, 0xbbbac73d
	s_wait_kmcnt 0x0
	s_mul_i32 s40, s40, s2
	s_cmp_lg_u64 s[6:7], 0
	s_cselect_b32 s34, -1, 0
	s_abs_i32 s35, s4
	s_abs_i32 s36, s3
	s_cvt_f32_u32 s26, s35
	s_cvt_f32_u32 s27, s36
	s_abs_i32 s37, s30
	s_abs_i32 s43, s59
	v_rcp_iflag_f32_e32 v1, s26
	v_rcp_iflag_f32_e32 v2, s27
	s_clause 0x2
	s_load_b64 s[26:27], s[0:1], 0x510
	s_load_b32 s38, s[0:1], 0x51c
	s_load_b64 s[28:29], s[0:1], 0x57c
	s_cvt_f32_u32 s0, s37
	s_cvt_f32_u32 s45, s43
	s_sub_co_i32 s2, 0, s35
	s_sub_co_i32 s47, 0, s36
	s_wait_alu 0xfffe
	v_rcp_iflag_f32_e32 v3, s0
	s_abs_i32 s44, s60
	s_sub_co_i32 s50, 0, s43
	v_readfirstlane_b32 s0, v1
	v_readfirstlane_b32 s1, v2
	v_rcp_iflag_f32_e32 v1, s45
	s_ashr_i32 s41, s4, 31
	s_ashr_i32 s42, s3, 31
	s_mul_f32 s0, s0, 0x4f7ffffe
	s_mul_f32 s1, s1, 0x4f7ffffe
	v_readfirstlane_b32 s46, v3
	s_lshl_b32 s56, s4, 1
	s_wait_alu 0xfffe
	s_cvt_u32_f32 s0, s0
	s_cvt_u32_f32 s1, s1
	s_lshl_b32 s57, s4, 2
	s_mul_f32 s48, s46, 0x4f7ffffe
	s_wait_alu 0xfffe
	s_mul_i32 s2, s2, s0
	s_mul_i32 s47, s47, s1
	s_wait_alu 0xfffe
	s_mul_hi_u32 s2, s0, s2
	s_mul_hi_u32 s46, s1, s47
	s_wait_alu 0xfffe
	s_add_co_i32 s45, s0, s2
	s_cvt_f32_u32 s0, s44
	s_wait_kmcnt 0x0
	s_abs_i32 s47, s38
	s_add_co_i32 s46, s1, s46
	s_cvt_f32_u32 s2, s47
	v_readfirstlane_b32 s1, v1
	s_wait_alu 0xfffe
	v_rcp_iflag_f32_e32 v1, s0
	s_cvt_u32_f32 s0, s48
	v_rcp_iflag_f32_e32 v2, s2
	s_sub_co_i32 s48, 0, s37
	s_mul_f32 s1, s1, 0x4f7ffffe
	s_wait_alu 0xfffe
	s_mul_i32 s2, s48, s0
	s_sub_co_i32 s53, 0, s47
	s_wait_alu 0xfffe
	s_mul_hi_u32 s2, s0, s2
	s_cvt_u32_f32 s1, s1
	s_wait_alu 0xfffe
	s_add_co_i32 s49, s0, s2
	v_readfirstlane_b32 s51, v1
	s_ashr_i32 s48, s30, 31
	v_readfirstlane_b32 s0, v2
	s_mul_i32 s50, s50, s1
	s_sub_co_i32 s58, 0, s4
	s_mul_f32 s52, s51, 0x4f7ffffe
	s_mul_hi_u32 s2, s1, s50
	s_mul_f32 s0, s0, 0x4f7ffffe
	s_wait_alu 0xfffe
	s_add_co_i32 s51, s1, s2
	s_cvt_u32_f32 s1, s52
	s_sub_co_i32 s2, 0, s44
	s_cvt_u32_f32 s0, s0
	s_ashr_i32 s50, s59, 31
	s_wait_alu 0xfffe
	s_mul_i32 s2, s2, s1
	s_ashr_i32 s52, s60, 31
	s_wait_alu 0xfffe
	s_mul_hi_u32 s2, s1, s2
	s_mul_i32 s54, s53, s0
	s_wait_alu 0xfffe
	s_add_co_i32 s53, s1, s2
	s_mul_hi_u32 s1, s0, s54
	s_ashr_i32 s54, s38, 31
	s_wait_alu 0xfffe
	s_add_co_i32 s55, s0, s1
	s_sub_co_i32 s59, 0, s59
	s_sub_co_i32 s60, 0, s60
	s_branch .LBB41_3
.LBB41_2:                               ;   in Loop: Header=BB41_3 Depth=1
	s_wait_alu 0xfffe
	s_or_b32 exec_lo, exec_lo, s0
	v_cvt_f32_f16_e32 v11, v11
	v_cvt_f32_f16_e32 v12, v12
	v_mul_lo_u32 v8, s57, v8
	v_mul_hi_u32 v15, v1, s53
	v_xor_b32_e32 v2, s52, v2
	s_delay_alu instid0(VALU_DEP_4) | instskip(NEXT) | instid1(VALU_DEP_1)
	v_add_f32_e32 v11, v11, v12
	v_dual_add_f32 v11, v11, v14 :: v_dual_lshlrev_b32 v4, 2, v4
	s_delay_alu instid0(VALU_DEP_4) | instskip(NEXT) | instid1(VALU_DEP_2)
	v_mul_lo_u32 v12, v15, s44
	v_add_f32_e32 v11, v13, v11
	v_lshlrev_b32_e32 v5, 2, v5
	s_delay_alu instid0(VALU_DEP_3) | instskip(NEXT) | instid1(VALU_DEP_3)
	v_sub_nc_u32_e32 v1, v1, v12
	v_mul_f32_e32 v18, 0xbfb8aa3b, v11
	s_delay_alu instid0(VALU_DEP_3) | instskip(SKIP_1) | instid1(VALU_DEP_4)
	v_sub_nc_u32_e32 v4, v5, v4
	v_add_nc_u32_e32 v5, v0, v8
	v_cmp_le_u32_e32 vcc_lo, s44, v1
	s_delay_alu instid0(VALU_DEP_4) | instskip(NEXT) | instid1(VALU_DEP_4)
	v_rndne_f32_e32 v20, v18
	v_or_b32_e32 v14, 1, v4
	v_or_b32_e32 v16, 2, v4
	v_or_b32_e32 v17, 3, v4
	v_add_nc_u32_e32 v4, 4, v4
	v_ashrrev_i32_e32 v5, 31, v5
	v_fma_f32 v19, 0xbfb8aa3b, v11, -v18
	v_mul_lo_u32 v14, s4, v14
	v_add_nc_u32_e32 v13, 1, v15
	v_mul_lo_u32 v21, s4, v4
	s_delay_alu instid0(VALU_DEP_4)
	v_dual_sub_f32 v4, v18, v20 :: v_dual_fmac_f32 v19, 0xb2a5705f, v11
	v_add3_u32 v18, v5, v8, v0
	v_xor_b32_e32 v12, s54, v5
	v_cvt_i32_f32_e32 v20, v20
	v_mul_lo_u32 v17, s4, v17
	v_mul_lo_u32 v16, s4, v16
	v_xor_b32_e32 v5, v18, v5
	v_add_nc_u32_e32 v18, v0, v14
	v_add_f32_e32 v4, v4, v19
	s_delay_alu instid0(VALU_DEP_3) | instskip(NEXT) | instid1(VALU_DEP_3)
	v_mul_hi_u32 v24, v5, s55
	v_ashrrev_i32_e32 v18, 31, v18
	s_delay_alu instid0(VALU_DEP_3) | instskip(SKIP_1) | instid1(VALU_DEP_1)
	v_exp_f32_e32 v4, v4
	v_add_nc_u32_e32 v19, v0, v16
	v_ashrrev_i32_e32 v19, 31, v19
	s_delay_alu instid0(VALU_DEP_4) | instskip(SKIP_1) | instid1(TRANS32_DEP_1)
	v_mul_lo_u32 v25, v24, s47
	v_add_nc_u32_e32 v26, 1, v24
	v_ldexp_f32 v4, v4, v20
	s_wait_alu 0xfffd
	v_cndmask_b32_e32 v13, v15, v13, vcc_lo
	v_subrev_nc_u32_e32 v15, s44, v1
	v_add_nc_u32_e32 v22, v0, v17
	v_sub_nc_u32_e32 v5, v5, v25
	s_delay_alu instid0(VALU_DEP_3) | instskip(SKIP_1) | instid1(VALU_DEP_4)
	v_cndmask_b32_e32 v1, v1, v15, vcc_lo
	v_add_nc_u32_e32 v15, 1, v13
	v_ashrrev_i32_e32 v22, 31, v22
	s_delay_alu instid0(VALU_DEP_3) | instskip(SKIP_1) | instid1(VALU_DEP_3)
	v_cmp_le_u32_e32 vcc_lo, s44, v1
	s_wait_alu 0xfffd
	v_cndmask_b32_e32 v1, v13, v15, vcc_lo
	v_cmp_nlt_f32_e32 vcc_lo, 0x42ce8ed0, v11
	v_add3_u32 v15, v18, v14, v0
	v_xor_b32_e32 v13, s54, v18
	s_delay_alu instid0(VALU_DEP_4)
	v_xor_b32_e32 v1, v1, v2
	s_wait_alu 0xfffd
	v_cndmask_b32_e32 v4, 0, v4, vcc_lo
	v_cmp_ngt_f32_e32 vcc_lo, 0xc2b17218, v11
	v_add_nc_u32_e32 v23, v0, v21
	v_xor_b32_e32 v15, v15, v18
	v_sub_nc_u32_e32 v27, v1, v2
	v_add3_u32 v11, v22, v17, v0
	s_wait_alu 0xfffd
	v_cndmask_b32_e32 v4, 0x7f800000, v4, vcc_lo
	v_ashrrev_i32_e32 v20, 31, v23
	v_add3_u32 v23, v19, v16, v0
	v_cmp_le_u32_e32 vcc_lo, s47, v5
	v_mad_co_u64_u32 v[1:2], null, s60, v27, v[0:1]
	v_add_f32_e32 v4, 1.0, v4
	s_delay_alu instid0(VALU_DEP_4)
	v_xor_b32_e32 v18, v23, v19
	s_wait_alu 0xfffd
	v_cndmask_b32_e32 v2, v24, v26, vcc_lo
	v_subrev_nc_u32_e32 v24, s47, v5
	v_mul_hi_u32 v28, v15, s55
	v_div_scale_f32 v23, null, v4, v4, 1.0
	v_mul_lo_u32 v1, v1, s25
	s_delay_alu instid0(VALU_DEP_4) | instskip(NEXT) | instid1(VALU_DEP_3)
	v_dual_cndmask_b32 v5, v5, v24 :: v_dual_add_nc_u32 v24, 1, v2
	v_rcp_f32_e32 v29, v23
	v_div_scale_f32 v34, vcc_lo, 1.0, v4, 1.0
	v_mul_lo_u32 v26, v28, s47
	s_delay_alu instid0(VALU_DEP_3) | instskip(SKIP_3) | instid1(VALU_DEP_3)
	v_cmp_le_u32_e64 s0, s47, v5
	v_xor_b32_e32 v11, v11, v22
	v_mul_hi_u32 v25, v18, s55
	s_wait_alu 0xf1ff
	v_cndmask_b32_e64 v5, v2, v24, s0
	s_delay_alu instid0(TRANS32_DEP_1) | instskip(SKIP_3) | instid1(VALU_DEP_4)
	v_fma_f32 v33, -v23, v29, 1.0
	v_add_nc_u32_e32 v30, 1, v28
	v_sub_nc_u32_e32 v15, v15, v26
	v_mad_co_u64_u32 v[1:2], null, v27, s24, v[1:2]
	v_fmac_f32_e32 v29, v33, v29
	v_xor_b32_e32 v2, v5, v12
	s_delay_alu instid0(VALU_DEP_4)
	v_cmp_le_u32_e64 s0, s47, v15
	v_subrev_nc_u32_e32 v27, s47, v15
	v_mul_lo_u32 v31, v25, s47
	v_mul_f32_e32 v24, v34, v29
	v_sub_nc_u32_e32 v12, v2, v12
	s_wait_alu 0xf1ff
	v_cndmask_b32_e64 v5, v28, v30, s0
	v_mul_hi_u32 v30, v11, s55
	v_cndmask_b32_e64 v15, v15, v27, s0
	v_fma_f32 v26, -v23, v24, v34
	v_mul_lo_u32 v27, v12, s38
	v_sub_nc_u32_e32 v18, v18, v31
	v_add3_u32 v31, v20, v21, v0
	v_ashrrev_i32_e32 v2, 31, v1
	v_fmac_f32_e32 v24, v26, v29
	v_add_nc_u32_e32 v26, 1, v5
	v_cmp_le_u32_e64 s1, s47, v18
	v_subrev_nc_u32_e32 v28, s47, v18
	v_sub_nc_u32_e32 v8, v8, v27
	v_fma_f32 v23, -v23, v24, v34
	v_lshlrev_b64_e32 v[1:2], 1, v[1:2]
	s_wait_alu 0xf1ff
	v_cndmask_b32_e64 v18, v18, v28, s1
	v_add_nc_u32_e32 v8, v0, v8
	s_wait_alu 0xfffd
	v_div_fmas_f32 v23, v23, v29, v24
	v_cmp_le_u32_e32 vcc_lo, s47, v15
	v_xor_b32_e32 v15, s54, v19
	v_mul_lo_u32 v19, v30, s47
	s_delay_alu instid0(VALU_DEP_4)
	v_div_fixup_f32 v23, v23, v4, 1.0
	s_wait_alu 0xfffd
	v_cndmask_b32_e32 v4, v5, v26, vcc_lo
	v_xor_b32_e32 v5, v31, v20
	v_cmp_le_u32_e32 vcc_lo, s47, v18
	v_xor_b32_e32 v20, s54, v20
	v_sub_nc_u32_e32 v11, v11, v19
	v_add_nc_u32_e32 v32, 1, v25
	s_delay_alu instid0(VALU_DEP_1) | instskip(NEXT) | instid1(VALU_DEP_1)
	v_cndmask_b32_e64 v25, v25, v32, s1
	v_add_nc_u32_e32 v24, 1, v25
	s_wait_alu 0xfffd
	s_delay_alu instid0(VALU_DEP_1)
	v_cndmask_b32_e32 v18, v25, v24, vcc_lo
	v_mul_hi_u32 v24, v5, s55
	v_add_co_u32 v1, vcc_lo, s22, v1
	s_wait_alu 0xfffd
	v_add_co_ci_u32_e64 v2, null, s23, v2, vcc_lo
	v_xor_b32_e32 v18, v18, v15
	v_xor_b32_e32 v25, v4, v13
	v_mul_lo_u32 v4, v8, s29
	v_mul_lo_u32 v19, v24, s47
	v_add_nc_u32_e32 v8, 1, v30
	v_sub_nc_u32_e32 v15, v18, v15
	v_subrev_nc_u32_e32 v18, s47, v11
	v_cmp_le_u32_e32 vcc_lo, s47, v11
	v_sub_nc_u32_e32 v13, v25, v13
	v_sub_nc_u32_e32 v5, v5, v19
	s_wait_alu 0xfffd
	v_cndmask_b32_e32 v8, v30, v8, vcc_lo
	v_xor_b32_e32 v19, s54, v22
	v_dual_cndmask_b32 v11, v11, v18 :: v_dual_add_nc_u32 v22, 1, v24
	v_subrev_nc_u32_e32 v25, s47, v5
	v_cmp_le_u32_e32 vcc_lo, s47, v5
	v_add_nc_u32_e32 v18, 1, v8
	s_delay_alu instid0(VALU_DEP_4)
	v_cmp_le_u32_e64 s0, s47, v11
	v_mul_lo_u32 v11, v13, s38
	s_wait_alu 0xfffd
	v_dual_cndmask_b32 v22, v24, v22 :: v_dual_cndmask_b32 v5, v5, v25
	v_mul_lo_u32 v24, v15, s38
	s_wait_alu 0xf1ff
	v_cndmask_b32_e64 v8, v8, v18, s0
	s_delay_alu instid0(VALU_DEP_3) | instskip(SKIP_2) | instid1(VALU_DEP_4)
	v_add_nc_u32_e32 v18, 1, v22
	v_cmp_le_u32_e32 vcc_lo, s47, v5
	v_mad_co_u64_u32 v[4:5], null, v12, s28, v[4:5]
	v_xor_b32_e32 v8, v8, v19
	s_wait_alu 0xfffd
	v_cndmask_b32_e32 v18, v22, v18, vcc_lo
	v_bfi_b32 v22, 0x7fffffff, v10, v9
	v_sub_nc_u32_e32 v10, v16, v24
	v_sub_nc_u32_e32 v19, v8, v19
	;; [unrolled: 1-line block ×3, first 2 shown]
	v_xor_b32_e32 v5, v18, v20
	s_wait_loadcnt 0x0
	v_cvt_f32_f16_e32 v9, v3
	v_add_nc_u32_e32 v10, v0, v10
	v_mul_lo_u32 v11, v19, s38
	v_add_nc_u32_e32 v8, v0, v8
	v_sub_nc_u32_e32 v16, v5, v20
	v_sub_f32_e32 v9, v9, v22
	v_ashrrev_i32_e32 v5, 31, v4
	v_cvt_f16_f32_e32 v18, v7
	v_mul_lo_u32 v8, v8, s29
	v_mul_lo_u32 v12, v16, s38
	v_sub_nc_u32_e32 v11, v17, v11
	v_fma_mixlo_f16 v17, v23, v9, v22
	v_mul_lo_u32 v9, v10, s29
	v_lshlrev_b64_e32 v[4:5], 1, v[4:5]
	s_delay_alu instid0(VALU_DEP_4) | instskip(SKIP_1) | instid1(VALU_DEP_3)
	v_add_nc_u32_e32 v11, v0, v11
	v_sub_nc_u32_e32 v12, v21, v12
	v_add_co_u32 v4, vcc_lo, s26, v4
	s_delay_alu instid0(VALU_DEP_3) | instskip(NEXT) | instid1(VALU_DEP_3)
	v_mul_lo_u32 v11, v11, s29
	v_add_nc_u32_e32 v12, v0, v12
	v_mad_co_u64_u32 v[7:8], null, v13, s28, v[8:9]
	v_mad_co_u64_u32 v[9:10], null, v15, s28, v[9:10]
	s_delay_alu instid0(VALU_DEP_3)
	v_mul_lo_u32 v12, v12, s29
	s_wait_alu 0xfffd
	v_add_co_ci_u32_e64 v5, null, s27, v5, vcc_lo
	global_store_b16 v[1:2], v17, off
	global_store_b16 v[4:5], v18, off
	v_ashrrev_i32_e32 v8, 31, v7
	v_ashrrev_i32_e32 v10, 31, v9
	v_mad_co_u64_u32 v[13:14], null, v19, s28, v[11:12]
	v_add_nc_u32_e32 v0, s40, v0
	s_delay_alu instid0(VALU_DEP_4) | instskip(NEXT) | instid1(VALU_DEP_4)
	v_lshlrev_b64_e32 v[1:2], 1, v[7:8]
	v_lshlrev_b64_e32 v[4:5], 1, v[9:10]
	v_cvt_f16_f32_e32 v11, v23
	v_mad_co_u64_u32 v[7:8], null, v16, s28, v[12:13]
	v_ashrrev_i32_e32 v14, 31, v13
	v_add_co_u32 v1, vcc_lo, s26, v1
	s_wait_alu 0xfffd
	v_add_co_ci_u32_e64 v2, null, s27, v2, vcc_lo
	s_delay_alu instid0(VALU_DEP_3) | instskip(SKIP_4) | instid1(VALU_DEP_3)
	v_lshlrev_b64_e32 v[9:10], 1, v[13:14]
	v_ashrrev_i32_e32 v8, 31, v7
	v_add_co_u32 v4, vcc_lo, s26, v4
	s_wait_alu 0xfffd
	v_add_co_ci_u32_e64 v5, null, s27, v5, vcc_lo
	v_lshlrev_b64_e32 v[7:8], 1, v[7:8]
	v_add_co_u32 v9, vcc_lo, s26, v9
	s_wait_alu 0xfffd
	v_add_co_ci_u32_e64 v10, null, s27, v10, vcc_lo
	v_cmp_le_i32_e32 vcc_lo, s5, v0
	v_cvt_f16_f32_e32 v13, v6
	v_add_co_u32 v6, s0, s26, v7
	v_cvt_f16_f32_e32 v12, v22
	s_wait_alu 0xf1ff
	v_add_co_ci_u32_e64 v7, null, s27, v8, s0
	s_or_b32 s39, vcc_lo, s39
	s_clause 0x3
	global_store_b16 v[1:2], v11, off
	global_store_b16 v[4:5], v12, off
	;; [unrolled: 1-line block ×4, first 2 shown]
	s_wait_alu 0xfffe
	s_and_not1_b32 exec_lo, exec_lo, s39
	s_cbranch_execz .LBB41_9
.LBB41_3:                               ; =>This Inner Loop Header: Depth=1
	v_sub_nc_u32_e32 v1, 0, v0
	s_delay_alu instid0(VALU_DEP_1) | instskip(NEXT) | instid1(VALU_DEP_1)
	v_max_i32_e32 v1, v0, v1
	v_mul_hi_u32 v2, v1, s45
	v_mul_hi_u32 v7, v1, s51
	s_delay_alu instid0(VALU_DEP_2) | instskip(NEXT) | instid1(VALU_DEP_2)
	v_mul_lo_u32 v3, v2, s35
	v_add_nc_u32_e32 v10, 1, v7
	s_delay_alu instid0(VALU_DEP_2) | instskip(NEXT) | instid1(VALU_DEP_1)
	v_sub_nc_u32_e32 v3, v1, v3
	v_subrev_nc_u32_e32 v5, s35, v3
	v_cmp_le_u32_e32 vcc_lo, s35, v3
	s_wait_alu 0xfffd
	s_delay_alu instid0(VALU_DEP_2) | instskip(NEXT) | instid1(VALU_DEP_1)
	v_dual_cndmask_b32 v3, v3, v5 :: v_dual_add_nc_u32 v4, 1, v2
	v_cndmask_b32_e32 v6, v2, v4, vcc_lo
	v_ashrrev_i32_e32 v2, 31, v0
	s_delay_alu instid0(VALU_DEP_3) | instskip(NEXT) | instid1(VALU_DEP_3)
	v_cmp_le_u32_e32 vcc_lo, s35, v3
	v_add_nc_u32_e32 v5, 1, v6
	s_delay_alu instid0(VALU_DEP_3) | instskip(SKIP_2) | instid1(VALU_DEP_3)
	v_xor_b32_e32 v4, s41, v2
	v_xor_b32_e32 v13, s50, v2
	s_wait_alu 0xfffd
	v_cndmask_b32_e32 v3, v6, v5, vcc_lo
	v_mul_lo_u32 v6, v7, s43
	s_delay_alu instid0(VALU_DEP_2) | instskip(NEXT) | instid1(VALU_DEP_2)
	v_xor_b32_e32 v5, v3, v4
	v_sub_nc_u32_e32 v6, v1, v6
	s_delay_alu instid0(VALU_DEP_2) | instskip(SKIP_1) | instid1(VALU_DEP_3)
	v_sub_nc_u32_e32 v8, v5, v4
	v_lshlrev_b32_e32 v9, 1, v5
	v_cmp_le_u32_e32 vcc_lo, s43, v6
	s_delay_alu instid0(VALU_DEP_3) | instskip(SKIP_2) | instid1(VALU_DEP_1)
	v_mul_lo_u32 v12, s56, v8
	v_subrev_nc_u32_e32 v11, s43, v6
	s_wait_alu 0xfffd
	v_dual_cndmask_b32 v7, v7, v10 :: v_dual_cndmask_b32 v6, v6, v11
	s_delay_alu instid0(VALU_DEP_3) | instskip(NEXT) | instid1(VALU_DEP_2)
	v_add_nc_u32_e32 v10, v0, v12
	v_add_nc_u32_e32 v11, 1, v7
	s_delay_alu instid0(VALU_DEP_3) | instskip(NEXT) | instid1(VALU_DEP_3)
	v_cmp_le_u32_e32 vcc_lo, s43, v6
	v_ashrrev_i32_e32 v10, 31, v10
	s_delay_alu instid0(VALU_DEP_1) | instskip(SKIP_1) | instid1(VALU_DEP_2)
	v_add3_u32 v6, v10, v12, v0
	v_xor_b32_e32 v15, s42, v10
	v_xor_b32_e32 v6, v6, v10
	;; [unrolled: 1-line block ×3, first 2 shown]
	s_delay_alu instid0(VALU_DEP_2) | instskip(SKIP_1) | instid1(VALU_DEP_2)
	v_mul_hi_u32 v16, v6, s46
	v_mul_hi_u32 v19, v6, s49
	v_add_nc_u32_e32 v25, 1, v16
	v_lshlrev_b32_e32 v3, 1, v4
	s_delay_alu instid0(VALU_DEP_3) | instskip(SKIP_1) | instid1(VALU_DEP_3)
	v_mul_lo_u32 v23, v19, s37
	v_add_nc_u32_e32 v27, 1, v19
	v_sub_nc_u32_e32 v3, v9, v3
	s_delay_alu instid0(VALU_DEP_1) | instskip(SKIP_1) | instid1(VALU_DEP_2)
	v_or_b32_e32 v9, 1, v3
	v_add_nc_u32_e32 v3, 2, v3
	v_mul_lo_u32 v9, s4, v9
	s_delay_alu instid0(VALU_DEP_2) | instskip(SKIP_2) | instid1(VALU_DEP_3)
	v_mul_lo_u32 v14, s4, v3
	s_wait_alu 0xfffd
	v_cndmask_b32_e32 v3, v7, v11, vcc_lo
	v_add_nc_u32_e32 v7, v0, v9
	s_delay_alu instid0(VALU_DEP_3) | instskip(NEXT) | instid1(VALU_DEP_2)
	v_add_nc_u32_e32 v11, v0, v14
	v_ashrrev_i32_e32 v7, 31, v7
	s_delay_alu instid0(VALU_DEP_2) | instskip(NEXT) | instid1(VALU_DEP_2)
	v_ashrrev_i32_e32 v11, 31, v11
	v_add3_u32 v18, v7, v9, v0
	s_delay_alu instid0(VALU_DEP_2)
	v_add3_u32 v20, v11, v14, v0
	v_xor_b32_e32 v17, s42, v7
	v_xor_b32_e32 v21, s42, v11
	;; [unrolled: 1-line block ×6, first 2 shown]
	v_mul_lo_u32 v20, v16, s36
	s_delay_alu instid0(VALU_DEP_4) | instskip(SKIP_1) | instid1(VALU_DEP_4)
	v_mul_hi_u32 v24, v7, s46
	v_mul_hi_u32 v28, v7, s49
	;; [unrolled: 1-line block ×4, first 2 shown]
	v_sub_nc_u32_e32 v20, v6, v20
	v_sub_nc_u32_e32 v6, v6, v23
	v_mul_lo_u32 v23, v24, s36
	v_add_nc_u32_e32 v30, 1, v24
	v_mul_lo_u32 v31, v26, s36
	v_subrev_nc_u32_e32 v37, s36, v20
	v_cmp_le_u32_e32 vcc_lo, s36, v20
	v_cmp_le_u32_e64 s0, s37, v6
	v_mul_lo_u32 v33, v28, s37
	v_mul_lo_u32 v35, v29, s37
	v_sub_nc_u32_e32 v23, v7, v23
	s_wait_alu 0xfffd
	v_cndmask_b32_e32 v16, v16, v25, vcc_lo
	v_cndmask_b32_e32 v20, v20, v37, vcc_lo
	s_wait_alu 0xf1ff
	v_cndmask_b32_e64 v19, v19, v27, s0
	v_subrev_nc_u32_e32 v25, s37, v6
	v_sub_nc_u32_e32 v31, v11, v31
	v_add_nc_u32_e32 v27, 1, v16
	v_cmp_le_u32_e32 vcc_lo, s36, v20
	v_sub_nc_u32_e32 v7, v7, v33
	v_cndmask_b32_e64 v6, v6, v25, s0
	v_add_nc_u32_e32 v25, 1, v19
	v_sub_nc_u32_e32 v11, v11, v35
	s_wait_alu 0xfffd
	v_cndmask_b32_e32 v16, v16, v27, vcc_lo
	v_cmp_le_u32_e32 vcc_lo, s36, v23
	v_cmp_le_u32_e64 s0, s36, v31
	v_subrev_nc_u32_e32 v27, s36, v31
	v_cmp_le_u32_e64 s1, s37, v6
	v_add_nc_u32_e32 v34, 1, v28
	s_wait_alu 0xfffd
	v_cndmask_b32_e32 v20, v24, v30, vcc_lo
	v_subrev_nc_u32_e32 v24, s36, v23
	v_add_nc_u32_e32 v32, 1, v26
	v_add_nc_u32_e32 v36, 1, v29
	s_wait_alu 0xf1ff
	v_cndmask_b32_e64 v6, v19, v25, s1
	v_cmp_le_u32_e64 s1, s37, v7
	v_cndmask_b32_e32 v23, v23, v24, vcc_lo
	v_cndmask_b32_e64 v26, v26, v32, s0
	v_subrev_nc_u32_e32 v25, s37, v7
	v_cmp_le_u32_e64 s2, s37, v11
	v_xor_b32_e32 v16, v16, v15
	v_add_nc_u32_e32 v24, 1, v20
	v_cndmask_b32_e64 v27, v31, v27, s0
	v_cmp_le_u32_e32 vcc_lo, s36, v23
	s_wait_alu 0xf1ff
	v_cndmask_b32_e64 v19, v28, v34, s1
	v_cndmask_b32_e64 v28, v29, v36, s2
	v_subrev_nc_u32_e32 v29, s37, v11
	v_add_nc_u32_e32 v30, 1, v26
	v_cndmask_b32_e64 v7, v7, v25, s1
	v_sub_nc_u32_e32 v15, v16, v15
	s_wait_alu 0xfffd
	v_cndmask_b32_e32 v16, v20, v24, vcc_lo
	v_cmp_le_u32_e32 vcc_lo, s36, v27
	v_xor_b32_e32 v6, v6, v10
	v_add_nc_u32_e32 v25, 1, v19
	v_cndmask_b32_e64 v11, v11, v29, s2
	s_wait_alu 0xfffd
	v_dual_cndmask_b32 v20, v26, v30 :: v_dual_add_nc_u32 v29, 1, v28
	v_cmp_le_u32_e32 vcc_lo, s37, v7
	v_sub_nc_u32_e32 v23, v6, v10
	v_xor_b32_e32 v10, v16, v17
	v_xor_b32_e32 v3, v3, v13
	;; [unrolled: 1-line block ×3, first 2 shown]
	s_wait_alu 0xfffd
	v_cndmask_b32_e32 v6, v19, v25, vcc_lo
	v_cmp_le_u32_e32 vcc_lo, s37, v11
	v_mul_lo_u32 v11, v15, s3
	v_sub_nc_u32_e32 v17, v10, v17
	v_sub_nc_u32_e32 v16, v16, v21
	v_xor_b32_e32 v6, v6, v22
	s_wait_alu 0xfffd
	v_cndmask_b32_e32 v7, v28, v29, vcc_lo
	v_mul_lo_u32 v19, v23, s30
	v_mul_lo_u32 v10, v17, s3
	v_sub_nc_u32_e32 v20, v6, v22
	s_delay_alu instid0(VALU_DEP_4) | instskip(SKIP_3) | instid1(VALU_DEP_4)
	v_xor_b32_e32 v7, v7, v18
	v_sub_nc_u32_e32 v6, v12, v11
	v_mul_lo_u32 v11, v16, s3
	v_sub_nc_u32_e32 v22, v3, v13
	v_sub_nc_u32_e32 v21, v7, v18
	;; [unrolled: 1-line block ×3, first 2 shown]
	v_mul_lo_u32 v12, v20, s30
	v_add_nc_u32_e32 v6, v0, v6
	v_sub_nc_u32_e32 v10, v9, v10
	v_mul_lo_u32 v13, v21, s30
	v_sub_nc_u32_e32 v11, v14, v11
	v_add_nc_u32_e32 v7, v0, v7
	v_mul_lo_u32 v3, v6, s11
	v_add_nc_u32_e32 v10, v0, v10
	v_sub_nc_u32_e32 v9, v9, v12
	v_add_nc_u32_e32 v11, v0, v11
	v_mul_lo_u32 v6, v7, s15
	v_sub_nc_u32_e32 v12, v14, v13
	v_mul_lo_u32 v7, v10, s11
	v_add_nc_u32_e32 v13, v0, v9
	v_mad_co_u64_u32 v[9:10], null, v15, s10, v[3:4]
	v_mul_lo_u32 v3, v11, s11
	v_add_nc_u32_e32 v19, v0, v12
	v_mad_co_u64_u32 v[11:12], null, v23, s14, v[6:7]
	v_mul_lo_u32 v6, v13, s15
	v_mad_co_u64_u32 v[13:14], null, v17, s10, v[7:8]
	v_mad_co_u64_u32 v[15:16], null, v16, s10, v[3:4]
	v_mad_co_u64_u32 v[17:18], null, s59, v22, v[0:1]
	v_mul_lo_u32 v3, v19, s15
	v_ashrrev_i32_e32 v10, 31, v9
	v_mad_co_u64_u32 v[6:7], null, v20, s14, v[6:7]
	v_ashrrev_i32_e32 v14, 31, v13
	v_ashrrev_i32_e32 v16, 31, v15
	v_mul_lo_u32 v17, v17, s21
	v_lshlrev_b64_e32 v[9:10], 1, v[9:10]
	v_mad_co_u64_u32 v[18:19], null, v21, s14, v[3:4]
	v_ashrrev_i32_e32 v12, 31, v11
	v_lshlrev_b64_e32 v[13:14], 1, v[13:14]
	v_ashrrev_i32_e32 v7, 31, v6
	v_lshlrev_b64_e32 v[15:16], 1, v[15:16]
	v_add_co_u32 v9, vcc_lo, s8, v9
	v_mad_co_u64_u32 v[20:21], null, v22, s20, v[17:18]
	v_lshlrev_b64_e32 v[11:12], 1, v[11:12]
	s_wait_alu 0xfffd
	v_add_co_ci_u32_e64 v10, null, s9, v10, vcc_lo
	v_add_co_u32 v13, vcc_lo, s8, v13
	v_lshlrev_b64_e32 v[6:7], 1, v[6:7]
	v_ashrrev_i32_e32 v19, 31, v18
	s_wait_alu 0xfffd
	v_add_co_ci_u32_e64 v14, null, s9, v14, vcc_lo
	v_add_co_u32 v15, vcc_lo, s8, v15
	v_ashrrev_i32_e32 v21, 31, v20
	s_wait_alu 0xfffd
	v_add_co_ci_u32_e64 v16, null, s9, v16, vcc_lo
	v_add_co_u32 v22, vcc_lo, s12, v11
	s_wait_alu 0xfffd
	v_add_co_ci_u32_e64 v23, null, s13, v12, vcc_lo
	v_lshlrev_b64_e32 v[11:12], 1, v[18:19]
	v_add_co_u32 v17, vcc_lo, s12, v6
	s_wait_alu 0xfffd
	v_add_co_ci_u32_e64 v18, null, s13, v7, vcc_lo
	v_lshlrev_b64_e32 v[6:7], 1, v[20:21]
	s_delay_alu instid0(VALU_DEP_4) | instskip(SKIP_2) | instid1(VALU_DEP_3)
	v_add_co_u32 v19, vcc_lo, s12, v11
	s_wait_alu 0xfffd
	v_add_co_ci_u32_e64 v20, null, s13, v12, vcc_lo
	v_add_co_u32 v24, vcc_lo, s18, v6
	s_wait_alu 0xfffd
	v_add_co_ci_u32_e64 v25, null, s19, v7, vcc_lo
	s_clause 0x2
	global_load_u16 v9, v[9:10], off
	global_load_u16 v11, v[13:14], off
	;; [unrolled: 1-line block ×3, first 2 shown]
	s_clause 0x2
	global_load_u16 v10, v[22:23], off
	global_load_u16 v12, v[17:18], off
	;; [unrolled: 1-line block ×4, first 2 shown]
	v_mov_b32_e32 v15, 0
	v_mov_b32_e32 v13, 0
	v_dual_mov_b32 v17, 0 :: v_dual_mov_b32 v16, 0
	v_mov_b32_e32 v14, 0
	v_mov_b32_e32 v18, 0
	s_and_not1_b32 vcc_lo, exec_lo, s34
	s_wait_alu 0xfffe
	s_cbranch_vccnz .LBB41_5
; %bb.4:                                ;   in Loop: Header=BB41_3 Depth=1
	v_mad_co_u64_u32 v[13:14], null, s58, v8, v[0:1]
	v_sub_nc_u32_e32 v14, v4, v5
	s_delay_alu instid0(VALU_DEP_1) | instskip(SKIP_1) | instid1(VALU_DEP_4)
	v_mul_lo_u32 v15, s4, v14
	v_add_nc_u32_e32 v17, 2, v14
	v_mul_lo_u32 v14, v13, s31
	v_mul_lo_u32 v16, v13, s33
	s_delay_alu instid0(VALU_DEP_3) | instskip(SKIP_1) | instid1(VALU_DEP_4)
	v_mad_co_u64_u32 v[18:19], null, s4, v17, v[0:1]
	v_add3_u32 v20, v15, s4, v0
	v_ashrrev_i32_e32 v15, 31, v14
	s_delay_alu instid0(VALU_DEP_4) | instskip(NEXT) | instid1(VALU_DEP_3)
	v_ashrrev_i32_e32 v17, 31, v16
	v_mul_lo_u32 v13, v20, s31
	v_mul_lo_u32 v19, v18, s31
	;; [unrolled: 1-line block ×3, first 2 shown]
	v_lshlrev_b64_e32 v[24:25], 1, v[14:15]
	v_mul_lo_u32 v23, v18, s33
	v_lshlrev_b64_e32 v[15:16], 1, v[16:17]
	v_ashrrev_i32_e32 v14, 31, v13
	v_ashrrev_i32_e32 v20, 31, v19
	v_add_co_u32 v17, vcc_lo, s6, v24
	v_ashrrev_i32_e32 v22, 31, v21
	s_delay_alu instid0(VALU_DEP_4) | instskip(NEXT) | instid1(VALU_DEP_4)
	v_lshlrev_b64_e32 v[13:14], 1, v[13:14]
	v_lshlrev_b64_e32 v[19:20], 1, v[19:20]
	s_wait_alu 0xfffd
	v_add_co_ci_u32_e64 v18, null, s7, v25, vcc_lo
	v_ashrrev_i32_e32 v24, 31, v23
	v_lshlrev_b64_e32 v[21:22], 1, v[21:22]
	v_add_co_u32 v13, vcc_lo, s6, v13
	global_load_u16 v25, v[17:18], off
	s_wait_alu 0xfffd
	v_add_co_ci_u32_e64 v14, null, s7, v14, vcc_lo
	v_add_co_u32 v17, vcc_lo, s6, v19
	s_wait_alu 0xfffd
	v_add_co_ci_u32_e64 v18, null, s7, v20, vcc_lo
	v_lshlrev_b64_e32 v[19:20], 1, v[23:24]
	v_add_co_u32 v15, vcc_lo, s16, v15
	s_wait_alu 0xfffd
	v_add_co_ci_u32_e64 v16, null, s17, v16, vcc_lo
	v_add_co_u32 v21, vcc_lo, s16, v21
	s_wait_alu 0xfffd
	v_add_co_ci_u32_e64 v22, null, s17, v22, vcc_lo
	;; [unrolled: 3-line block ×3, first 2 shown]
	global_load_u16 v15, v[15:16], off
	global_load_u16 v13, v[13:14], off
	;; [unrolled: 1-line block ×5, first 2 shown]
	s_wait_loadcnt 0x5
	v_cvt_f32_f16_e32 v18, v25
	s_wait_loadcnt 0x4
	v_cvt_f32_f16_e32 v17, v15
	;; [unrolled: 2-line block ×6, first 2 shown]
.LBB41_5:                               ;   in Loop: Header=BB41_3 Depth=1
	s_wait_loadcnt 0x6
	v_cvt_f32_f16_e32 v9, v9
	s_wait_loadcnt 0x3
	v_cvt_f32_f16_e32 v10, v10
	v_cvt_f32_f16_e32 v7, v7
	s_wait_loadcnt 0x1
	v_cvt_f32_f16_e32 v6, v6
	s_delay_alu instid0(VALU_DEP_3) | instskip(NEXT) | instid1(VALU_DEP_2)
	v_add_f32_e32 v9, v9, v10
	v_add_f32_e32 v6, v15, v6
	s_delay_alu instid0(VALU_DEP_2) | instskip(NEXT) | instid1(VALU_DEP_1)
	v_add_f32_e32 v9, v9, v18
	v_add_f32_e32 v9, v17, v9
	s_delay_alu instid0(VALU_DEP_1) | instskip(NEXT) | instid1(VALU_DEP_1)
	v_mul_f32_e32 v10, 0xbfb8aa3b, v9
	v_fma_f32 v17, 0xbfb8aa3b, v9, -v10
	v_rndne_f32_e32 v18, v10
	s_delay_alu instid0(VALU_DEP_1) | instskip(SKIP_1) | instid1(VALU_DEP_4)
	v_sub_f32_e32 v10, v10, v18
	v_cmp_nlt_f32_e32 vcc_lo, 0x42ce8ed0, v9
	v_fmac_f32_e32 v17, 0xb2a5705f, v9
	s_delay_alu instid0(VALU_DEP_1) | instskip(SKIP_1) | instid1(VALU_DEP_2)
	v_add_f32_e32 v10, v10, v17
	v_cvt_i32_f32_e32 v17, v18
	v_exp_f32_e32 v10, v10
	s_delay_alu instid0(TRANS32_DEP_1) | instskip(SKIP_1) | instid1(VALU_DEP_1)
	v_ldexp_f32 v10, v10, v17
	s_wait_alu 0xfffd
	v_cndmask_b32_e32 v10, 0, v10, vcc_lo
	v_cmp_ngt_f32_e32 vcc_lo, 0xc2b17218, v9
	s_wait_alu 0xfffd
	s_delay_alu instid0(VALU_DEP_2) | instskip(NEXT) | instid1(VALU_DEP_1)
	v_cndmask_b32_e32 v9, 0x7f800000, v10, vcc_lo
	v_add_f32_e32 v10, 1.0, v9
	s_delay_alu instid0(VALU_DEP_1) | instskip(SKIP_1) | instid1(VALU_DEP_2)
	v_div_scale_f32 v9, null, v10, v10, 1.0
	v_div_scale_f32 v19, vcc_lo, 1.0, v10, 1.0
	v_rcp_f32_e32 v17, v9
	s_delay_alu instid0(TRANS32_DEP_1) | instskip(NEXT) | instid1(VALU_DEP_1)
	v_fma_f32 v18, -v9, v17, 1.0
	v_fmac_f32_e32 v17, v18, v17
	s_delay_alu instid0(VALU_DEP_1) | instskip(NEXT) | instid1(VALU_DEP_1)
	v_mul_f32_e32 v18, v19, v17
	v_fma_f32 v20, -v9, v18, v19
	s_delay_alu instid0(VALU_DEP_1) | instskip(NEXT) | instid1(VALU_DEP_1)
	v_fmac_f32_e32 v18, v20, v17
	v_fma_f32 v9, -v9, v18, v19
	s_wait_alu 0xfffd
	s_delay_alu instid0(VALU_DEP_1) | instskip(SKIP_1) | instid1(VALU_DEP_2)
	v_div_fmas_f32 v17, v9, v17, v18
	v_add_f32_e32 v9, v16, v7
	v_div_fixup_f32 v7, v17, v10, 1.0
                                        ; implicit-def: $vgpr10
	s_delay_alu instid0(VALU_DEP_1) | instskip(NEXT) | instid1(VALU_DEP_1)
	v_fmac_f32_e32 v9, v6, v7
	v_cmp_ngt_f32_e64 s0, 0x3f200000, |v9|
	s_and_saveexec_b32 s1, s0
	s_wait_alu 0xfffe
	s_xor_b32 s0, exec_lo, s1
	s_cbranch_execz .LBB41_7
; %bb.6:                                ;   in Loop: Header=BB41_3 Depth=1
	v_add_f32_e64 v10, |v9|, |v9|
	s_delay_alu instid0(VALU_DEP_1) | instskip(SKIP_1) | instid1(VALU_DEP_2)
	v_mul_f32_e32 v15, 0x3fb8aa3b, v10
	v_cmp_ngt_f32_e32 vcc_lo, 0xc2ce8ed0, v10
	v_rndne_f32_e32 v16, v15
	v_fma_f32 v17, 0x3fb8aa3b, v10, -v15
	s_delay_alu instid0(VALU_DEP_2) | instskip(NEXT) | instid1(VALU_DEP_2)
	v_sub_f32_e32 v15, v15, v16
	v_fmac_f32_e32 v17, 0x32a5705f, v10
	v_cvt_i32_f32_e32 v16, v16
	s_delay_alu instid0(VALU_DEP_2) | instskip(NEXT) | instid1(VALU_DEP_1)
	v_add_f32_e32 v15, v15, v17
	v_exp_f32_e32 v15, v15
	s_delay_alu instid0(TRANS32_DEP_1) | instskip(SKIP_1) | instid1(VALU_DEP_1)
	v_ldexp_f32 v15, v15, v16
	s_wait_alu 0xfffd
	v_cndmask_b32_e32 v15, 0, v15, vcc_lo
	v_cmp_nlt_f32_e32 vcc_lo, 0x42b17218, v10
	s_wait_alu 0xfffd
	s_delay_alu instid0(VALU_DEP_2) | instskip(NEXT) | instid1(VALU_DEP_1)
	v_cndmask_b32_e32 v10, 0x7f800000, v15, vcc_lo
	v_add_f32_e32 v10, 1.0, v10
	s_delay_alu instid0(VALU_DEP_1) | instskip(NEXT) | instid1(TRANS32_DEP_1)
	v_rcp_f32_e32 v10, v10
	v_fma_f32 v10, v10, -2.0, 1.0
.LBB41_7:                               ;   in Loop: Header=BB41_3 Depth=1
	s_wait_alu 0xfffe
	s_and_not1_saveexec_b32 s0, s0
	s_cbranch_execz .LBB41_2
; %bb.8:                                ;   in Loop: Header=BB41_3 Depth=1
	v_mul_f32_e32 v10, v9, v9
	s_delay_alu instid0(VALU_DEP_1) | instskip(NEXT) | instid1(VALU_DEP_1)
	v_fmaak_f32 v15, s61, v10, 0x3ca908c9
	v_fmaak_f32 v15, v10, v15, 0xbd5c1c4e
	s_delay_alu instid0(VALU_DEP_1) | instskip(NEXT) | instid1(VALU_DEP_1)
	v_fmaak_f32 v15, v10, v15, 0x3e088382
	v_fmaak_f32 v15, v10, v15, 0xbeaaaa99
	s_delay_alu instid0(VALU_DEP_1) | instskip(NEXT) | instid1(VALU_DEP_1)
	v_mul_f32_e64 v15, |v9|, v15
	v_fma_f32 v10, v10, v15, |v9|
	s_branch .LBB41_2
.LBB41_9:
	s_endpgm
	.section	.rodata,"a",@progbits
	.p2align	6, 0x0
	.amdhsa_kernel _ZN2at6native12_GLOBAL__N_16kernel16gru_cell_forwardIN3c104HalfEfiLi2EEEvNS_4cuda6detail10TensorInfoIT_T1_EESB_SB_SB_SB_SB_SB_SA_SA_
		.amdhsa_group_segment_fixed_size 0
		.amdhsa_private_segment_fixed_size 0
		.amdhsa_kernarg_size 1776
		.amdhsa_user_sgpr_count 2
		.amdhsa_user_sgpr_dispatch_ptr 0
		.amdhsa_user_sgpr_queue_ptr 0
		.amdhsa_user_sgpr_kernarg_segment_ptr 1
		.amdhsa_user_sgpr_dispatch_id 0
		.amdhsa_user_sgpr_private_segment_size 0
		.amdhsa_wavefront_size32 1
		.amdhsa_uses_dynamic_stack 0
		.amdhsa_enable_private_segment 0
		.amdhsa_system_sgpr_workgroup_id_x 1
		.amdhsa_system_sgpr_workgroup_id_y 0
		.amdhsa_system_sgpr_workgroup_id_z 0
		.amdhsa_system_sgpr_workgroup_info 0
		.amdhsa_system_vgpr_workitem_id 0
		.amdhsa_next_free_vgpr 38
		.amdhsa_next_free_sgpr 62
		.amdhsa_reserve_vcc 1
		.amdhsa_float_round_mode_32 0
		.amdhsa_float_round_mode_16_64 0
		.amdhsa_float_denorm_mode_32 3
		.amdhsa_float_denorm_mode_16_64 3
		.amdhsa_fp16_overflow 0
		.amdhsa_workgroup_processor_mode 1
		.amdhsa_memory_ordered 1
		.amdhsa_forward_progress 1
		.amdhsa_inst_pref_size 35
		.amdhsa_round_robin_scheduling 0
		.amdhsa_exception_fp_ieee_invalid_op 0
		.amdhsa_exception_fp_denorm_src 0
		.amdhsa_exception_fp_ieee_div_zero 0
		.amdhsa_exception_fp_ieee_overflow 0
		.amdhsa_exception_fp_ieee_underflow 0
		.amdhsa_exception_fp_ieee_inexact 0
		.amdhsa_exception_int_div_zero 0
	.end_amdhsa_kernel
	.section	.text._ZN2at6native12_GLOBAL__N_16kernel16gru_cell_forwardIN3c104HalfEfiLi2EEEvNS_4cuda6detail10TensorInfoIT_T1_EESB_SB_SB_SB_SB_SB_SA_SA_,"axG",@progbits,_ZN2at6native12_GLOBAL__N_16kernel16gru_cell_forwardIN3c104HalfEfiLi2EEEvNS_4cuda6detail10TensorInfoIT_T1_EESB_SB_SB_SB_SB_SB_SA_SA_,comdat
.Lfunc_end41:
	.size	_ZN2at6native12_GLOBAL__N_16kernel16gru_cell_forwardIN3c104HalfEfiLi2EEEvNS_4cuda6detail10TensorInfoIT_T1_EESB_SB_SB_SB_SB_SB_SA_SA_, .Lfunc_end41-_ZN2at6native12_GLOBAL__N_16kernel16gru_cell_forwardIN3c104HalfEfiLi2EEEvNS_4cuda6detail10TensorInfoIT_T1_EESB_SB_SB_SB_SB_SB_SA_SA_
                                        ; -- End function
	.set _ZN2at6native12_GLOBAL__N_16kernel16gru_cell_forwardIN3c104HalfEfiLi2EEEvNS_4cuda6detail10TensorInfoIT_T1_EESB_SB_SB_SB_SB_SB_SA_SA_.num_vgpr, 38
	.set _ZN2at6native12_GLOBAL__N_16kernel16gru_cell_forwardIN3c104HalfEfiLi2EEEvNS_4cuda6detail10TensorInfoIT_T1_EESB_SB_SB_SB_SB_SB_SA_SA_.num_agpr, 0
	.set _ZN2at6native12_GLOBAL__N_16kernel16gru_cell_forwardIN3c104HalfEfiLi2EEEvNS_4cuda6detail10TensorInfoIT_T1_EESB_SB_SB_SB_SB_SB_SA_SA_.numbered_sgpr, 62
	.set _ZN2at6native12_GLOBAL__N_16kernel16gru_cell_forwardIN3c104HalfEfiLi2EEEvNS_4cuda6detail10TensorInfoIT_T1_EESB_SB_SB_SB_SB_SB_SA_SA_.num_named_barrier, 0
	.set _ZN2at6native12_GLOBAL__N_16kernel16gru_cell_forwardIN3c104HalfEfiLi2EEEvNS_4cuda6detail10TensorInfoIT_T1_EESB_SB_SB_SB_SB_SB_SA_SA_.private_seg_size, 0
	.set _ZN2at6native12_GLOBAL__N_16kernel16gru_cell_forwardIN3c104HalfEfiLi2EEEvNS_4cuda6detail10TensorInfoIT_T1_EESB_SB_SB_SB_SB_SB_SA_SA_.uses_vcc, 1
	.set _ZN2at6native12_GLOBAL__N_16kernel16gru_cell_forwardIN3c104HalfEfiLi2EEEvNS_4cuda6detail10TensorInfoIT_T1_EESB_SB_SB_SB_SB_SB_SA_SA_.uses_flat_scratch, 0
	.set _ZN2at6native12_GLOBAL__N_16kernel16gru_cell_forwardIN3c104HalfEfiLi2EEEvNS_4cuda6detail10TensorInfoIT_T1_EESB_SB_SB_SB_SB_SB_SA_SA_.has_dyn_sized_stack, 0
	.set _ZN2at6native12_GLOBAL__N_16kernel16gru_cell_forwardIN3c104HalfEfiLi2EEEvNS_4cuda6detail10TensorInfoIT_T1_EESB_SB_SB_SB_SB_SB_SA_SA_.has_recursion, 0
	.set _ZN2at6native12_GLOBAL__N_16kernel16gru_cell_forwardIN3c104HalfEfiLi2EEEvNS_4cuda6detail10TensorInfoIT_T1_EESB_SB_SB_SB_SB_SB_SA_SA_.has_indirect_call, 0
	.section	.AMDGPU.csdata,"",@progbits
; Kernel info:
; codeLenInByte = 4380
; TotalNumSgprs: 64
; NumVgprs: 38
; ScratchSize: 0
; MemoryBound: 0
; FloatMode: 240
; IeeeMode: 1
; LDSByteSize: 0 bytes/workgroup (compile time only)
; SGPRBlocks: 0
; VGPRBlocks: 4
; NumSGPRsForWavesPerEU: 64
; NumVGPRsForWavesPerEU: 38
; Occupancy: 16
; WaveLimiterHint : 1
; COMPUTE_PGM_RSRC2:SCRATCH_EN: 0
; COMPUTE_PGM_RSRC2:USER_SGPR: 2
; COMPUTE_PGM_RSRC2:TRAP_HANDLER: 0
; COMPUTE_PGM_RSRC2:TGID_X_EN: 1
; COMPUTE_PGM_RSRC2:TGID_Y_EN: 0
; COMPUTE_PGM_RSRC2:TGID_Z_EN: 0
; COMPUTE_PGM_RSRC2:TIDIG_COMP_CNT: 0
	.section	.text._ZN2at6native12_GLOBAL__N_16kernel16gru_cell_forwardIN3c104HalfEflLi1EEEvNS_4cuda6detail10TensorInfoIT_T1_EESB_SB_SB_SB_SB_SB_SA_SA_,"axG",@progbits,_ZN2at6native12_GLOBAL__N_16kernel16gru_cell_forwardIN3c104HalfEflLi1EEEvNS_4cuda6detail10TensorInfoIT_T1_EESB_SB_SB_SB_SB_SB_SA_SA_,comdat
	.globl	_ZN2at6native12_GLOBAL__N_16kernel16gru_cell_forwardIN3c104HalfEflLi1EEEvNS_4cuda6detail10TensorInfoIT_T1_EESB_SB_SB_SB_SB_SB_SA_SA_ ; -- Begin function _ZN2at6native12_GLOBAL__N_16kernel16gru_cell_forwardIN3c104HalfEflLi1EEEvNS_4cuda6detail10TensorInfoIT_T1_EESB_SB_SB_SB_SB_SB_SA_SA_
	.p2align	8
	.type	_ZN2at6native12_GLOBAL__N_16kernel16gru_cell_forwardIN3c104HalfEflLi1EEEvNS_4cuda6detail10TensorInfoIT_T1_EESB_SB_SB_SB_SB_SB_SA_SA_,@function
_ZN2at6native12_GLOBAL__N_16kernel16gru_cell_forwardIN3c104HalfEflLi1EEEvNS_4cuda6detail10TensorInfoIT_T1_EESB_SB_SB_SB_SB_SB_SA_SA_: ; @_ZN2at6native12_GLOBAL__N_16kernel16gru_cell_forwardIN3c104HalfEflLi1EEEvNS_4cuda6detail10TensorInfoIT_T1_EESB_SB_SB_SB_SB_SB_SA_SA_
; %bb.0:
	s_clause 0x1
	s_load_b32 s2, s[0:1], 0xb7c
	s_load_b128 s[4:7], s[0:1], 0xb60
	v_mov_b32_e32 v1, 0
	s_wait_kmcnt 0x0
	s_and_b32 s26, s2, 0xffff
	s_mov_b32 s2, exec_lo
	s_delay_alu instid0(VALU_DEP_1) | instskip(SKIP_1) | instid1(VALU_DEP_1)
	v_mad_co_u64_u32 v[3:4], null, ttmp9, s26, v[0:1]
	v_mov_b32_e32 v4, v1
	v_cmpx_gt_i64_e64 s[6:7], v[3:4]
	s_cbranch_execz .LBB42_14
; %bb.1:
	s_clause 0x2
	s_load_b64 s[2:3], s[0:1], 0x340
	s_load_b64 s[36:37], s[0:1], 0x750
	;; [unrolled: 1-line block ×3, first 2 shown]
	s_add_nc_u64 s[8:9], s[0:1], 0xb70
	s_clause 0x1
	s_load_b64 s[40:41], s[0:1], 0x680
	s_load_b64 s[42:43], s[0:1], 0x820
	s_load_b32 s27, s[8:9], 0x0
	s_clause 0x8
	s_load_b64 s[8:9], s[0:1], 0x0
	s_load_b64 s[10:11], s[0:1], 0xd0
	;; [unrolled: 1-line block ×9, first 2 shown]
	s_mov_b32 s1, 0
	s_sub_nc_u64 s[34:35], 0, s[4:5]
	s_mov_b32 s44, 0
	s_wait_kmcnt 0x0
	s_mul_i32 s26, s27, s26
	s_wait_alu 0xfffe
	s_mov_b32 s27, s1
	s_cmp_lg_u64 s[2:3], 0
	v_mul_lo_u32 v0, 0, s36
	v_mul_lo_u32 v2, v3, s37
	v_mad_co_u64_u32 v[5:6], null, v3, s36, 0
	v_mul_lo_u32 v9, 0, s38
	v_mul_lo_u32 v10, v3, s39
	v_mad_co_u64_u32 v[7:8], null, v3, s38, 0
	s_wait_alu 0xfffe
	s_mul_u64 s[36:37], s[26:27], s[36:37]
	s_mul_u64 s[38:39], s[26:27], s[38:39]
	s_delay_alu instid0(VALU_DEP_4)
	v_add3_u32 v6, v6, v2, v0
	v_cvt_f32_u32_e32 v0, s4
	s_cselect_b32 s33, -1, 0
	s_lshl_b64 s[28:29], s[4:5], 1
	v_add3_u32 v8, v8, v10, v9
	v_lshlrev_b64_e32 v[5:6], 1, v[5:6]
	v_rcp_iflag_f32_e32 v0, v0
	s_lshl_b64 s[30:31], s[4:5], 2
	s_wait_alu 0xfffe
	s_lshl_b64 s[36:37], s[36:37], 1
	v_lshlrev_b64_e32 v[7:8], 1, v[7:8]
	s_lshl_b64 s[38:39], s[38:39], 1
	v_add_co_u32 v5, vcc_lo, s40, v5
	s_delay_alu instid0(VALU_DEP_1) | instskip(NEXT) | instid1(VALU_DEP_3)
	v_add_co_ci_u32_e64 v6, null, s41, v6, vcc_lo
	v_add_co_u32 v7, vcc_lo, s42, v7
	s_delay_alu instid0(TRANS32_DEP_1)
	v_mul_f32_e32 v0, 0x4f7ffffe, v0
	s_wait_alu 0xfffd
	v_add_co_ci_u32_e64 v8, null, s43, v8, vcc_lo
	s_ashr_i32 s40, s5, 31
	s_mov_b32 s27, 0xbbbac73d
	v_cvt_u32_f32_e32 v0, v0
	s_branch .LBB42_3
.LBB42_2:                               ;   in Loop: Header=BB42_3 Depth=1
	s_wait_alu 0xfffe
	s_or_b32 exec_lo, exec_lo, s0
	v_cvt_f32_f16_e32 v11, v11
	v_cvt_f32_f16_e32 v12, v12
	v_bfi_b32 v21, 0x7fffffff, v16, v15
	s_wait_loadcnt 0x0
	v_cvt_f32_f16_e32 v15, v2
	v_cvt_f16_f32_e32 v22, v14
	v_cvt_f16_f32_e32 v23, v13
	v_add_f32_e32 v11, v11, v12
	v_cvt_f16_f32_e32 v25, v21
	v_sub_f32_e32 v24, v15, v21
	s_delay_alu instid0(VALU_DEP_3) | instskip(SKIP_1) | instid1(VALU_DEP_2)
	v_add_f32_e32 v11, v11, v18
	v_mul_lo_u32 v18, s31, v9
	v_add_f32_e32 v19, v17, v11
	v_mad_co_u64_u32 v[11:12], null, s30, v9, v[3:4]
	v_mul_lo_u32 v17, s30, v10
	v_lshlrev_b64_e32 v[9:10], 2, v[9:10]
	s_delay_alu instid0(VALU_DEP_4) | instskip(NEXT) | instid1(VALU_DEP_4)
	v_mul_f32_e32 v20, 0xbfb8aa3b, v19
	v_mul_lo_u32 v31, v11, s25
	s_delay_alu instid0(VALU_DEP_2) | instskip(SKIP_4) | instid1(VALU_DEP_4)
	v_fma_f32 v14, 0xbfb8aa3b, v19, -v20
	v_rndne_f32_e32 v16, v20
	v_or_b32_e32 v15, 1, v9
	v_add3_u32 v30, v18, v12, v17
	v_add_co_u32 v28, vcc_lo, v9, 4
	v_dual_fmac_f32 v14, 0xb2a5705f, v19 :: v_dual_sub_f32 v13, v20, v16
	v_mul_lo_u32 v20, s4, v10
	v_or_b32_e32 v26, 2, v9
	v_or_b32_e32 v27, 3, v9
	s_wait_alu 0xfffd
	v_add_co_ci_u32_e64 v29, null, 0, v10, vcc_lo
	v_add_f32_e32 v13, v13, v14
	v_mad_co_u64_u32 v[9:10], null, v11, s24, 0
	v_mul_lo_u32 v32, s5, v15
	v_mad_co_u64_u32 v[11:12], null, s4, v15, v[3:4]
	s_delay_alu instid0(VALU_DEP_4)
	v_exp_f32_e32 v17, v13
	v_cvt_i32_f32_e32 v15, v16
	v_cmp_nlt_f32_e32 vcc_lo, 0x42ce8ed0, v19
	v_mul_lo_u32 v33, s5, v26
	v_mad_co_u64_u32 v[13:14], null, s4, v26, v[3:4]
	v_mul_lo_u32 v26, s5, v27
	v_mul_lo_u32 v34, s5, v28
	s_delay_alu instid0(TRANS32_DEP_1)
	v_ldexp_f32 v17, v17, v15
	v_mad_co_u64_u32 v[15:16], null, s4, v27, v[3:4]
	v_mul_lo_u32 v27, s4, v29
	v_add3_u32 v33, v33, v14, v20
	s_wait_alu 0xfffd
	v_cndmask_b32_e32 v29, 0, v17, vcc_lo
	v_cmp_ngt_f32_e32 vcc_lo, 0xc2b17218, v19
	v_mad_co_u64_u32 v[17:18], null, s4, v28, v[3:4]
	v_mul_lo_u32 v28, v30, s24
	v_mul_lo_u32 v35, v13, s25
	s_wait_alu 0xfffd
	v_cndmask_b32_e32 v19, 0x7f800000, v29, vcc_lo
	v_add3_u32 v29, v32, v12, v20
	v_add_co_u32 v3, vcc_lo, v3, s26
	s_wait_alu 0xfffd
	v_add_co_ci_u32_e64 v4, null, 0, v4, vcc_lo
	v_add_f32_e32 v19, 1.0, v19
	v_add3_u32 v10, v10, v31, v28
	v_mul_lo_u32 v28, v29, s24
	v_mul_lo_u32 v31, v33, s24
	v_add3_u32 v20, v26, v16, v20
	v_div_scale_f32 v32, null, v19, v19, 1.0
	v_div_scale_f32 v29, vcc_lo, 1.0, v19, 1.0
	v_add3_u32 v27, v34, v18, v27
	s_delay_alu instid0(VALU_DEP_3)
	v_rcp_f32_e32 v36, v32
	v_mad_co_u64_u32 v[13:14], null, v13, s24, 0
	v_mul_lo_u32 v26, v15, s25
	v_mad_co_u64_u32 v[15:16], null, v15, s24, 0
	v_mul_lo_u32 v20, v20, s24
	v_mul_lo_u32 v30, v11, s25
	v_mad_co_u64_u32 v[11:12], null, v11, s24, 0
	s_delay_alu instid0(TRANS32_DEP_1) | instskip(SKIP_3) | instid1(VALU_DEP_4)
	v_fma_f32 v37, -v32, v36, 1.0
	v_mul_lo_u32 v34, v17, s25
	v_mad_co_u64_u32 v[17:18], null, v17, s24, 0
	v_mul_lo_u32 v27, v27, s24
	v_fmac_f32_e32 v36, v37, v36
	v_add3_u32 v14, v14, v35, v31
	v_add3_u32 v16, v16, v26, v20
	;; [unrolled: 1-line block ×3, first 2 shown]
	v_lshlrev_b64_e32 v[9:10], 1, v[9:10]
	v_mul_f32_e32 v33, v29, v36
	v_lshlrev_b64_e32 v[13:14], 1, v[13:14]
	v_add3_u32 v18, v18, v34, v27
	v_lshlrev_b64_e32 v[15:16], 1, v[15:16]
	v_lshlrev_b64_e32 v[11:12], 1, v[11:12]
	v_fma_f32 v37, -v32, v33, v29
	v_add_co_u32 v9, s0, s22, v9
	v_lshlrev_b64_e32 v[17:18], 1, v[17:18]
	s_wait_alu 0xf1ff
	v_add_co_ci_u32_e64 v10, null, s23, v10, s0
	v_fmac_f32_e32 v33, v37, v36
	v_add_co_u32 v11, s0, s22, v11
	s_wait_alu 0xf1ff
	v_add_co_ci_u32_e64 v12, null, s23, v12, s0
	s_delay_alu instid0(VALU_DEP_3) | instskip(SKIP_1) | instid1(VALU_DEP_1)
	v_fma_f32 v20, -v32, v33, v29
	s_wait_alu 0xfffd
	v_div_fmas_f32 v20, v20, v36, v33
	v_add_co_u32 v13, vcc_lo, s22, v13
	s_wait_alu 0xfffd
	v_add_co_ci_u32_e64 v14, null, s23, v14, vcc_lo
	s_delay_alu instid0(VALU_DEP_3) | instskip(SKIP_3) | instid1(VALU_DEP_3)
	v_div_fixup_f32 v19, v20, v19, 1.0
	v_add_co_u32 v15, vcc_lo, s22, v15
	s_wait_alu 0xfffd
	v_add_co_ci_u32_e64 v16, null, s23, v16, vcc_lo
	v_fma_mixlo_f16 v20, v19, v24, v21
	v_add_co_u32 v17, vcc_lo, s22, v17
	v_cvt_f16_f32_e32 v19, v19
	s_wait_alu 0xfffd
	v_add_co_ci_u32_e64 v18, null, s23, v18, vcc_lo
	v_add_co_u32 v5, vcc_lo, v5, s36
	s_wait_alu 0xfffd
	v_add_co_ci_u32_e64 v6, null, s37, v6, vcc_lo
	v_cmp_le_i64_e32 vcc_lo, s[6:7], v[3:4]
	global_store_b16 v[7:8], v20, off
	s_clause 0x1
	global_store_b16 v[9:10], v22, off
	global_store_b16 v[11:12], v19, off
	v_add_co_u32 v7, s0, v7, s38
	s_wait_alu 0xf1ff
	v_add_co_ci_u32_e64 v8, null, s39, v8, s0
	s_or_b32 s44, vcc_lo, s44
	s_clause 0x2
	global_store_b16 v[13:14], v25, off
	global_store_b16 v[15:16], v2, off
	;; [unrolled: 1-line block ×3, first 2 shown]
	s_and_not1_b32 exec_lo, exec_lo, s44
	s_cbranch_execz .LBB42_14
.LBB42_3:                               ; =>This Inner Loop Header: Depth=1
	v_or_b32_e32 v2, s5, v4
                                        ; implicit-def: $vgpr9_vgpr10
	s_mov_b32 s0, exec_lo
	s_delay_alu instid0(VALU_DEP_1)
	v_cmpx_ne_u64_e32 0, v[1:2]
	s_wait_alu 0xfffe
	s_xor_b32 s45, exec_lo, s0
	s_cbranch_execz .LBB42_5
; %bb.4:                                ;   in Loop: Header=BB42_3 Depth=1
	s_mov_b32 s41, s40
	v_ashrrev_i32_e32 v2, 31, v4
	s_wait_alu 0xfffe
	s_add_nc_u64 s[42:43], s[4:5], s[40:41]
	s_wait_alu 0xfffe
	s_xor_b64 s[42:43], s[42:43], s[40:41]
	v_add_co_u32 v9, vcc_lo, v3, v2
	s_wait_alu 0xfffe
	s_cvt_f32_u32 s0, s42
	s_cvt_f32_u32 s41, s43
	s_sub_nc_u64 s[48:49], 0, s[42:43]
	s_wait_alu 0xfffd
	v_add_co_ci_u32_e64 v10, null, v4, v2, vcc_lo
	s_wait_alu 0xfffe
	s_fmamk_f32 s0, s41, 0x4f800000, s0
	v_xor_b32_e32 v15, v9, v2
	s_delay_alu instid0(VALU_DEP_2) | instskip(SKIP_3) | instid1(TRANS32_DEP_1)
	v_xor_b32_e32 v16, v10, v2
	s_wait_alu 0xfffe
	v_s_rcp_f32 s0, s0
	v_xor_b32_e32 v2, s40, v2
	s_mul_f32 s0, s0, 0x5f7ffffc
	s_wait_alu 0xfffe
	s_delay_alu instid0(SALU_CYCLE_2) | instskip(SKIP_1) | instid1(SALU_CYCLE_2)
	s_mul_f32 s41, s0, 0x2f800000
	s_wait_alu 0xfffe
	s_trunc_f32 s41, s41
	s_wait_alu 0xfffe
	s_delay_alu instid0(SALU_CYCLE_2) | instskip(SKIP_2) | instid1(SALU_CYCLE_1)
	s_fmamk_f32 s0, s41, 0xcf800000, s0
	s_cvt_u32_f32 s47, s41
	s_wait_alu 0xfffe
	s_cvt_u32_f32 s46, s0
	s_delay_alu instid0(SALU_CYCLE_3) | instskip(NEXT) | instid1(SALU_CYCLE_1)
	s_mul_u64 s[50:51], s[48:49], s[46:47]
	s_mul_hi_u32 s53, s46, s51
	s_mul_i32 s52, s46, s51
	s_mul_hi_u32 s0, s46, s50
	s_mul_i32 s54, s47, s50
	s_wait_alu 0xfffe
	s_add_nc_u64 s[52:53], s[0:1], s[52:53]
	s_mul_hi_u32 s41, s47, s50
	s_mul_hi_u32 s55, s47, s51
	s_add_co_u32 s0, s52, s54
	s_wait_alu 0xfffe
	s_add_co_ci_u32 s0, s53, s41
	s_mul_i32 s50, s47, s51
	s_add_co_ci_u32 s51, s55, 0
	s_wait_alu 0xfffe
	s_add_nc_u64 s[50:51], s[0:1], s[50:51]
	s_delay_alu instid0(SALU_CYCLE_1) | instskip(SKIP_4) | instid1(SALU_CYCLE_1)
	s_add_co_u32 s46, s46, s50
	s_cselect_b32 s0, -1, 0
	s_wait_alu 0xfffe
	s_cmp_lg_u32 s0, 0
	s_add_co_ci_u32 s47, s47, s51
	s_mul_u64 s[48:49], s[48:49], s[46:47]
	s_delay_alu instid0(SALU_CYCLE_1)
	s_mul_hi_u32 s51, s46, s49
	s_mul_i32 s50, s46, s49
	s_mul_hi_u32 s0, s46, s48
	s_mul_i32 s52, s47, s48
	s_wait_alu 0xfffe
	s_add_nc_u64 s[50:51], s[0:1], s[50:51]
	s_mul_hi_u32 s41, s47, s48
	s_mul_hi_u32 s53, s47, s49
	s_add_co_u32 s0, s50, s52
	s_wait_alu 0xfffe
	s_add_co_ci_u32 s0, s51, s41
	s_mul_i32 s48, s47, s49
	s_add_co_ci_u32 s49, s53, 0
	s_wait_alu 0xfffe
	s_add_nc_u64 s[48:49], s[0:1], s[48:49]
	s_delay_alu instid0(SALU_CYCLE_1)
	s_add_co_u32 s0, s46, s48
	s_cselect_b32 s41, -1, 0
	s_wait_alu 0xfffe
	v_mul_hi_u32 v17, v15, s0
	s_cmp_lg_u32 s41, 0
	v_mad_co_u64_u32 v[11:12], null, v16, s0, 0
	s_add_co_ci_u32 s41, s47, s49
	s_wait_alu 0xfffe
	v_mad_co_u64_u32 v[9:10], null, v15, s41, 0
	v_mad_co_u64_u32 v[13:14], null, v16, s41, 0
	s_delay_alu instid0(VALU_DEP_2) | instskip(SKIP_1) | instid1(VALU_DEP_3)
	v_add_co_u32 v9, vcc_lo, v17, v9
	s_wait_alu 0xfffd
	v_add_co_ci_u32_e64 v10, null, 0, v10, vcc_lo
	s_delay_alu instid0(VALU_DEP_2) | instskip(SKIP_1) | instid1(VALU_DEP_2)
	v_add_co_u32 v9, vcc_lo, v9, v11
	s_wait_alu 0xfffd
	v_add_co_ci_u32_e32 v9, vcc_lo, v10, v12, vcc_lo
	s_wait_alu 0xfffd
	v_add_co_ci_u32_e32 v10, vcc_lo, 0, v14, vcc_lo
	s_delay_alu instid0(VALU_DEP_2) | instskip(SKIP_1) | instid1(VALU_DEP_2)
	v_add_co_u32 v11, vcc_lo, v9, v13
	s_wait_alu 0xfffd
	v_add_co_ci_u32_e64 v12, null, 0, v10, vcc_lo
	s_delay_alu instid0(VALU_DEP_2) | instskip(SKIP_1) | instid1(VALU_DEP_3)
	v_mul_lo_u32 v13, s43, v11
	v_mad_co_u64_u32 v[9:10], null, s42, v11, 0
	v_mul_lo_u32 v14, s42, v12
	s_delay_alu instid0(VALU_DEP_2) | instskip(NEXT) | instid1(VALU_DEP_2)
	v_sub_co_u32 v9, vcc_lo, v15, v9
	v_add3_u32 v10, v10, v14, v13
	v_add_co_u32 v14, s0, v11, 2
	s_wait_alu 0xf1ff
	v_add_co_ci_u32_e64 v15, null, 0, v12, s0
	s_delay_alu instid0(VALU_DEP_3) | instskip(SKIP_3) | instid1(VALU_DEP_3)
	v_sub_nc_u32_e32 v13, v16, v10
	v_sub_co_u32 v17, s0, v9, s42
	s_wait_alu 0xfffd
	v_sub_co_ci_u32_e64 v10, null, v16, v10, vcc_lo
	v_subrev_co_ci_u32_e64 v13, null, s43, v13, vcc_lo
	s_delay_alu instid0(VALU_DEP_3) | instskip(SKIP_1) | instid1(VALU_DEP_2)
	v_cmp_le_u32_e32 vcc_lo, s42, v17
	s_wait_alu 0xf1ff
	v_subrev_co_ci_u32_e64 v13, null, 0, v13, s0
	s_wait_alu 0xfffd
	v_cndmask_b32_e64 v16, 0, -1, vcc_lo
	s_delay_alu instid0(VALU_DEP_2)
	v_cmp_le_u32_e32 vcc_lo, s43, v13
	s_wait_alu 0xfffd
	v_cndmask_b32_e64 v17, 0, -1, vcc_lo
	v_cmp_le_u32_e32 vcc_lo, s42, v9
	s_wait_alu 0xfffd
	v_cndmask_b32_e64 v9, 0, -1, vcc_lo
	;; [unrolled: 3-line block ×3, first 2 shown]
	v_cmp_eq_u32_e32 vcc_lo, s43, v13
	s_wait_alu 0xfffd
	v_cndmask_b32_e32 v13, v17, v16, vcc_lo
	v_add_co_u32 v16, vcc_lo, v11, 1
	s_wait_alu 0xfffd
	v_add_co_ci_u32_e64 v17, null, 0, v12, vcc_lo
	v_cmp_eq_u32_e32 vcc_lo, s43, v10
	s_wait_alu 0xfffd
	v_cndmask_b32_e32 v9, v18, v9, vcc_lo
	v_cmp_ne_u32_e32 vcc_lo, 0, v13
	s_wait_alu 0xfffd
	v_cndmask_b32_e32 v10, v17, v15, vcc_lo
	s_delay_alu instid0(VALU_DEP_3) | instskip(SKIP_2) | instid1(VALU_DEP_2)
	v_cmp_ne_u32_e64 s0, 0, v9
	v_cndmask_b32_e32 v9, v16, v14, vcc_lo
	s_wait_alu 0xf1ff
	v_cndmask_b32_e64 v10, v12, v10, s0
	s_delay_alu instid0(VALU_DEP_2) | instskip(NEXT) | instid1(VALU_DEP_2)
	v_cndmask_b32_e64 v9, v11, v9, s0
	v_xor_b32_e32 v10, v10, v2
	s_delay_alu instid0(VALU_DEP_2) | instskip(NEXT) | instid1(VALU_DEP_1)
	v_xor_b32_e32 v9, v9, v2
	v_sub_co_u32 v9, vcc_lo, v9, v2
	s_wait_alu 0xfffd
	s_delay_alu instid0(VALU_DEP_3)
	v_sub_co_ci_u32_e64 v10, null, v10, v2, vcc_lo
.LBB42_5:                               ;   in Loop: Header=BB42_3 Depth=1
	s_and_not1_saveexec_b32 s0, s45
	s_cbranch_execz .LBB42_7
; %bb.6:                                ;   in Loop: Header=BB42_3 Depth=1
	s_sub_co_i32 s41, 0, s4
	s_wait_alu 0xfffe
	v_mul_lo_u32 v2, s41, v0
	s_delay_alu instid0(VALU_DEP_1) | instskip(NEXT) | instid1(VALU_DEP_1)
	v_mul_hi_u32 v2, v0, v2
	v_add_nc_u32_e32 v2, v0, v2
	s_delay_alu instid0(VALU_DEP_1) | instskip(NEXT) | instid1(VALU_DEP_1)
	v_mul_hi_u32 v2, v3, v2
	v_mul_lo_u32 v9, v2, s4
	v_add_nc_u32_e32 v10, 1, v2
	s_delay_alu instid0(VALU_DEP_2) | instskip(NEXT) | instid1(VALU_DEP_1)
	v_sub_nc_u32_e32 v9, v3, v9
	v_subrev_nc_u32_e32 v11, s4, v9
	v_cmp_le_u32_e32 vcc_lo, s4, v9
	s_wait_alu 0xfffd
	s_delay_alu instid0(VALU_DEP_2) | instskip(NEXT) | instid1(VALU_DEP_1)
	v_dual_cndmask_b32 v9, v9, v11 :: v_dual_cndmask_b32 v2, v2, v10
	v_cmp_le_u32_e32 vcc_lo, s4, v9
	s_delay_alu instid0(VALU_DEP_2) | instskip(SKIP_1) | instid1(VALU_DEP_1)
	v_add_nc_u32_e32 v10, 1, v2
	s_wait_alu 0xfffd
	v_dual_cndmask_b32 v9, v2, v10 :: v_dual_mov_b32 v10, v1
.LBB42_7:                               ;   in Loop: Header=BB42_3 Depth=1
	s_wait_alu 0xfffe
	s_or_b32 exec_lo, exec_lo, s0
	s_delay_alu instid0(VALU_DEP_1) | instskip(SKIP_3) | instid1(VALU_DEP_4)
	v_lshlrev_b64_e32 v[13:14], 1, v[9:10]
	v_mad_co_u64_u32 v[11:12], null, s28, v9, v[3:4]
	v_mul_lo_u32 v2, s28, v10
	v_mul_lo_u32 v15, s29, v9
	v_or_b32_e32 v16, 1, v13
	v_mul_lo_u32 v17, s4, v14
	v_add_co_u32 v20, vcc_lo, v13, 2
	v_mul_lo_u32 v18, v11, s11
	s_delay_alu instid0(VALU_DEP_4) | instskip(SKIP_3) | instid1(VALU_DEP_3)
	v_mul_lo_u32 v19, s5, v16
	v_add3_u32 v2, v15, v12, v2
	v_mad_co_u64_u32 v[15:16], null, s4, v16, v[3:4]
	v_mad_co_u64_u32 v[12:13], null, v11, s10, 0
	v_mul_lo_u32 v21, v2, s10
	s_wait_alu 0xfffd
	v_add_co_ci_u32_e64 v14, null, 0, v14, vcc_lo
	v_mul_lo_u32 v22, s5, v20
	v_add3_u32 v23, v19, v16, v17
	v_mad_co_u64_u32 v[16:17], null, s4, v20, v[3:4]
	s_delay_alu instid0(VALU_DEP_4) | instskip(SKIP_1) | instid1(VALU_DEP_4)
	v_mul_lo_u32 v14, s4, v14
	v_add3_u32 v13, v13, v18, v21
	v_mul_lo_u32 v20, v23, s10
	v_mul_lo_u32 v21, v15, s11
	v_mad_co_u64_u32 v[18:19], null, v15, s10, 0
	v_mul_lo_u32 v25, v16, s11
	v_mul_lo_u32 v26, v11, s15
	v_add3_u32 v24, v22, v17, v14
	v_mul_lo_u32 v2, v2, s14
	v_lshlrev_b64_e32 v[12:13], 1, v[12:13]
	v_add3_u32 v19, v19, v21, v20
	s_delay_alu instid0(VALU_DEP_4) | instskip(SKIP_2) | instid1(VALU_DEP_4)
	v_mul_lo_u32 v14, v24, s10
	v_mad_co_u64_u32 v[21:22], null, v11, s14, 0
	v_mul_lo_u32 v11, v23, s14
	v_lshlrev_b64_e32 v[17:18], 1, v[18:19]
	v_mad_co_u64_u32 v[19:20], null, v16, s10, 0
	v_add_co_u32 v12, vcc_lo, s8, v12
	v_add3_u32 v22, v22, v26, v2
	v_mul_lo_u32 v2, v24, s14
	v_mul_lo_u32 v26, v16, s15
	v_mad_co_u64_u32 v[23:24], null, v16, s14, 0
	v_add3_u32 v20, v20, v25, v14
	v_mul_lo_u32 v25, v15, s15
	v_mad_co_u64_u32 v[14:15], null, v15, s14, 0
	v_lshlrev_b64_e32 v[21:22], 1, v[21:22]
	s_delay_alu instid0(VALU_DEP_4)
	v_lshlrev_b64_e32 v[19:20], 1, v[19:20]
	v_add3_u32 v24, v24, v26, v2
	s_wait_alu 0xfffd
	v_add_co_ci_u32_e64 v13, null, s9, v13, vcc_lo
	v_add_co_u32 v17, vcc_lo, s8, v17
	v_add3_u32 v15, v15, v25, v11
	s_wait_alu 0xfffd
	v_add_co_ci_u32_e64 v18, null, s9, v18, vcc_lo
	v_add_co_u32 v19, vcc_lo, s8, v19
	s_delay_alu instid0(VALU_DEP_3)
	v_lshlrev_b64_e32 v[14:15], 1, v[14:15]
	v_lshlrev_b64_e32 v[23:24], 1, v[23:24]
	s_wait_alu 0xfffd
	v_add_co_ci_u32_e64 v20, null, s9, v20, vcc_lo
	v_add_co_u32 v21, vcc_lo, s12, v21
	s_wait_alu 0xfffd
	v_add_co_ci_u32_e64 v22, null, s13, v22, vcc_lo
	v_add_co_u32 v25, vcc_lo, s12, v14
	;; [unrolled: 3-line block ×3, first 2 shown]
	s_wait_alu 0xfffd
	v_add_co_ci_u32_e64 v24, null, s13, v24, vcc_lo
	s_clause 0x2
	global_load_u16 v15, v[12:13], off
	global_load_u16 v11, v[17:18], off
	;; [unrolled: 1-line block ×3, first 2 shown]
	s_clause 0x2
	global_load_u16 v16, v[21:22], off
	global_load_u16 v12, v[25:26], off
	;; [unrolled: 1-line block ×4, first 2 shown]
	s_and_not1_b32 vcc_lo, exec_lo, s33
	s_wait_alu 0xfffe
	s_cbranch_vccnz .LBB42_9
; %bb.8:                                ;   in Loop: Header=BB42_3 Depth=1
	v_mad_co_u64_u32 v[17:18], null, s34, v9, v[3:4]
	v_mul_lo_u32 v19, s34, v10
	v_mul_lo_u32 v20, s35, v9
	v_sub_co_u32 v21, vcc_lo, 1, v9
	s_wait_alu 0xfffd
	v_sub_co_ci_u32_e64 v22, null, 0, v10, vcc_lo
	v_mul_lo_u32 v23, v17, s17
	s_delay_alu instid0(VALU_DEP_3)
	v_mul_lo_u32 v24, s5, v21
	v_mul_lo_u32 v31, v17, s21
	v_add3_u32 v25, v20, v18, v19
	v_mad_co_u64_u32 v[18:19], null, v17, s16, 0
	v_mul_lo_u32 v22, s4, v22
	v_mad_co_u64_u32 v[20:21], null, s4, v21, v[3:4]
	s_delay_alu instid0(VALU_DEP_4) | instskip(SKIP_1) | instid1(VALU_DEP_3)
	v_mul_lo_u32 v26, v25, s16
	v_mul_lo_u32 v32, v25, s20
	v_add3_u32 v27, v24, v21, v22
	s_delay_alu instid0(VALU_DEP_4) | instskip(NEXT) | instid1(VALU_DEP_4)
	v_mad_co_u64_u32 v[21:22], null, v20, s16, 0
	v_add3_u32 v19, v19, v23, v26
	v_sub_co_u32 v23, vcc_lo, 2, v9
	s_wait_alu 0xfffd
	v_sub_co_ci_u32_e64 v24, null, 0, v10, vcc_lo
	v_mul_lo_u32 v26, v20, s17
	v_mul_lo_u32 v28, v27, s16
	v_lshlrev_b64_e32 v[18:19], 1, v[18:19]
	s_delay_alu instid0(VALU_DEP_4) | instskip(SKIP_2) | instid1(VALU_DEP_4)
	v_mul_lo_u32 v29, s4, v24
	v_mul_lo_u32 v30, s5, v23
	v_mad_co_u64_u32 v[23:24], null, s4, v23, v[3:4]
	v_add_co_u32 v18, vcc_lo, s2, v18
	s_wait_alu 0xfffd
	v_add_co_ci_u32_e64 v19, null, s3, v19, vcc_lo
	v_add3_u32 v22, v22, v26, v28
	s_delay_alu instid0(VALU_DEP_4)
	v_add3_u32 v26, v30, v24, v29
	v_mul_lo_u32 v30, v23, s17
	global_load_u16 v28, v[18:19], off
	v_mad_co_u64_u32 v[24:25], null, v17, s20, 0
	v_lshlrev_b64_e32 v[18:19], 1, v[21:22]
	v_mul_lo_u32 v29, v26, s16
	v_mad_co_u64_u32 v[21:22], null, v23, s16, 0
	s_delay_alu instid0(VALU_DEP_3) | instskip(SKIP_1) | instid1(VALU_DEP_4)
	v_add_co_u32 v17, vcc_lo, s2, v18
	s_wait_alu 0xfffd
	v_add_co_ci_u32_e64 v18, null, s3, v19, vcc_lo
	s_delay_alu instid0(VALU_DEP_3)
	v_add3_u32 v22, v22, v30, v29
	v_mul_lo_u32 v29, v27, s20
	v_mul_lo_u32 v30, v20, s21
	v_mad_co_u64_u32 v[19:20], null, v20, s20, 0
	v_add3_u32 v25, v25, v31, v32
	v_mul_lo_u32 v31, v26, s20
	v_mul_lo_u32 v32, v23, s21
	v_mad_co_u64_u32 v[26:27], null, v23, s20, 0
	v_lshlrev_b64_e32 v[21:22], 1, v[21:22]
	v_add3_u32 v20, v20, v30, v29
	v_lshlrev_b64_e32 v[23:24], 1, v[24:25]
	s_delay_alu instid0(VALU_DEP_4) | instskip(NEXT) | instid1(VALU_DEP_3)
	v_add3_u32 v27, v27, v32, v31
	v_lshlrev_b64_e32 v[19:20], 1, v[19:20]
	v_add_co_u32 v21, vcc_lo, s2, v21
	s_wait_alu 0xfffd
	v_add_co_ci_u32_e64 v22, null, s3, v22, vcc_lo
	v_lshlrev_b64_e32 v[25:26], 1, v[26:27]
	v_add_co_u32 v23, vcc_lo, s18, v23
	s_wait_alu 0xfffd
	v_add_co_ci_u32_e64 v24, null, s19, v24, vcc_lo
	v_add_co_u32 v19, vcc_lo, s18, v19
	s_wait_alu 0xfffd
	v_add_co_ci_u32_e64 v20, null, s19, v20, vcc_lo
	;; [unrolled: 3-line block ×3, first 2 shown]
	global_load_u16 v23, v[23:24], off
	global_load_u16 v17, v[17:18], off
	;; [unrolled: 1-line block ×5, first 2 shown]
	s_wait_loadcnt 0x5
	v_cvt_f32_f16_e32 v22, v28
	s_wait_loadcnt 0x4
	v_cvt_f32_f16_e32 v21, v23
	;; [unrolled: 2-line block ×6, first 2 shown]
	s_branch .LBB42_10
.LBB42_9:                               ;   in Loop: Header=BB42_3 Depth=1
	v_dual_mov_b32 v19, 0 :: v_dual_mov_b32 v20, 0
	v_dual_mov_b32 v17, 0 :: v_dual_mov_b32 v18, 0
	;; [unrolled: 1-line block ×3, first 2 shown]
.LBB42_10:                              ;   in Loop: Header=BB42_3 Depth=1
	s_wait_loadcnt 0x6
	v_cvt_f32_f16_e32 v15, v15
	s_wait_loadcnt 0x3
	v_cvt_f32_f16_e32 v16, v16
	v_cvt_f32_f16_e32 v13, v13
	s_delay_alu instid0(VALU_DEP_2) | instskip(NEXT) | instid1(VALU_DEP_1)
	v_add_f32_e32 v15, v15, v16
	v_add_f32_e32 v15, v15, v22
	s_delay_alu instid0(VALU_DEP_1) | instskip(NEXT) | instid1(VALU_DEP_1)
	v_add_f32_e32 v15, v21, v15
	v_mul_f32_e32 v16, 0xbfb8aa3b, v15
	v_cmp_nlt_f32_e32 vcc_lo, 0x42ce8ed0, v15
	s_delay_alu instid0(VALU_DEP_2) | instskip(SKIP_1) | instid1(VALU_DEP_1)
	v_fma_f32 v21, 0xbfb8aa3b, v15, -v16
	v_rndne_f32_e32 v22, v16
	v_dual_fmac_f32 v21, 0xb2a5705f, v15 :: v_dual_sub_f32 v16, v16, v22
	s_delay_alu instid0(VALU_DEP_1) | instskip(SKIP_1) | instid1(VALU_DEP_2)
	v_add_f32_e32 v16, v16, v21
	v_cvt_i32_f32_e32 v21, v22
	v_exp_f32_e32 v16, v16
	s_delay_alu instid0(TRANS32_DEP_1) | instskip(SKIP_1) | instid1(VALU_DEP_1)
	v_ldexp_f32 v16, v16, v21
	s_wait_alu 0xfffd
	v_cndmask_b32_e32 v16, 0, v16, vcc_lo
	v_cmp_ngt_f32_e32 vcc_lo, 0xc2b17218, v15
	s_wait_alu 0xfffd
	s_delay_alu instid0(VALU_DEP_2) | instskip(NEXT) | instid1(VALU_DEP_1)
	v_cndmask_b32_e32 v15, 0x7f800000, v16, vcc_lo
	v_add_f32_e32 v16, 1.0, v15
	s_delay_alu instid0(VALU_DEP_1) | instskip(SKIP_1) | instid1(VALU_DEP_2)
	v_div_scale_f32 v15, null, v16, v16, 1.0
	v_div_scale_f32 v23, vcc_lo, 1.0, v16, 1.0
	v_rcp_f32_e32 v21, v15
	s_delay_alu instid0(TRANS32_DEP_1) | instskip(NEXT) | instid1(VALU_DEP_1)
	v_fma_f32 v22, -v15, v21, 1.0
	v_fmac_f32_e32 v21, v22, v21
	s_delay_alu instid0(VALU_DEP_1) | instskip(NEXT) | instid1(VALU_DEP_1)
	v_mul_f32_e32 v22, v23, v21
	v_fma_f32 v24, -v15, v22, v23
	s_delay_alu instid0(VALU_DEP_1) | instskip(NEXT) | instid1(VALU_DEP_1)
	v_fmac_f32_e32 v22, v24, v21
	v_fma_f32 v15, -v15, v22, v23
	s_wait_alu 0xfffd
	s_delay_alu instid0(VALU_DEP_1) | instskip(SKIP_3) | instid1(VALU_DEP_3)
	v_div_fmas_f32 v21, v15, v21, v22
	s_wait_loadcnt 0x1
	v_cvt_f32_f16_e32 v22, v14
	v_add_f32_e32 v15, v20, v13
	v_div_fixup_f32 v14, v21, v16, 1.0
	s_delay_alu instid0(VALU_DEP_3) | instskip(NEXT) | instid1(VALU_DEP_1)
	v_add_f32_e32 v13, v19, v22
                                        ; implicit-def: $vgpr16
	v_fmac_f32_e32 v15, v13, v14
	s_delay_alu instid0(VALU_DEP_1)
	v_cmp_ngt_f32_e64 s0, 0x3f200000, |v15|
	s_and_saveexec_b32 s41, s0
	s_wait_alu 0xfffe
	s_xor_b32 s0, exec_lo, s41
	s_cbranch_execz .LBB42_12
; %bb.11:                               ;   in Loop: Header=BB42_3 Depth=1
	v_add_f32_e64 v16, |v15|, |v15|
	s_delay_alu instid0(VALU_DEP_1) | instskip(SKIP_1) | instid1(VALU_DEP_2)
	v_mul_f32_e32 v19, 0x3fb8aa3b, v16
	v_cmp_ngt_f32_e32 vcc_lo, 0xc2ce8ed0, v16
	v_rndne_f32_e32 v20, v19
	v_fma_f32 v21, 0x3fb8aa3b, v16, -v19
	s_delay_alu instid0(VALU_DEP_2) | instskip(NEXT) | instid1(VALU_DEP_2)
	v_sub_f32_e32 v19, v19, v20
	v_fmac_f32_e32 v21, 0x32a5705f, v16
	v_cvt_i32_f32_e32 v20, v20
	s_delay_alu instid0(VALU_DEP_2) | instskip(NEXT) | instid1(VALU_DEP_1)
	v_add_f32_e32 v19, v19, v21
	v_exp_f32_e32 v19, v19
	s_delay_alu instid0(TRANS32_DEP_1) | instskip(SKIP_1) | instid1(VALU_DEP_1)
	v_ldexp_f32 v19, v19, v20
	s_wait_alu 0xfffd
	v_cndmask_b32_e32 v19, 0, v19, vcc_lo
	v_cmp_nlt_f32_e32 vcc_lo, 0x42b17218, v16
	s_wait_alu 0xfffd
	s_delay_alu instid0(VALU_DEP_2) | instskip(NEXT) | instid1(VALU_DEP_1)
	v_cndmask_b32_e32 v16, 0x7f800000, v19, vcc_lo
	v_add_f32_e32 v16, 1.0, v16
	s_delay_alu instid0(VALU_DEP_1) | instskip(NEXT) | instid1(TRANS32_DEP_1)
	v_rcp_f32_e32 v16, v16
	v_fma_f32 v16, v16, -2.0, 1.0
.LBB42_12:                              ;   in Loop: Header=BB42_3 Depth=1
	s_wait_alu 0xfffe
	s_and_not1_saveexec_b32 s0, s0
	s_cbranch_execz .LBB42_2
; %bb.13:                               ;   in Loop: Header=BB42_3 Depth=1
	v_mul_f32_e32 v16, v15, v15
	s_delay_alu instid0(VALU_DEP_1) | instskip(NEXT) | instid1(VALU_DEP_1)
	v_fmaak_f32 v19, s27, v16, 0x3ca908c9
	v_fmaak_f32 v19, v16, v19, 0xbd5c1c4e
	s_delay_alu instid0(VALU_DEP_1) | instskip(NEXT) | instid1(VALU_DEP_1)
	v_fmaak_f32 v19, v16, v19, 0x3e088382
	v_fmaak_f32 v19, v16, v19, 0xbeaaaa99
	s_delay_alu instid0(VALU_DEP_1) | instskip(NEXT) | instid1(VALU_DEP_1)
	v_mul_f32_e64 v19, |v15|, v19
	v_fma_f32 v16, v16, v19, |v15|
	s_branch .LBB42_2
.LBB42_14:
	s_endpgm
	.section	.rodata,"a",@progbits
	.p2align	6, 0x0
	.amdhsa_kernel _ZN2at6native12_GLOBAL__N_16kernel16gru_cell_forwardIN3c104HalfEflLi1EEEvNS_4cuda6detail10TensorInfoIT_T1_EESB_SB_SB_SB_SB_SB_SA_SA_
		.amdhsa_group_segment_fixed_size 0
		.amdhsa_private_segment_fixed_size 0
		.amdhsa_kernarg_size 3184
		.amdhsa_user_sgpr_count 2
		.amdhsa_user_sgpr_dispatch_ptr 0
		.amdhsa_user_sgpr_queue_ptr 0
		.amdhsa_user_sgpr_kernarg_segment_ptr 1
		.amdhsa_user_sgpr_dispatch_id 0
		.amdhsa_user_sgpr_private_segment_size 0
		.amdhsa_wavefront_size32 1
		.amdhsa_uses_dynamic_stack 0
		.amdhsa_enable_private_segment 0
		.amdhsa_system_sgpr_workgroup_id_x 1
		.amdhsa_system_sgpr_workgroup_id_y 0
		.amdhsa_system_sgpr_workgroup_id_z 0
		.amdhsa_system_sgpr_workgroup_info 0
		.amdhsa_system_vgpr_workitem_id 0
		.amdhsa_next_free_vgpr 38
		.amdhsa_next_free_sgpr 56
		.amdhsa_reserve_vcc 1
		.amdhsa_float_round_mode_32 0
		.amdhsa_float_round_mode_16_64 0
		.amdhsa_float_denorm_mode_32 3
		.amdhsa_float_denorm_mode_16_64 3
		.amdhsa_fp16_overflow 0
		.amdhsa_workgroup_processor_mode 1
		.amdhsa_memory_ordered 1
		.amdhsa_forward_progress 1
		.amdhsa_inst_pref_size 32
		.amdhsa_round_robin_scheduling 0
		.amdhsa_exception_fp_ieee_invalid_op 0
		.amdhsa_exception_fp_denorm_src 0
		.amdhsa_exception_fp_ieee_div_zero 0
		.amdhsa_exception_fp_ieee_overflow 0
		.amdhsa_exception_fp_ieee_underflow 0
		.amdhsa_exception_fp_ieee_inexact 0
		.amdhsa_exception_int_div_zero 0
	.end_amdhsa_kernel
	.section	.text._ZN2at6native12_GLOBAL__N_16kernel16gru_cell_forwardIN3c104HalfEflLi1EEEvNS_4cuda6detail10TensorInfoIT_T1_EESB_SB_SB_SB_SB_SB_SA_SA_,"axG",@progbits,_ZN2at6native12_GLOBAL__N_16kernel16gru_cell_forwardIN3c104HalfEflLi1EEEvNS_4cuda6detail10TensorInfoIT_T1_EESB_SB_SB_SB_SB_SB_SA_SA_,comdat
.Lfunc_end42:
	.size	_ZN2at6native12_GLOBAL__N_16kernel16gru_cell_forwardIN3c104HalfEflLi1EEEvNS_4cuda6detail10TensorInfoIT_T1_EESB_SB_SB_SB_SB_SB_SA_SA_, .Lfunc_end42-_ZN2at6native12_GLOBAL__N_16kernel16gru_cell_forwardIN3c104HalfEflLi1EEEvNS_4cuda6detail10TensorInfoIT_T1_EESB_SB_SB_SB_SB_SB_SA_SA_
                                        ; -- End function
	.set _ZN2at6native12_GLOBAL__N_16kernel16gru_cell_forwardIN3c104HalfEflLi1EEEvNS_4cuda6detail10TensorInfoIT_T1_EESB_SB_SB_SB_SB_SB_SA_SA_.num_vgpr, 38
	.set _ZN2at6native12_GLOBAL__N_16kernel16gru_cell_forwardIN3c104HalfEflLi1EEEvNS_4cuda6detail10TensorInfoIT_T1_EESB_SB_SB_SB_SB_SB_SA_SA_.num_agpr, 0
	.set _ZN2at6native12_GLOBAL__N_16kernel16gru_cell_forwardIN3c104HalfEflLi1EEEvNS_4cuda6detail10TensorInfoIT_T1_EESB_SB_SB_SB_SB_SB_SA_SA_.numbered_sgpr, 56
	.set _ZN2at6native12_GLOBAL__N_16kernel16gru_cell_forwardIN3c104HalfEflLi1EEEvNS_4cuda6detail10TensorInfoIT_T1_EESB_SB_SB_SB_SB_SB_SA_SA_.num_named_barrier, 0
	.set _ZN2at6native12_GLOBAL__N_16kernel16gru_cell_forwardIN3c104HalfEflLi1EEEvNS_4cuda6detail10TensorInfoIT_T1_EESB_SB_SB_SB_SB_SB_SA_SA_.private_seg_size, 0
	.set _ZN2at6native12_GLOBAL__N_16kernel16gru_cell_forwardIN3c104HalfEflLi1EEEvNS_4cuda6detail10TensorInfoIT_T1_EESB_SB_SB_SB_SB_SB_SA_SA_.uses_vcc, 1
	.set _ZN2at6native12_GLOBAL__N_16kernel16gru_cell_forwardIN3c104HalfEflLi1EEEvNS_4cuda6detail10TensorInfoIT_T1_EESB_SB_SB_SB_SB_SB_SA_SA_.uses_flat_scratch, 0
	.set _ZN2at6native12_GLOBAL__N_16kernel16gru_cell_forwardIN3c104HalfEflLi1EEEvNS_4cuda6detail10TensorInfoIT_T1_EESB_SB_SB_SB_SB_SB_SA_SA_.has_dyn_sized_stack, 0
	.set _ZN2at6native12_GLOBAL__N_16kernel16gru_cell_forwardIN3c104HalfEflLi1EEEvNS_4cuda6detail10TensorInfoIT_T1_EESB_SB_SB_SB_SB_SB_SA_SA_.has_recursion, 0
	.set _ZN2at6native12_GLOBAL__N_16kernel16gru_cell_forwardIN3c104HalfEflLi1EEEvNS_4cuda6detail10TensorInfoIT_T1_EESB_SB_SB_SB_SB_SB_SA_SA_.has_indirect_call, 0
	.section	.AMDGPU.csdata,"",@progbits
; Kernel info:
; codeLenInByte = 4032
; TotalNumSgprs: 58
; NumVgprs: 38
; ScratchSize: 0
; MemoryBound: 0
; FloatMode: 240
; IeeeMode: 1
; LDSByteSize: 0 bytes/workgroup (compile time only)
; SGPRBlocks: 0
; VGPRBlocks: 4
; NumSGPRsForWavesPerEU: 58
; NumVGPRsForWavesPerEU: 38
; Occupancy: 16
; WaveLimiterHint : 1
; COMPUTE_PGM_RSRC2:SCRATCH_EN: 0
; COMPUTE_PGM_RSRC2:USER_SGPR: 2
; COMPUTE_PGM_RSRC2:TRAP_HANDLER: 0
; COMPUTE_PGM_RSRC2:TGID_X_EN: 1
; COMPUTE_PGM_RSRC2:TGID_Y_EN: 0
; COMPUTE_PGM_RSRC2:TGID_Z_EN: 0
; COMPUTE_PGM_RSRC2:TIDIG_COMP_CNT: 0
	.section	.text._ZN2at6native12_GLOBAL__N_16kernel16gru_cell_forwardIN3c104HalfEflLi2EEEvNS_4cuda6detail10TensorInfoIT_T1_EESB_SB_SB_SB_SB_SB_SA_SA_,"axG",@progbits,_ZN2at6native12_GLOBAL__N_16kernel16gru_cell_forwardIN3c104HalfEflLi2EEEvNS_4cuda6detail10TensorInfoIT_T1_EESB_SB_SB_SB_SB_SB_SA_SA_,comdat
	.globl	_ZN2at6native12_GLOBAL__N_16kernel16gru_cell_forwardIN3c104HalfEflLi2EEEvNS_4cuda6detail10TensorInfoIT_T1_EESB_SB_SB_SB_SB_SB_SA_SA_ ; -- Begin function _ZN2at6native12_GLOBAL__N_16kernel16gru_cell_forwardIN3c104HalfEflLi2EEEvNS_4cuda6detail10TensorInfoIT_T1_EESB_SB_SB_SB_SB_SB_SA_SA_
	.p2align	8
	.type	_ZN2at6native12_GLOBAL__N_16kernel16gru_cell_forwardIN3c104HalfEflLi2EEEvNS_4cuda6detail10TensorInfoIT_T1_EESB_SB_SB_SB_SB_SB_SA_SA_,@function
_ZN2at6native12_GLOBAL__N_16kernel16gru_cell_forwardIN3c104HalfEflLi2EEEvNS_4cuda6detail10TensorInfoIT_T1_EESB_SB_SB_SB_SB_SB_SA_SA_: ; @_ZN2at6native12_GLOBAL__N_16kernel16gru_cell_forwardIN3c104HalfEflLi2EEEvNS_4cuda6detail10TensorInfoIT_T1_EESB_SB_SB_SB_SB_SB_SA_SA_
; %bb.0:
	s_clause 0x1
	s_load_b32 s2, s[0:1], 0xb7c
	s_load_b128 s[4:7], s[0:1], 0xb60
	v_mov_b32_e32 v1, 0
	s_wait_kmcnt 0x0
	s_and_b32 s56, s2, 0xffff
	s_mov_b32 s2, exec_lo
	s_delay_alu instid0(VALU_DEP_1) | instskip(SKIP_1) | instid1(VALU_DEP_1)
	v_mad_co_u64_u32 v[3:4], null, ttmp9, s56, v[0:1]
	v_mov_b32_e32 v4, v1
	v_cmpx_gt_i64_e64 s[6:7], v[3:4]
	s_cbranch_execz .LBB43_66
; %bb.1:
	s_clause 0x1
	s_load_b64 s[2:3], s[0:1], 0x10
	s_load_b64 s[28:29], s[0:1], 0x0
	v_cvt_f32_u32_e32 v0, s4
	s_add_nc_u64 s[16:17], s[0:1], 0xb70
	s_clause 0x4
	s_load_b128 s[8:11], s[0:1], 0xd0
	s_load_b64 s[30:31], s[0:1], 0x1a0
	s_load_b64 s[34:35], s[0:1], 0x340
	;; [unrolled: 1-line block ×3, first 2 shown]
	s_load_b128 s[12:15], s[0:1], 0x270
	s_load_b32 s57, s[16:17], 0x0
	s_clause 0xb
	s_load_b64 s[38:39], s[0:1], 0x410
	s_load_b64 s[40:41], s[0:1], 0x4e0
	;; [unrolled: 1-line block ×5, first 2 shown]
	s_load_b128 s[16:19], s[0:1], 0x750
	s_load_b64 s[48:49], s[0:1], 0x820
	s_load_b64 s[50:51], s[0:1], 0x830
	s_load_b128 s[20:23], s[0:1], 0x8f0
	s_load_b64 s[52:53], s[0:1], 0x9c0
	s_load_b64 s[54:55], s[0:1], 0x9d0
	s_load_b128 s[24:27], s[0:1], 0xa90
	s_mov_b32 s1, 0
	v_rcp_iflag_f32_e32 v0, v0
	s_sub_nc_u64 s[60:61], 0, s[4:5]
	s_mov_b32 s73, 0xbbbac73d
	s_mov_b32 s74, 0
	s_wait_kmcnt 0x0
	s_cmp_lg_u64 s[34:35], 0
	s_cselect_b32 s33, -1, 0
	s_mul_i32 s72, s57, s56
	s_lshl_b64 s[56:57], s[4:5], 1
	s_delay_alu instid0(TRANS32_DEP_1)
	v_mul_f32_e32 v0, 0x4f7ffffe, v0
	s_lshl_b64 s[58:59], s[4:5], 2
	s_ashr_i32 s66, s5, 31
	v_cvt_f32_u32_e32 v2, s2
	s_sub_nc_u64 s[62:63], 0, s[46:47]
	v_cvt_u32_f32_e32 v0, v0
	s_sub_nc_u64 s[64:65], 0, s[50:51]
	s_delay_alu instid0(VALU_DEP_2) | instskip(NEXT) | instid1(TRANS32_DEP_1)
	v_rcp_iflag_f32_e32 v2, v2
	v_mul_f32_e32 v2, 0x4f7ffffe, v2
	s_delay_alu instid0(VALU_DEP_1)
	v_cvt_u32_f32_e32 v15, v2
	s_branch .LBB43_3
.LBB43_2:                               ;   in Loop: Header=BB43_3 Depth=1
	s_wait_alu 0xfffe
	s_or_b32 exec_lo, exec_lo, s0
	s_delay_alu instid0(VALU_DEP_1) | instskip(SKIP_3) | instid1(VALU_DEP_2)
	v_mul_lo_u32 v2, v8, s54
	v_mul_lo_u32 v11, v7, s55
	v_mad_co_u64_u32 v[9:10], null, v7, s54, 0
	v_mul_lo_u32 v12, v8, s24
	v_add3_u32 v2, v10, v11, v2
	s_delay_alu instid0(VALU_DEP_3) | instskip(SKIP_2) | instid1(VALU_DEP_3)
	v_sub_co_u32 v5, vcc_lo, v5, v9
	v_mul_lo_u32 v9, v7, s25
	s_wait_alu 0xfffd
	v_sub_co_ci_u32_e64 v2, null, v6, v2, vcc_lo
	s_delay_alu instid0(VALU_DEP_3) | instskip(SKIP_2) | instid1(VALU_DEP_3)
	v_add_co_u32 v8, vcc_lo, v3, v5
	v_mad_co_u64_u32 v[5:6], null, v7, s24, 0
	s_wait_alu 0xfffd
	v_add_co_ci_u32_e64 v2, null, v4, v2, vcc_lo
	s_delay_alu instid0(VALU_DEP_3) | instskip(SKIP_1) | instid1(VALU_DEP_3)
	v_mul_lo_u32 v10, v8, s27
	v_mad_co_u64_u32 v[7:8], null, v8, s26, 0
	v_mul_lo_u32 v2, v2, s26
	v_add3_u32 v6, v6, v9, v12
	v_add_co_u32 v3, vcc_lo, v3, s72
	s_wait_alu 0xfffd
	v_add_co_ci_u32_e64 v4, null, 0, v4, vcc_lo
	s_delay_alu instid0(VALU_DEP_3) | instskip(SKIP_2) | instid1(VALU_DEP_3)
	v_lshlrev_b64_e32 v[5:6], 1, v[5:6]
	v_cvt_f16_f32_e32 v9, v14
	v_add3_u32 v8, v8, v10, v2
	v_add_co_u32 v2, vcc_lo, s52, v5
	s_delay_alu instid0(VALU_DEP_2) | instskip(SKIP_3) | instid1(VALU_DEP_3)
	v_lshlrev_b64_e32 v[7:8], 1, v[7:8]
	s_wait_alu 0xfffd
	v_add_co_ci_u32_e64 v6, null, s53, v6, vcc_lo
	v_cmp_le_i64_e32 vcc_lo, s[6:7], v[3:4]
	v_add_co_u32 v5, s0, v2, v7
	s_wait_alu 0xf1ff
	s_delay_alu instid0(VALU_DEP_3)
	v_add_co_ci_u32_e64 v6, null, v6, v8, s0
	s_or_b32 s74, vcc_lo, s74
	global_store_b16 v[5:6], v9, off
	s_and_not1_b32 exec_lo, exec_lo, s74
	s_cbranch_execz .LBB43_66
.LBB43_3:                               ; =>This Inner Loop Header: Depth=1
	v_or_b32_e32 v2, s5, v4
	v_ashrrev_i32_e32 v16, 31, v4
                                        ; implicit-def: $vgpr5_vgpr6
	s_mov_b32 s0, exec_lo
	s_delay_alu instid0(VALU_DEP_2)
	v_cmpx_ne_u64_e32 0, v[1:2]
	s_wait_alu 0xfffe
	s_xor_b32 s70, exec_lo, s0
	s_cbranch_execz .LBB43_5
; %bb.4:                                ;   in Loop: Header=BB43_3 Depth=1
	s_mov_b32 s67, s66
	v_add_co_u32 v2, vcc_lo, v3, v16
	s_wait_alu 0xfffe
	s_add_nc_u64 s[68:69], s[4:5], s[66:67]
	s_wait_alu 0xfffd
	v_add_co_ci_u32_e64 v5, null, v4, v16, vcc_lo
	s_wait_alu 0xfffe
	s_xor_b64 s[68:69], s[68:69], s[66:67]
	v_xor_b32_e32 v2, v2, v16
	s_wait_alu 0xfffe
	s_cvt_f32_u32 s0, s68
	s_cvt_f32_u32 s67, s69
	s_sub_nc_u64 s[78:79], 0, s[68:69]
	v_xor_b32_e32 v11, v5, v16
	s_wait_alu 0xfffe
	s_fmamk_f32 s0, s67, 0x4f800000, s0
	s_wait_alu 0xfffe
	s_delay_alu instid0(SALU_CYCLE_2) | instskip(NEXT) | instid1(TRANS32_DEP_1)
	v_s_rcp_f32 s0, s0
	s_mul_f32 s0, s0, 0x5f7ffffc
	s_wait_alu 0xfffe
	s_delay_alu instid0(SALU_CYCLE_2) | instskip(SKIP_1) | instid1(SALU_CYCLE_2)
	s_mul_f32 s67, s0, 0x2f800000
	s_wait_alu 0xfffe
	s_trunc_f32 s67, s67
	s_wait_alu 0xfffe
	s_delay_alu instid0(SALU_CYCLE_2) | instskip(SKIP_2) | instid1(SALU_CYCLE_1)
	s_fmamk_f32 s0, s67, 0xcf800000, s0
	s_cvt_u32_f32 s77, s67
	s_wait_alu 0xfffe
	s_cvt_u32_f32 s76, s0
	s_delay_alu instid0(SALU_CYCLE_3) | instskip(NEXT) | instid1(SALU_CYCLE_1)
	s_mul_u64 s[80:81], s[78:79], s[76:77]
	s_mul_hi_u32 s83, s76, s81
	s_mul_i32 s82, s76, s81
	s_mul_hi_u32 s0, s76, s80
	s_mul_i32 s71, s77, s80
	s_wait_alu 0xfffe
	s_add_nc_u64 s[82:83], s[0:1], s[82:83]
	s_mul_hi_u32 s67, s77, s80
	s_mul_hi_u32 s75, s77, s81
	s_add_co_u32 s0, s82, s71
	s_wait_alu 0xfffe
	s_add_co_ci_u32 s0, s83, s67
	s_mul_i32 s80, s77, s81
	s_add_co_ci_u32 s81, s75, 0
	s_wait_alu 0xfffe
	s_add_nc_u64 s[80:81], s[0:1], s[80:81]
	s_delay_alu instid0(SALU_CYCLE_1) | instskip(SKIP_4) | instid1(SALU_CYCLE_1)
	s_add_co_u32 s76, s76, s80
	s_cselect_b32 s0, -1, 0
	s_wait_alu 0xfffe
	s_cmp_lg_u32 s0, 0
	s_add_co_ci_u32 s77, s77, s81
	s_mul_u64 s[78:79], s[78:79], s[76:77]
	s_delay_alu instid0(SALU_CYCLE_1)
	s_mul_hi_u32 s81, s76, s79
	s_mul_i32 s80, s76, s79
	s_mul_hi_u32 s0, s76, s78
	s_mul_i32 s71, s77, s78
	s_wait_alu 0xfffe
	s_add_nc_u64 s[80:81], s[0:1], s[80:81]
	s_mul_hi_u32 s67, s77, s78
	s_mul_hi_u32 s75, s77, s79
	s_add_co_u32 s0, s80, s71
	s_wait_alu 0xfffe
	s_add_co_ci_u32 s0, s81, s67
	s_mul_i32 s78, s77, s79
	s_add_co_ci_u32 s79, s75, 0
	s_wait_alu 0xfffe
	s_add_nc_u64 s[78:79], s[0:1], s[78:79]
	s_delay_alu instid0(SALU_CYCLE_1)
	s_add_co_u32 s0, s76, s78
	s_cselect_b32 s67, -1, 0
	s_wait_alu 0xfffe
	v_mul_hi_u32 v12, v2, s0
	s_cmp_lg_u32 s67, 0
	v_mad_co_u64_u32 v[7:8], null, v11, s0, 0
	s_add_co_ci_u32 s67, s77, s79
	s_wait_alu 0xfffe
	v_mad_co_u64_u32 v[5:6], null, v2, s67, 0
	v_mad_co_u64_u32 v[9:10], null, v11, s67, 0
	s_delay_alu instid0(VALU_DEP_2) | instskip(SKIP_1) | instid1(VALU_DEP_3)
	v_add_co_u32 v5, vcc_lo, v12, v5
	s_wait_alu 0xfffd
	v_add_co_ci_u32_e64 v6, null, 0, v6, vcc_lo
	s_delay_alu instid0(VALU_DEP_2) | instskip(SKIP_1) | instid1(VALU_DEP_2)
	v_add_co_u32 v5, vcc_lo, v5, v7
	s_wait_alu 0xfffd
	v_add_co_ci_u32_e32 v5, vcc_lo, v6, v8, vcc_lo
	s_wait_alu 0xfffd
	v_add_co_ci_u32_e32 v6, vcc_lo, 0, v10, vcc_lo
	s_delay_alu instid0(VALU_DEP_2) | instskip(SKIP_1) | instid1(VALU_DEP_2)
	v_add_co_u32 v7, vcc_lo, v5, v9
	s_wait_alu 0xfffd
	v_add_co_ci_u32_e64 v8, null, 0, v6, vcc_lo
	s_delay_alu instid0(VALU_DEP_2) | instskip(SKIP_1) | instid1(VALU_DEP_3)
	v_mul_lo_u32 v9, s69, v7
	v_mad_co_u64_u32 v[5:6], null, s68, v7, 0
	v_mul_lo_u32 v10, s68, v8
	s_delay_alu instid0(VALU_DEP_2) | instskip(NEXT) | instid1(VALU_DEP_2)
	v_sub_co_u32 v2, vcc_lo, v2, v5
	v_add3_u32 v6, v6, v10, v9
	s_delay_alu instid0(VALU_DEP_1) | instskip(SKIP_2) | instid1(VALU_DEP_2)
	v_sub_nc_u32_e32 v9, v11, v6
	s_wait_alu 0xfffd
	v_sub_co_ci_u32_e64 v6, null, v11, v6, vcc_lo
	v_subrev_co_ci_u32_e64 v5, null, s69, v9, vcc_lo
	v_add_co_u32 v9, s0, v7, 2
	s_wait_alu 0xf1ff
	v_add_co_ci_u32_e64 v10, null, 0, v8, s0
	v_sub_co_u32 v12, s0, v2, s68
	s_wait_alu 0xf1ff
	v_subrev_co_ci_u32_e64 v5, null, 0, v5, s0
	s_delay_alu instid0(VALU_DEP_2) | instskip(SKIP_2) | instid1(VALU_DEP_3)
	v_cmp_le_u32_e32 vcc_lo, s68, v12
	s_wait_alu 0xfffd
	v_cndmask_b32_e64 v11, 0, -1, vcc_lo
	v_cmp_le_u32_e32 vcc_lo, s69, v5
	s_wait_alu 0xfffd
	v_cndmask_b32_e64 v12, 0, -1, vcc_lo
	;; [unrolled: 3-line block ×4, first 2 shown]
	v_cmp_eq_u32_e32 vcc_lo, s69, v5
	s_wait_alu 0xfffd
	v_cndmask_b32_e32 v5, v12, v11, vcc_lo
	v_add_co_u32 v11, vcc_lo, v7, 1
	s_wait_alu 0xfffd
	v_add_co_ci_u32_e64 v12, null, 0, v8, vcc_lo
	v_cmp_eq_u32_e32 vcc_lo, s69, v6
	v_xor_b32_e32 v6, s66, v16
	s_wait_alu 0xfffd
	v_cndmask_b32_e32 v2, v13, v2, vcc_lo
	v_cmp_ne_u32_e32 vcc_lo, 0, v5
	s_delay_alu instid0(VALU_DEP_2) | instskip(SKIP_3) | instid1(VALU_DEP_1)
	v_cmp_ne_u32_e64 s0, 0, v2
	s_wait_alu 0xfffd
	v_dual_cndmask_b32 v5, v12, v10 :: v_dual_cndmask_b32 v2, v11, v9
	s_wait_alu 0xf1ff
	v_cndmask_b32_e64 v5, v8, v5, s0
	s_delay_alu instid0(VALU_DEP_2) | instskip(NEXT) | instid1(VALU_DEP_2)
	v_cndmask_b32_e64 v2, v7, v2, s0
	v_xor_b32_e32 v7, v5, v6
	s_delay_alu instid0(VALU_DEP_2) | instskip(NEXT) | instid1(VALU_DEP_1)
	v_xor_b32_e32 v2, v2, v6
	v_sub_co_u32 v5, vcc_lo, v2, v6
	s_wait_alu 0xfffd
	s_delay_alu instid0(VALU_DEP_3)
	v_sub_co_ci_u32_e64 v6, null, v7, v6, vcc_lo
.LBB43_5:                               ;   in Loop: Header=BB43_3 Depth=1
	s_wait_alu 0xfffe
	s_and_not1_saveexec_b32 s0, s70
	s_cbranch_execz .LBB43_7
; %bb.6:                                ;   in Loop: Header=BB43_3 Depth=1
	s_sub_co_i32 s67, 0, s4
	s_wait_alu 0xfffe
	v_mul_lo_u32 v2, s67, v0
	s_delay_alu instid0(VALU_DEP_1) | instskip(NEXT) | instid1(VALU_DEP_1)
	v_mul_hi_u32 v2, v0, v2
	v_add_nc_u32_e32 v2, v0, v2
	s_delay_alu instid0(VALU_DEP_1) | instskip(NEXT) | instid1(VALU_DEP_1)
	v_mul_hi_u32 v2, v3, v2
	v_mul_lo_u32 v5, v2, s4
	v_add_nc_u32_e32 v6, 1, v2
	s_delay_alu instid0(VALU_DEP_2) | instskip(NEXT) | instid1(VALU_DEP_1)
	v_sub_nc_u32_e32 v5, v3, v5
	v_subrev_nc_u32_e32 v7, s4, v5
	v_cmp_le_u32_e32 vcc_lo, s4, v5
	s_wait_alu 0xfffd
	s_delay_alu instid0(VALU_DEP_2) | instskip(NEXT) | instid1(VALU_DEP_1)
	v_dual_cndmask_b32 v5, v5, v7 :: v_dual_cndmask_b32 v2, v2, v6
	v_cmp_le_u32_e32 vcc_lo, s4, v5
	s_delay_alu instid0(VALU_DEP_2) | instskip(SKIP_1) | instid1(VALU_DEP_1)
	v_add_nc_u32_e32 v6, 1, v2
	s_wait_alu 0xfffd
	v_dual_cndmask_b32 v5, v2, v6 :: v_dual_mov_b32 v6, v1
.LBB43_7:                               ;   in Loop: Header=BB43_3 Depth=1
	s_wait_alu 0xfffe
	s_or_b32 exec_lo, exec_lo, s0
	s_delay_alu instid0(VALU_DEP_1) | instskip(NEXT) | instid1(VALU_DEP_2)
	v_mul_lo_u32 v2, s57, v5
	v_mul_lo_u32 v9, s56, v6
	v_mad_co_u64_u32 v[7:8], null, s56, v5, 0
	s_mov_b32 s0, exec_lo
	v_add3_u32 v8, v8, v9, v2
	v_add_co_u32 v23, vcc_lo, v3, v7
                                        ; implicit-def: $vgpr9_vgpr10
	s_wait_alu 0xfffd
	s_delay_alu instid0(VALU_DEP_2) | instskip(NEXT) | instid1(VALU_DEP_1)
	v_add_co_ci_u32_e64 v26, null, v4, v8, vcc_lo
	v_or_b32_e32 v2, s3, v26
	v_ashrrev_i32_e32 v20, 31, v26
	s_delay_alu instid0(VALU_DEP_2)
	v_cmpx_ne_u64_e32 0, v[1:2]
	s_wait_alu 0xfffe
	s_xor_b32 s67, exec_lo, s0
	s_cbranch_execz .LBB43_9
; %bb.8:                                ;   in Loop: Header=BB43_3 Depth=1
	s_ashr_i32 s68, s3, 31
	v_add_co_u32 v2, vcc_lo, v23, v20
	s_wait_alu 0xfffe
	s_mov_b32 s69, s68
	s_wait_alu 0xfffd
	v_add_co_ci_u32_e64 v9, null, v26, v20, vcc_lo
	s_wait_alu 0xfffe
	s_add_nc_u64 s[70:71], s[2:3], s[68:69]
	v_xor_b32_e32 v2, v2, v20
	s_wait_alu 0xfffe
	s_xor_b64 s[70:71], s[70:71], s[68:69]
	v_xor_b32_e32 v17, v9, v20
	s_wait_alu 0xfffe
	s_cvt_f32_u32 s0, s70
	s_cvt_f32_u32 s69, s71
	s_sub_nc_u64 s[78:79], 0, s[70:71]
	s_wait_alu 0xfffe
	s_delay_alu instid0(SALU_CYCLE_1) | instskip(SKIP_1) | instid1(SALU_CYCLE_2)
	s_fmamk_f32 s0, s69, 0x4f800000, s0
	s_wait_alu 0xfffe
	v_s_rcp_f32 s0, s0
	s_delay_alu instid0(TRANS32_DEP_1) | instskip(SKIP_1) | instid1(SALU_CYCLE_2)
	s_mul_f32 s0, s0, 0x5f7ffffc
	s_wait_alu 0xfffe
	s_mul_f32 s69, s0, 0x2f800000
	s_wait_alu 0xfffe
	s_delay_alu instid0(SALU_CYCLE_2) | instskip(SKIP_1) | instid1(SALU_CYCLE_2)
	s_trunc_f32 s69, s69
	s_wait_alu 0xfffe
	s_fmamk_f32 s0, s69, 0xcf800000, s0
	s_cvt_u32_f32 s77, s69
	s_wait_alu 0xfffe
	s_delay_alu instid0(SALU_CYCLE_1) | instskip(NEXT) | instid1(SALU_CYCLE_3)
	s_cvt_u32_f32 s76, s0
	s_mul_u64 s[80:81], s[78:79], s[76:77]
	s_delay_alu instid0(SALU_CYCLE_1)
	s_mul_hi_u32 s83, s76, s81
	s_mul_i32 s82, s76, s81
	s_mul_hi_u32 s0, s76, s80
	s_mul_i32 s75, s77, s80
	s_wait_alu 0xfffe
	s_add_nc_u64 s[82:83], s[0:1], s[82:83]
	s_mul_hi_u32 s69, s77, s80
	s_mul_hi_u32 s84, s77, s81
	s_add_co_u32 s0, s82, s75
	s_wait_alu 0xfffe
	s_add_co_ci_u32 s0, s83, s69
	s_mul_i32 s80, s77, s81
	s_add_co_ci_u32 s81, s84, 0
	s_wait_alu 0xfffe
	s_add_nc_u64 s[80:81], s[0:1], s[80:81]
	s_delay_alu instid0(SALU_CYCLE_1) | instskip(SKIP_4) | instid1(SALU_CYCLE_1)
	s_add_co_u32 s76, s76, s80
	s_cselect_b32 s0, -1, 0
	s_wait_alu 0xfffe
	s_cmp_lg_u32 s0, 0
	s_add_co_ci_u32 s77, s77, s81
	s_mul_u64 s[78:79], s[78:79], s[76:77]
	s_delay_alu instid0(SALU_CYCLE_1)
	s_mul_hi_u32 s81, s76, s79
	s_mul_i32 s80, s76, s79
	s_mul_hi_u32 s0, s76, s78
	s_mul_i32 s75, s77, s78
	s_wait_alu 0xfffe
	s_add_nc_u64 s[80:81], s[0:1], s[80:81]
	s_mul_hi_u32 s69, s77, s78
	s_mul_hi_u32 s82, s77, s79
	s_add_co_u32 s0, s80, s75
	s_wait_alu 0xfffe
	s_add_co_ci_u32 s0, s81, s69
	s_mul_i32 s78, s77, s79
	s_add_co_ci_u32 s79, s82, 0
	s_wait_alu 0xfffe
	s_add_nc_u64 s[78:79], s[0:1], s[78:79]
	s_delay_alu instid0(SALU_CYCLE_1)
	s_add_co_u32 s0, s76, s78
	s_cselect_b32 s69, -1, 0
	s_wait_alu 0xfffe
	v_mul_hi_u32 v18, v2, s0
	s_cmp_lg_u32 s69, 0
	v_mad_co_u64_u32 v[11:12], null, v17, s0, 0
	s_add_co_ci_u32 s69, s77, s79
	s_wait_alu 0xfffe
	v_mad_co_u64_u32 v[9:10], null, v2, s69, 0
	v_mad_co_u64_u32 v[13:14], null, v17, s69, 0
	s_delay_alu instid0(VALU_DEP_2) | instskip(SKIP_1) | instid1(VALU_DEP_3)
	v_add_co_u32 v9, vcc_lo, v18, v9
	s_wait_alu 0xfffd
	v_add_co_ci_u32_e64 v10, null, 0, v10, vcc_lo
	s_delay_alu instid0(VALU_DEP_2) | instskip(SKIP_1) | instid1(VALU_DEP_2)
	v_add_co_u32 v9, vcc_lo, v9, v11
	s_wait_alu 0xfffd
	v_add_co_ci_u32_e32 v9, vcc_lo, v10, v12, vcc_lo
	s_wait_alu 0xfffd
	v_add_co_ci_u32_e32 v10, vcc_lo, 0, v14, vcc_lo
	s_delay_alu instid0(VALU_DEP_2) | instskip(SKIP_1) | instid1(VALU_DEP_2)
	v_add_co_u32 v11, vcc_lo, v9, v13
	s_wait_alu 0xfffd
	v_add_co_ci_u32_e64 v12, null, 0, v10, vcc_lo
	s_delay_alu instid0(VALU_DEP_2) | instskip(SKIP_1) | instid1(VALU_DEP_3)
	v_mul_lo_u32 v13, s71, v11
	v_mad_co_u64_u32 v[9:10], null, s70, v11, 0
	v_mul_lo_u32 v14, s70, v12
	s_delay_alu instid0(VALU_DEP_2) | instskip(NEXT) | instid1(VALU_DEP_2)
	v_sub_co_u32 v2, vcc_lo, v2, v9
	v_add3_u32 v10, v10, v14, v13
	s_delay_alu instid0(VALU_DEP_1) | instskip(SKIP_2) | instid1(VALU_DEP_2)
	v_sub_nc_u32_e32 v13, v17, v10
	s_wait_alu 0xfffd
	v_sub_co_ci_u32_e64 v10, null, v17, v10, vcc_lo
	v_subrev_co_ci_u32_e64 v9, null, s71, v13, vcc_lo
	v_add_co_u32 v13, s0, v11, 2
	s_wait_alu 0xf1ff
	v_add_co_ci_u32_e64 v14, null, 0, v12, s0
	v_sub_co_u32 v18, s0, v2, s70
	s_wait_alu 0xf1ff
	v_subrev_co_ci_u32_e64 v9, null, 0, v9, s0
	s_delay_alu instid0(VALU_DEP_2) | instskip(SKIP_2) | instid1(VALU_DEP_3)
	v_cmp_le_u32_e32 vcc_lo, s70, v18
	s_wait_alu 0xfffd
	v_cndmask_b32_e64 v17, 0, -1, vcc_lo
	v_cmp_le_u32_e32 vcc_lo, s71, v9
	s_wait_alu 0xfffd
	v_cndmask_b32_e64 v18, 0, -1, vcc_lo
	;; [unrolled: 3-line block ×4, first 2 shown]
	v_cmp_eq_u32_e32 vcc_lo, s71, v9
	s_wait_alu 0xfffd
	v_cndmask_b32_e32 v9, v18, v17, vcc_lo
	v_add_co_u32 v17, vcc_lo, v11, 1
	s_wait_alu 0xfffd
	v_add_co_ci_u32_e64 v18, null, 0, v12, vcc_lo
	v_cmp_eq_u32_e32 vcc_lo, s71, v10
	v_xor_b32_e32 v10, s68, v20
	s_wait_alu 0xfffd
	v_cndmask_b32_e32 v2, v19, v2, vcc_lo
	v_cmp_ne_u32_e32 vcc_lo, 0, v9
	s_delay_alu instid0(VALU_DEP_2) | instskip(SKIP_3) | instid1(VALU_DEP_1)
	v_cmp_ne_u32_e64 s0, 0, v2
	s_wait_alu 0xfffd
	v_dual_cndmask_b32 v9, v18, v14 :: v_dual_cndmask_b32 v2, v17, v13
	s_wait_alu 0xf1ff
	v_cndmask_b32_e64 v9, v12, v9, s0
	s_delay_alu instid0(VALU_DEP_2) | instskip(NEXT) | instid1(VALU_DEP_2)
	v_cndmask_b32_e64 v2, v11, v2, s0
	v_xor_b32_e32 v11, v9, v10
	s_delay_alu instid0(VALU_DEP_2) | instskip(NEXT) | instid1(VALU_DEP_1)
	v_xor_b32_e32 v2, v2, v10
	v_sub_co_u32 v9, vcc_lo, v2, v10
	s_wait_alu 0xfffd
	s_delay_alu instid0(VALU_DEP_3)
	v_sub_co_ci_u32_e64 v10, null, v11, v10, vcc_lo
.LBB43_9:                               ;   in Loop: Header=BB43_3 Depth=1
	s_wait_alu 0xfffe
	s_and_not1_saveexec_b32 s0, s67
	s_cbranch_execz .LBB43_11
; %bb.10:                               ;   in Loop: Header=BB43_3 Depth=1
	s_sub_co_i32 s67, 0, s2
	s_wait_alu 0xfffe
	v_mul_lo_u32 v2, s67, v15
	s_delay_alu instid0(VALU_DEP_1) | instskip(NEXT) | instid1(VALU_DEP_1)
	v_mul_hi_u32 v2, v15, v2
	v_add_nc_u32_e32 v2, v15, v2
	s_delay_alu instid0(VALU_DEP_1) | instskip(NEXT) | instid1(VALU_DEP_1)
	v_mul_hi_u32 v2, v23, v2
	v_mul_lo_u32 v9, v2, s2
	v_add_nc_u32_e32 v10, 1, v2
	s_delay_alu instid0(VALU_DEP_2) | instskip(NEXT) | instid1(VALU_DEP_1)
	v_sub_nc_u32_e32 v9, v23, v9
	v_subrev_nc_u32_e32 v11, s2, v9
	v_cmp_le_u32_e32 vcc_lo, s2, v9
	s_wait_alu 0xfffd
	s_delay_alu instid0(VALU_DEP_2) | instskip(NEXT) | instid1(VALU_DEP_1)
	v_dual_cndmask_b32 v9, v9, v11 :: v_dual_cndmask_b32 v2, v2, v10
	v_cmp_le_u32_e32 vcc_lo, s2, v9
	s_delay_alu instid0(VALU_DEP_2) | instskip(SKIP_1) | instid1(VALU_DEP_1)
	v_add_nc_u32_e32 v10, 1, v2
	s_wait_alu 0xfffd
	v_dual_cndmask_b32 v9, v2, v10 :: v_dual_mov_b32 v10, v1
.LBB43_11:                              ;   in Loop: Header=BB43_3 Depth=1
	s_wait_alu 0xfffe
	s_or_b32 exec_lo, exec_lo, s0
	s_delay_alu instid0(VALU_DEP_1) | instskip(NEXT) | instid1(VALU_DEP_2)
	v_mul_lo_u32 v2, v10, s2
	v_mul_lo_u32 v13, v9, s3
	v_mad_co_u64_u32 v[11:12], null, v9, s2, 0
	v_mul_lo_u32 v14, v9, s9
	s_mov_b32 s0, exec_lo
	s_delay_alu instid0(VALU_DEP_2) | instskip(SKIP_1) | instid1(VALU_DEP_4)
	v_add3_u32 v2, v12, v13, v2
	v_mul_lo_u32 v13, v10, s8
	v_sub_co_u32 v10, vcc_lo, v7, v11
	s_wait_alu 0xfffd
	s_delay_alu instid0(VALU_DEP_3) | instskip(NEXT) | instid1(VALU_DEP_2)
	v_sub_co_ci_u32_e64 v2, null, v8, v2, vcc_lo
	v_add_co_u32 v11, vcc_lo, v3, v10
	v_mad_co_u64_u32 v[9:10], null, v9, s8, 0
	s_wait_alu 0xfffd
	s_delay_alu instid0(VALU_DEP_3) | instskip(NEXT) | instid1(VALU_DEP_3)
	v_add_co_ci_u32_e64 v2, null, v4, v2, vcc_lo
	v_mul_lo_u32 v17, v11, s11
	v_mad_co_u64_u32 v[11:12], null, v11, s10, 0
	s_delay_alu instid0(VALU_DEP_3) | instskip(SKIP_1) | instid1(VALU_DEP_1)
	v_mul_lo_u32 v2, v2, s10
	v_add3_u32 v10, v10, v14, v13
	v_lshlrev_b64_e32 v[9:10], 1, v[9:10]
	s_delay_alu instid0(VALU_DEP_3) | instskip(NEXT) | instid1(VALU_DEP_2)
	v_add3_u32 v12, v12, v17, v2
	v_add_co_u32 v2, vcc_lo, s28, v9
	s_delay_alu instid0(VALU_DEP_2) | instskip(SKIP_1) | instid1(VALU_DEP_4)
	v_lshlrev_b64_e32 v[11:12], 1, v[11:12]
	s_wait_alu 0xfffd
	v_add_co_ci_u32_e64 v10, null, s29, v10, vcc_lo
	s_delay_alu instid0(VALU_DEP_2) | instskip(SKIP_1) | instid1(VALU_DEP_2)
	v_add_co_u32 v9, vcc_lo, v2, v11
	s_wait_alu 0xfffd
	v_add_co_ci_u32_e64 v10, null, v10, v12, vcc_lo
	v_lshlrev_b64_e32 v[11:12], 1, v[5:6]
	v_alignbit_b32 v2, v6, v5, 31
	global_load_u16 v17, v[9:10], off
	v_mul_lo_u32 v2, s4, v2
	v_mul_lo_u32 v13, s5, v11
	v_mad_co_u64_u32 v[9:10], null, s4, v11, s[4:5]
	s_delay_alu instid0(VALU_DEP_1) | instskip(NEXT) | instid1(VALU_DEP_2)
	v_add3_u32 v10, v13, v10, v2
	v_add_co_u32 v24, vcc_lo, v3, v9
                                        ; implicit-def: $vgpr13_vgpr14
	s_wait_alu 0xfffd
	s_delay_alu instid0(VALU_DEP_2) | instskip(NEXT) | instid1(VALU_DEP_1)
	v_add_co_ci_u32_e64 v27, null, v4, v10, vcc_lo
	v_or_b32_e32 v2, s3, v27
	v_ashrrev_i32_e32 v21, 31, v27
	s_delay_alu instid0(VALU_DEP_2)
	v_cmpx_ne_u64_e32 0, v[1:2]
	s_wait_alu 0xfffe
	s_xor_b32 s67, exec_lo, s0
	s_cbranch_execz .LBB43_13
; %bb.12:                               ;   in Loop: Header=BB43_3 Depth=1
	s_ashr_i32 s68, s3, 31
	v_add_co_u32 v2, vcc_lo, v24, v21
	s_wait_alu 0xfffe
	s_mov_b32 s69, s68
	s_wait_alu 0xfffd
	v_add_co_ci_u32_e64 v13, null, v27, v21, vcc_lo
	s_wait_alu 0xfffe
	s_add_nc_u64 s[70:71], s[2:3], s[68:69]
	v_xor_b32_e32 v2, v2, v21
	s_wait_alu 0xfffe
	s_xor_b64 s[70:71], s[70:71], s[68:69]
	v_xor_b32_e32 v22, v13, v21
	s_wait_alu 0xfffe
	s_cvt_f32_u32 s0, s70
	s_cvt_f32_u32 s69, s71
	s_sub_nc_u64 s[78:79], 0, s[70:71]
	s_wait_alu 0xfffe
	s_delay_alu instid0(SALU_CYCLE_1) | instskip(SKIP_1) | instid1(SALU_CYCLE_2)
	s_fmamk_f32 s0, s69, 0x4f800000, s0
	s_wait_alu 0xfffe
	v_s_rcp_f32 s0, s0
	s_delay_alu instid0(TRANS32_DEP_1) | instskip(SKIP_1) | instid1(SALU_CYCLE_2)
	s_mul_f32 s0, s0, 0x5f7ffffc
	s_wait_alu 0xfffe
	s_mul_f32 s69, s0, 0x2f800000
	s_wait_alu 0xfffe
	s_delay_alu instid0(SALU_CYCLE_2) | instskip(SKIP_1) | instid1(SALU_CYCLE_2)
	s_trunc_f32 s69, s69
	s_wait_alu 0xfffe
	s_fmamk_f32 s0, s69, 0xcf800000, s0
	s_cvt_u32_f32 s77, s69
	s_wait_alu 0xfffe
	s_delay_alu instid0(SALU_CYCLE_1) | instskip(NEXT) | instid1(SALU_CYCLE_3)
	s_cvt_u32_f32 s76, s0
	s_mul_u64 s[80:81], s[78:79], s[76:77]
	s_delay_alu instid0(SALU_CYCLE_1)
	s_mul_hi_u32 s83, s76, s81
	s_mul_i32 s82, s76, s81
	s_mul_hi_u32 s0, s76, s80
	s_mul_i32 s75, s77, s80
	s_wait_alu 0xfffe
	s_add_nc_u64 s[82:83], s[0:1], s[82:83]
	s_mul_hi_u32 s69, s77, s80
	s_mul_hi_u32 s84, s77, s81
	s_add_co_u32 s0, s82, s75
	s_wait_alu 0xfffe
	s_add_co_ci_u32 s0, s83, s69
	s_mul_i32 s80, s77, s81
	s_add_co_ci_u32 s81, s84, 0
	s_wait_alu 0xfffe
	s_add_nc_u64 s[80:81], s[0:1], s[80:81]
	s_delay_alu instid0(SALU_CYCLE_1) | instskip(SKIP_4) | instid1(SALU_CYCLE_1)
	s_add_co_u32 s76, s76, s80
	s_cselect_b32 s0, -1, 0
	s_wait_alu 0xfffe
	s_cmp_lg_u32 s0, 0
	s_add_co_ci_u32 s77, s77, s81
	s_mul_u64 s[78:79], s[78:79], s[76:77]
	s_delay_alu instid0(SALU_CYCLE_1)
	s_mul_hi_u32 s81, s76, s79
	s_mul_i32 s80, s76, s79
	s_mul_hi_u32 s0, s76, s78
	s_mul_i32 s75, s77, s78
	s_wait_alu 0xfffe
	s_add_nc_u64 s[80:81], s[0:1], s[80:81]
	s_mul_hi_u32 s69, s77, s78
	s_mul_hi_u32 s82, s77, s79
	s_add_co_u32 s0, s80, s75
	s_wait_alu 0xfffe
	s_add_co_ci_u32 s0, s81, s69
	s_mul_i32 s78, s77, s79
	s_add_co_ci_u32 s79, s82, 0
	s_wait_alu 0xfffe
	s_add_nc_u64 s[78:79], s[0:1], s[78:79]
	s_delay_alu instid0(SALU_CYCLE_1)
	s_add_co_u32 s0, s76, s78
	s_cselect_b32 s69, -1, 0
	s_wait_alu 0xfffe
	v_mul_hi_u32 v25, v2, s0
	s_cmp_lg_u32 s69, 0
	v_mad_co_u64_u32 v[18:19], null, v22, s0, 0
	s_add_co_ci_u32 s69, s77, s79
	s_wait_alu 0xfffe
	v_mad_co_u64_u32 v[13:14], null, v2, s69, 0
	v_mad_co_u64_u32 v[28:29], null, v22, s69, 0
	s_delay_alu instid0(VALU_DEP_2) | instskip(SKIP_1) | instid1(VALU_DEP_3)
	v_add_co_u32 v13, vcc_lo, v25, v13
	s_wait_alu 0xfffd
	v_add_co_ci_u32_e64 v14, null, 0, v14, vcc_lo
	s_delay_alu instid0(VALU_DEP_2) | instskip(SKIP_1) | instid1(VALU_DEP_2)
	v_add_co_u32 v13, vcc_lo, v13, v18
	s_wait_alu 0xfffd
	v_add_co_ci_u32_e32 v13, vcc_lo, v14, v19, vcc_lo
	s_wait_alu 0xfffd
	v_add_co_ci_u32_e32 v14, vcc_lo, 0, v29, vcc_lo
	s_delay_alu instid0(VALU_DEP_2) | instskip(SKIP_1) | instid1(VALU_DEP_2)
	v_add_co_u32 v18, vcc_lo, v13, v28
	s_wait_alu 0xfffd
	v_add_co_ci_u32_e64 v19, null, 0, v14, vcc_lo
	s_delay_alu instid0(VALU_DEP_2) | instskip(SKIP_1) | instid1(VALU_DEP_3)
	v_mul_lo_u32 v25, s71, v18
	v_mad_co_u64_u32 v[13:14], null, s70, v18, 0
	v_mul_lo_u32 v28, s70, v19
	s_delay_alu instid0(VALU_DEP_2) | instskip(NEXT) | instid1(VALU_DEP_2)
	v_sub_co_u32 v2, vcc_lo, v2, v13
	v_add3_u32 v14, v14, v28, v25
	s_delay_alu instid0(VALU_DEP_1) | instskip(SKIP_2) | instid1(VALU_DEP_2)
	v_sub_nc_u32_e32 v25, v22, v14
	s_wait_alu 0xfffd
	v_sub_co_ci_u32_e64 v14, null, v22, v14, vcc_lo
	v_subrev_co_ci_u32_e64 v13, null, s71, v25, vcc_lo
	v_add_co_u32 v25, s0, v18, 2
	s_wait_alu 0xf1ff
	v_add_co_ci_u32_e64 v28, null, 0, v19, s0
	v_sub_co_u32 v29, s0, v2, s70
	s_wait_alu 0xf1ff
	v_subrev_co_ci_u32_e64 v13, null, 0, v13, s0
	s_delay_alu instid0(VALU_DEP_2) | instskip(SKIP_2) | instid1(VALU_DEP_3)
	v_cmp_le_u32_e32 vcc_lo, s70, v29
	s_wait_alu 0xfffd
	v_cndmask_b32_e64 v22, 0, -1, vcc_lo
	v_cmp_le_u32_e32 vcc_lo, s71, v13
	s_wait_alu 0xfffd
	v_cndmask_b32_e64 v29, 0, -1, vcc_lo
	v_cmp_le_u32_e32 vcc_lo, s70, v2
	s_wait_alu 0xfffd
	v_cndmask_b32_e64 v2, 0, -1, vcc_lo
	v_cmp_le_u32_e32 vcc_lo, s71, v14
	s_wait_alu 0xfffd
	v_cndmask_b32_e64 v30, 0, -1, vcc_lo
	v_cmp_eq_u32_e32 vcc_lo, s71, v13
	s_wait_alu 0xfffd
	v_cndmask_b32_e32 v13, v29, v22, vcc_lo
	v_add_co_u32 v22, vcc_lo, v18, 1
	s_wait_alu 0xfffd
	v_add_co_ci_u32_e64 v29, null, 0, v19, vcc_lo
	v_cmp_eq_u32_e32 vcc_lo, s71, v14
	v_xor_b32_e32 v14, s68, v21
	s_wait_alu 0xfffd
	v_cndmask_b32_e32 v2, v30, v2, vcc_lo
	v_cmp_ne_u32_e32 vcc_lo, 0, v13
	s_wait_alu 0xfffd
	v_cndmask_b32_e32 v13, v29, v28, vcc_lo
	s_delay_alu instid0(VALU_DEP_3) | instskip(SKIP_2) | instid1(VALU_DEP_2)
	v_cmp_ne_u32_e64 s0, 0, v2
	v_cndmask_b32_e32 v2, v22, v25, vcc_lo
	s_wait_alu 0xf1ff
	v_cndmask_b32_e64 v13, v19, v13, s0
	s_delay_alu instid0(VALU_DEP_2) | instskip(NEXT) | instid1(VALU_DEP_2)
	v_cndmask_b32_e64 v2, v18, v2, s0
	v_xor_b32_e32 v18, v13, v14
	s_delay_alu instid0(VALU_DEP_2) | instskip(NEXT) | instid1(VALU_DEP_1)
	v_xor_b32_e32 v2, v2, v14
	v_sub_co_u32 v13, vcc_lo, v2, v14
	s_wait_alu 0xfffd
	s_delay_alu instid0(VALU_DEP_3)
	v_sub_co_ci_u32_e64 v14, null, v18, v14, vcc_lo
.LBB43_13:                              ;   in Loop: Header=BB43_3 Depth=1
	s_wait_alu 0xfffe
	s_and_not1_saveexec_b32 s0, s67
	s_cbranch_execz .LBB43_15
; %bb.14:                               ;   in Loop: Header=BB43_3 Depth=1
	s_sub_co_i32 s67, 0, s2
	s_wait_alu 0xfffe
	v_mul_lo_u32 v2, s67, v15
	s_delay_alu instid0(VALU_DEP_1) | instskip(NEXT) | instid1(VALU_DEP_1)
	v_mul_hi_u32 v2, v15, v2
	v_add_nc_u32_e32 v2, v15, v2
	s_delay_alu instid0(VALU_DEP_1) | instskip(NEXT) | instid1(VALU_DEP_1)
	v_mul_hi_u32 v2, v24, v2
	v_mul_lo_u32 v13, v2, s2
	v_add_nc_u32_e32 v14, 1, v2
	s_delay_alu instid0(VALU_DEP_2) | instskip(NEXT) | instid1(VALU_DEP_1)
	v_sub_nc_u32_e32 v13, v24, v13
	v_subrev_nc_u32_e32 v18, s2, v13
	v_cmp_le_u32_e32 vcc_lo, s2, v13
	s_wait_alu 0xfffd
	s_delay_alu instid0(VALU_DEP_2) | instskip(SKIP_1) | instid1(VALU_DEP_2)
	v_cndmask_b32_e32 v13, v13, v18, vcc_lo
	v_cndmask_b32_e32 v2, v2, v14, vcc_lo
	v_cmp_le_u32_e32 vcc_lo, s2, v13
	s_delay_alu instid0(VALU_DEP_2) | instskip(SKIP_1) | instid1(VALU_DEP_1)
	v_add_nc_u32_e32 v14, 1, v2
	s_wait_alu 0xfffd
	v_dual_cndmask_b32 v13, v2, v14 :: v_dual_mov_b32 v14, v1
.LBB43_15:                              ;   in Loop: Header=BB43_3 Depth=1
	s_wait_alu 0xfffe
	s_or_b32 exec_lo, exec_lo, s0
	s_delay_alu instid0(VALU_DEP_1) | instskip(NEXT) | instid1(VALU_DEP_2)
	v_mul_lo_u32 v2, v14, s2
	v_mul_lo_u32 v22, v13, s3
	v_mad_co_u64_u32 v[18:19], null, v13, s2, 0
	v_mul_lo_u32 v25, v13, s9
	s_mov_b32 s0, exec_lo
	s_delay_alu instid0(VALU_DEP_2) | instskip(SKIP_1) | instid1(VALU_DEP_4)
	v_add3_u32 v2, v19, v22, v2
	v_mul_lo_u32 v22, v14, s8
	v_sub_co_u32 v14, vcc_lo, v9, v18
	s_wait_alu 0xfffd
	s_delay_alu instid0(VALU_DEP_3) | instskip(NEXT) | instid1(VALU_DEP_2)
	v_sub_co_ci_u32_e64 v2, null, v10, v2, vcc_lo
	v_add_co_u32 v18, vcc_lo, v3, v14
	v_mad_co_u64_u32 v[13:14], null, v13, s8, 0
	s_wait_alu 0xfffd
	s_delay_alu instid0(VALU_DEP_3) | instskip(NEXT) | instid1(VALU_DEP_3)
	v_add_co_ci_u32_e64 v2, null, v4, v2, vcc_lo
	v_mul_lo_u32 v28, v18, s11
	v_mad_co_u64_u32 v[18:19], null, v18, s10, 0
	s_delay_alu instid0(VALU_DEP_3) | instskip(SKIP_1) | instid1(VALU_DEP_1)
	v_mul_lo_u32 v2, v2, s10
	v_add3_u32 v14, v14, v25, v22
	v_lshlrev_b64_e32 v[13:14], 1, v[13:14]
	s_delay_alu instid0(VALU_DEP_3) | instskip(NEXT) | instid1(VALU_DEP_2)
	v_add3_u32 v19, v19, v28, v2
	v_add_co_u32 v2, vcc_lo, s28, v13
	s_delay_alu instid0(VALU_DEP_2) | instskip(SKIP_1) | instid1(VALU_DEP_4)
	v_lshlrev_b64_e32 v[18:19], 1, v[18:19]
	s_wait_alu 0xfffd
	v_add_co_ci_u32_e64 v14, null, s29, v14, vcc_lo
	s_delay_alu instid0(VALU_DEP_2) | instskip(SKIP_1) | instid1(VALU_DEP_2)
	v_add_co_u32 v13, vcc_lo, v2, v18
	s_wait_alu 0xfffd
	v_add_co_ci_u32_e64 v14, null, v14, v19, vcc_lo
	v_add_co_u32 v2, vcc_lo, v11, 2
	s_wait_alu 0xfffd
	v_add_co_ci_u32_e64 v11, null, 0, v12, vcc_lo
	global_load_u16 v18, v[13:14], off
	v_mul_lo_u32 v13, s5, v2
	v_mul_lo_u32 v14, s4, v11
	v_mad_co_u64_u32 v[11:12], null, s4, v2, 0
	s_delay_alu instid0(VALU_DEP_1) | instskip(NEXT) | instid1(VALU_DEP_2)
	v_add3_u32 v12, v12, v14, v13
	v_add_co_u32 v25, vcc_lo, v3, v11
                                        ; implicit-def: $vgpr13_vgpr14
	s_wait_alu 0xfffd
	s_delay_alu instid0(VALU_DEP_2) | instskip(NEXT) | instid1(VALU_DEP_1)
	v_add_co_ci_u32_e64 v28, null, v4, v12, vcc_lo
	v_or_b32_e32 v2, s3, v28
	v_ashrrev_i32_e32 v22, 31, v28
	s_delay_alu instid0(VALU_DEP_2)
	v_cmpx_ne_u64_e32 0, v[1:2]
	s_wait_alu 0xfffe
	s_xor_b32 s67, exec_lo, s0
	s_cbranch_execz .LBB43_17
; %bb.16:                               ;   in Loop: Header=BB43_3 Depth=1
	s_ashr_i32 s68, s3, 31
	v_add_co_u32 v2, vcc_lo, v25, v22
	s_wait_alu 0xfffe
	s_mov_b32 s69, s68
	s_wait_alu 0xfffd
	v_add_co_ci_u32_e64 v13, null, v28, v22, vcc_lo
	s_wait_alu 0xfffe
	s_add_nc_u64 s[70:71], s[2:3], s[68:69]
	v_xor_b32_e32 v2, v2, v22
	s_wait_alu 0xfffe
	s_xor_b64 s[70:71], s[70:71], s[68:69]
	v_xor_b32_e32 v19, v13, v22
	s_wait_alu 0xfffe
	s_cvt_f32_u32 s0, s70
	s_cvt_f32_u32 s69, s71
	s_sub_nc_u64 s[78:79], 0, s[70:71]
	s_wait_alu 0xfffe
	s_delay_alu instid0(SALU_CYCLE_1) | instskip(SKIP_1) | instid1(SALU_CYCLE_2)
	s_fmamk_f32 s0, s69, 0x4f800000, s0
	s_wait_alu 0xfffe
	v_s_rcp_f32 s0, s0
	s_delay_alu instid0(TRANS32_DEP_1) | instskip(SKIP_1) | instid1(SALU_CYCLE_2)
	s_mul_f32 s0, s0, 0x5f7ffffc
	s_wait_alu 0xfffe
	s_mul_f32 s69, s0, 0x2f800000
	s_wait_alu 0xfffe
	s_delay_alu instid0(SALU_CYCLE_2) | instskip(SKIP_1) | instid1(SALU_CYCLE_2)
	s_trunc_f32 s69, s69
	s_wait_alu 0xfffe
	s_fmamk_f32 s0, s69, 0xcf800000, s0
	s_cvt_u32_f32 s77, s69
	s_wait_alu 0xfffe
	s_delay_alu instid0(SALU_CYCLE_1) | instskip(NEXT) | instid1(SALU_CYCLE_3)
	s_cvt_u32_f32 s76, s0
	s_mul_u64 s[80:81], s[78:79], s[76:77]
	s_delay_alu instid0(SALU_CYCLE_1)
	s_mul_hi_u32 s83, s76, s81
	s_mul_i32 s82, s76, s81
	s_mul_hi_u32 s0, s76, s80
	s_mul_i32 s75, s77, s80
	s_wait_alu 0xfffe
	s_add_nc_u64 s[82:83], s[0:1], s[82:83]
	s_mul_hi_u32 s69, s77, s80
	s_mul_hi_u32 s84, s77, s81
	s_add_co_u32 s0, s82, s75
	s_wait_alu 0xfffe
	s_add_co_ci_u32 s0, s83, s69
	s_mul_i32 s80, s77, s81
	s_add_co_ci_u32 s81, s84, 0
	s_wait_alu 0xfffe
	s_add_nc_u64 s[80:81], s[0:1], s[80:81]
	s_delay_alu instid0(SALU_CYCLE_1) | instskip(SKIP_4) | instid1(SALU_CYCLE_1)
	s_add_co_u32 s76, s76, s80
	s_cselect_b32 s0, -1, 0
	s_wait_alu 0xfffe
	s_cmp_lg_u32 s0, 0
	s_add_co_ci_u32 s77, s77, s81
	s_mul_u64 s[78:79], s[78:79], s[76:77]
	s_delay_alu instid0(SALU_CYCLE_1)
	s_mul_hi_u32 s81, s76, s79
	s_mul_i32 s80, s76, s79
	s_mul_hi_u32 s0, s76, s78
	s_mul_i32 s75, s77, s78
	s_wait_alu 0xfffe
	s_add_nc_u64 s[80:81], s[0:1], s[80:81]
	s_mul_hi_u32 s69, s77, s78
	s_mul_hi_u32 s82, s77, s79
	s_add_co_u32 s0, s80, s75
	s_wait_alu 0xfffe
	s_add_co_ci_u32 s0, s81, s69
	s_mul_i32 s78, s77, s79
	s_add_co_ci_u32 s79, s82, 0
	s_wait_alu 0xfffe
	s_add_nc_u64 s[78:79], s[0:1], s[78:79]
	s_delay_alu instid0(SALU_CYCLE_1)
	s_add_co_u32 s0, s76, s78
	s_cselect_b32 s69, -1, 0
	s_wait_alu 0xfffe
	v_mul_hi_u32 v33, v2, s0
	s_cmp_lg_u32 s69, 0
	v_mad_co_u64_u32 v[29:30], null, v19, s0, 0
	s_add_co_ci_u32 s69, s77, s79
	s_wait_alu 0xfffe
	v_mad_co_u64_u32 v[13:14], null, v2, s69, 0
	v_mad_co_u64_u32 v[31:32], null, v19, s69, 0
	s_delay_alu instid0(VALU_DEP_2) | instskip(SKIP_1) | instid1(VALU_DEP_3)
	v_add_co_u32 v13, vcc_lo, v33, v13
	s_wait_alu 0xfffd
	v_add_co_ci_u32_e64 v14, null, 0, v14, vcc_lo
	s_delay_alu instid0(VALU_DEP_2) | instskip(SKIP_1) | instid1(VALU_DEP_2)
	v_add_co_u32 v13, vcc_lo, v13, v29
	s_wait_alu 0xfffd
	v_add_co_ci_u32_e32 v13, vcc_lo, v14, v30, vcc_lo
	s_wait_alu 0xfffd
	v_add_co_ci_u32_e32 v14, vcc_lo, 0, v32, vcc_lo
	s_delay_alu instid0(VALU_DEP_2) | instskip(SKIP_1) | instid1(VALU_DEP_2)
	v_add_co_u32 v29, vcc_lo, v13, v31
	s_wait_alu 0xfffd
	v_add_co_ci_u32_e64 v30, null, 0, v14, vcc_lo
	s_delay_alu instid0(VALU_DEP_2) | instskip(SKIP_1) | instid1(VALU_DEP_3)
	v_mul_lo_u32 v31, s71, v29
	v_mad_co_u64_u32 v[13:14], null, s70, v29, 0
	v_mul_lo_u32 v32, s70, v30
	s_delay_alu instid0(VALU_DEP_2) | instskip(NEXT) | instid1(VALU_DEP_2)
	v_sub_co_u32 v2, vcc_lo, v2, v13
	v_add3_u32 v14, v14, v32, v31
	s_delay_alu instid0(VALU_DEP_1) | instskip(SKIP_2) | instid1(VALU_DEP_2)
	v_sub_nc_u32_e32 v31, v19, v14
	s_wait_alu 0xfffd
	v_sub_co_ci_u32_e64 v14, null, v19, v14, vcc_lo
	v_subrev_co_ci_u32_e64 v13, null, s71, v31, vcc_lo
	v_add_co_u32 v31, s0, v29, 2
	s_wait_alu 0xf1ff
	v_add_co_ci_u32_e64 v32, null, 0, v30, s0
	v_sub_co_u32 v33, s0, v2, s70
	s_wait_alu 0xf1ff
	v_subrev_co_ci_u32_e64 v13, null, 0, v13, s0
	s_delay_alu instid0(VALU_DEP_2) | instskip(SKIP_2) | instid1(VALU_DEP_3)
	v_cmp_le_u32_e32 vcc_lo, s70, v33
	s_wait_alu 0xfffd
	v_cndmask_b32_e64 v19, 0, -1, vcc_lo
	v_cmp_le_u32_e32 vcc_lo, s71, v13
	s_wait_alu 0xfffd
	v_cndmask_b32_e64 v33, 0, -1, vcc_lo
	;; [unrolled: 3-line block ×4, first 2 shown]
	v_cmp_eq_u32_e32 vcc_lo, s71, v13
	s_wait_alu 0xfffd
	v_cndmask_b32_e32 v13, v33, v19, vcc_lo
	v_add_co_u32 v19, vcc_lo, v29, 1
	s_wait_alu 0xfffd
	v_add_co_ci_u32_e64 v33, null, 0, v30, vcc_lo
	v_cmp_eq_u32_e32 vcc_lo, s71, v14
	v_xor_b32_e32 v14, s68, v22
	s_wait_alu 0xfffd
	v_cndmask_b32_e32 v2, v34, v2, vcc_lo
	v_cmp_ne_u32_e32 vcc_lo, 0, v13
	s_delay_alu instid0(VALU_DEP_2) | instskip(SKIP_3) | instid1(VALU_DEP_1)
	v_cmp_ne_u32_e64 s0, 0, v2
	s_wait_alu 0xfffd
	v_dual_cndmask_b32 v13, v33, v32 :: v_dual_cndmask_b32 v2, v19, v31
	s_wait_alu 0xf1ff
	v_cndmask_b32_e64 v13, v30, v13, s0
	s_delay_alu instid0(VALU_DEP_2) | instskip(NEXT) | instid1(VALU_DEP_2)
	v_cndmask_b32_e64 v2, v29, v2, s0
	v_xor_b32_e32 v19, v13, v14
	s_delay_alu instid0(VALU_DEP_2) | instskip(NEXT) | instid1(VALU_DEP_1)
	v_xor_b32_e32 v2, v2, v14
	v_sub_co_u32 v13, vcc_lo, v2, v14
	s_wait_alu 0xfffd
	s_delay_alu instid0(VALU_DEP_3)
	v_sub_co_ci_u32_e64 v14, null, v19, v14, vcc_lo
.LBB43_17:                              ;   in Loop: Header=BB43_3 Depth=1
	s_wait_alu 0xfffe
	s_and_not1_saveexec_b32 s0, s67
	s_cbranch_execz .LBB43_19
; %bb.18:                               ;   in Loop: Header=BB43_3 Depth=1
	s_sub_co_i32 s67, 0, s2
	s_wait_alu 0xfffe
	v_mul_lo_u32 v2, s67, v15
	s_delay_alu instid0(VALU_DEP_1) | instskip(NEXT) | instid1(VALU_DEP_1)
	v_mul_hi_u32 v2, v15, v2
	v_add_nc_u32_e32 v2, v15, v2
	s_delay_alu instid0(VALU_DEP_1) | instskip(NEXT) | instid1(VALU_DEP_1)
	v_mul_hi_u32 v2, v25, v2
	v_mul_lo_u32 v13, v2, s2
	v_add_nc_u32_e32 v14, 1, v2
	s_delay_alu instid0(VALU_DEP_2) | instskip(NEXT) | instid1(VALU_DEP_1)
	v_sub_nc_u32_e32 v13, v25, v13
	v_subrev_nc_u32_e32 v19, s2, v13
	v_cmp_le_u32_e32 vcc_lo, s2, v13
	s_wait_alu 0xfffd
	s_delay_alu instid0(VALU_DEP_2) | instskip(NEXT) | instid1(VALU_DEP_1)
	v_dual_cndmask_b32 v13, v13, v19 :: v_dual_cndmask_b32 v2, v2, v14
	v_cmp_le_u32_e32 vcc_lo, s2, v13
	s_delay_alu instid0(VALU_DEP_2) | instskip(SKIP_1) | instid1(VALU_DEP_1)
	v_add_nc_u32_e32 v14, 1, v2
	s_wait_alu 0xfffd
	v_dual_cndmask_b32 v13, v2, v14 :: v_dual_mov_b32 v14, v1
.LBB43_19:                              ;   in Loop: Header=BB43_3 Depth=1
	s_wait_alu 0xfffe
	s_or_b32 exec_lo, exec_lo, s0
	s_delay_alu instid0(VALU_DEP_1) | instskip(NEXT) | instid1(VALU_DEP_2)
	v_mul_lo_u32 v2, v14, s2
	v_mul_lo_u32 v19, v13, s3
	v_mad_co_u64_u32 v[29:30], null, v13, s2, 0
	v_mul_lo_u32 v31, v13, s9
	s_mov_b32 s0, exec_lo
	s_delay_alu instid0(VALU_DEP_2) | instskip(SKIP_1) | instid1(VALU_DEP_4)
	v_add3_u32 v2, v30, v19, v2
	v_mul_lo_u32 v19, v14, s8
	v_sub_co_u32 v14, vcc_lo, v11, v29
	s_wait_alu 0xfffd
	s_delay_alu instid0(VALU_DEP_3) | instskip(NEXT) | instid1(VALU_DEP_2)
	v_sub_co_ci_u32_e64 v2, null, v12, v2, vcc_lo
	v_add_co_u32 v29, vcc_lo, v3, v14
	v_mad_co_u64_u32 v[13:14], null, v13, s8, 0
	s_wait_alu 0xfffd
	s_delay_alu instid0(VALU_DEP_3) | instskip(NEXT) | instid1(VALU_DEP_3)
	v_add_co_ci_u32_e64 v2, null, v4, v2, vcc_lo
	v_mul_lo_u32 v32, v29, s11
	v_mad_co_u64_u32 v[29:30], null, v29, s10, 0
	s_delay_alu instid0(VALU_DEP_3) | instskip(SKIP_1) | instid1(VALU_DEP_1)
	v_mul_lo_u32 v2, v2, s10
	v_add3_u32 v14, v14, v31, v19
	v_lshlrev_b64_e32 v[13:14], 1, v[13:14]
	s_delay_alu instid0(VALU_DEP_3) | instskip(NEXT) | instid1(VALU_DEP_2)
	v_add3_u32 v30, v30, v32, v2
	v_add_co_u32 v2, vcc_lo, s28, v13
	s_delay_alu instid0(VALU_DEP_2) | instskip(SKIP_1) | instid1(VALU_DEP_4)
	v_lshlrev_b64_e32 v[29:30], 1, v[29:30]
	s_wait_alu 0xfffd
	v_add_co_ci_u32_e64 v14, null, s29, v14, vcc_lo
	s_delay_alu instid0(VALU_DEP_2) | instskip(SKIP_1) | instid1(VALU_DEP_2)
	v_add_co_u32 v13, vcc_lo, v2, v29
	s_wait_alu 0xfffd
	v_add_co_ci_u32_e64 v14, null, v14, v30, vcc_lo
	v_or_b32_e32 v2, s37, v26
	global_load_u16 v19, v[13:14], off
                                        ; implicit-def: $vgpr13_vgpr14
	v_cmpx_ne_u64_e32 0, v[1:2]
	s_wait_alu 0xfffe
	s_xor_b32 s67, exec_lo, s0
	s_cbranch_execz .LBB43_21
; %bb.20:                               ;   in Loop: Header=BB43_3 Depth=1
	s_ashr_i32 s68, s37, 31
	v_add_co_u32 v2, vcc_lo, v23, v20
	s_wait_alu 0xfffe
	s_mov_b32 s69, s68
	s_wait_alu 0xfffd
	v_add_co_ci_u32_e64 v13, null, v26, v20, vcc_lo
	s_wait_alu 0xfffe
	s_add_nc_u64 s[70:71], s[36:37], s[68:69]
	v_xor_b32_e32 v2, v2, v20
	s_wait_alu 0xfffe
	s_xor_b64 s[70:71], s[70:71], s[68:69]
	v_xor_b32_e32 v23, v13, v20
	s_wait_alu 0xfffe
	s_cvt_f32_u32 s0, s70
	s_cvt_f32_u32 s69, s71
	s_sub_nc_u64 s[78:79], 0, s[70:71]
	s_wait_alu 0xfffe
	s_delay_alu instid0(SALU_CYCLE_1) | instskip(SKIP_1) | instid1(SALU_CYCLE_2)
	s_fmamk_f32 s0, s69, 0x4f800000, s0
	s_wait_alu 0xfffe
	v_s_rcp_f32 s0, s0
	s_delay_alu instid0(TRANS32_DEP_1) | instskip(SKIP_1) | instid1(SALU_CYCLE_2)
	s_mul_f32 s0, s0, 0x5f7ffffc
	s_wait_alu 0xfffe
	s_mul_f32 s69, s0, 0x2f800000
	s_wait_alu 0xfffe
	s_delay_alu instid0(SALU_CYCLE_2) | instskip(SKIP_1) | instid1(SALU_CYCLE_2)
	s_trunc_f32 s69, s69
	s_wait_alu 0xfffe
	s_fmamk_f32 s0, s69, 0xcf800000, s0
	s_cvt_u32_f32 s77, s69
	s_wait_alu 0xfffe
	s_delay_alu instid0(SALU_CYCLE_1) | instskip(NEXT) | instid1(SALU_CYCLE_3)
	s_cvt_u32_f32 s76, s0
	s_mul_u64 s[80:81], s[78:79], s[76:77]
	s_delay_alu instid0(SALU_CYCLE_1)
	s_mul_hi_u32 s83, s76, s81
	s_mul_i32 s82, s76, s81
	s_mul_hi_u32 s0, s76, s80
	s_mul_i32 s75, s77, s80
	s_wait_alu 0xfffe
	s_add_nc_u64 s[82:83], s[0:1], s[82:83]
	s_mul_hi_u32 s69, s77, s80
	s_mul_hi_u32 s84, s77, s81
	s_add_co_u32 s0, s82, s75
	s_wait_alu 0xfffe
	s_add_co_ci_u32 s0, s83, s69
	s_mul_i32 s80, s77, s81
	s_add_co_ci_u32 s81, s84, 0
	s_wait_alu 0xfffe
	s_add_nc_u64 s[80:81], s[0:1], s[80:81]
	s_delay_alu instid0(SALU_CYCLE_1) | instskip(SKIP_4) | instid1(SALU_CYCLE_1)
	s_add_co_u32 s76, s76, s80
	s_cselect_b32 s0, -1, 0
	s_wait_alu 0xfffe
	s_cmp_lg_u32 s0, 0
	s_add_co_ci_u32 s77, s77, s81
	s_mul_u64 s[78:79], s[78:79], s[76:77]
	s_delay_alu instid0(SALU_CYCLE_1)
	s_mul_hi_u32 s81, s76, s79
	s_mul_i32 s80, s76, s79
	s_mul_hi_u32 s0, s76, s78
	s_mul_i32 s75, s77, s78
	s_wait_alu 0xfffe
	s_add_nc_u64 s[80:81], s[0:1], s[80:81]
	s_mul_hi_u32 s69, s77, s78
	s_mul_hi_u32 s82, s77, s79
	s_add_co_u32 s0, s80, s75
	s_wait_alu 0xfffe
	s_add_co_ci_u32 s0, s81, s69
	s_mul_i32 s78, s77, s79
	s_add_co_ci_u32 s79, s82, 0
	s_wait_alu 0xfffe
	s_add_nc_u64 s[78:79], s[0:1], s[78:79]
	s_delay_alu instid0(SALU_CYCLE_1)
	s_add_co_u32 s0, s76, s78
	s_cselect_b32 s69, -1, 0
	s_wait_alu 0xfffe
	v_mul_hi_u32 v26, v2, s0
	s_cmp_lg_u32 s69, 0
	v_mad_co_u64_u32 v[29:30], null, v23, s0, 0
	s_add_co_ci_u32 s69, s77, s79
	s_wait_alu 0xfffe
	v_mad_co_u64_u32 v[13:14], null, v2, s69, 0
	v_mad_co_u64_u32 v[31:32], null, v23, s69, 0
	s_delay_alu instid0(VALU_DEP_2) | instskip(SKIP_1) | instid1(VALU_DEP_3)
	v_add_co_u32 v13, vcc_lo, v26, v13
	s_wait_alu 0xfffd
	v_add_co_ci_u32_e64 v14, null, 0, v14, vcc_lo
	s_delay_alu instid0(VALU_DEP_2) | instskip(SKIP_1) | instid1(VALU_DEP_2)
	v_add_co_u32 v13, vcc_lo, v13, v29
	s_wait_alu 0xfffd
	v_add_co_ci_u32_e32 v13, vcc_lo, v14, v30, vcc_lo
	s_wait_alu 0xfffd
	v_add_co_ci_u32_e32 v14, vcc_lo, 0, v32, vcc_lo
	s_delay_alu instid0(VALU_DEP_2) | instskip(SKIP_1) | instid1(VALU_DEP_2)
	v_add_co_u32 v26, vcc_lo, v13, v31
	s_wait_alu 0xfffd
	v_add_co_ci_u32_e64 v29, null, 0, v14, vcc_lo
	s_delay_alu instid0(VALU_DEP_2) | instskip(SKIP_1) | instid1(VALU_DEP_3)
	v_mul_lo_u32 v30, s71, v26
	v_mad_co_u64_u32 v[13:14], null, s70, v26, 0
	v_mul_lo_u32 v31, s70, v29
	s_delay_alu instid0(VALU_DEP_2) | instskip(NEXT) | instid1(VALU_DEP_2)
	v_sub_co_u32 v2, vcc_lo, v2, v13
	v_add3_u32 v14, v14, v31, v30
	s_delay_alu instid0(VALU_DEP_1) | instskip(SKIP_2) | instid1(VALU_DEP_2)
	v_sub_nc_u32_e32 v30, v23, v14
	s_wait_alu 0xfffd
	v_sub_co_ci_u32_e64 v14, null, v23, v14, vcc_lo
	v_subrev_co_ci_u32_e64 v13, null, s71, v30, vcc_lo
	v_add_co_u32 v30, s0, v26, 2
	s_wait_alu 0xf1ff
	v_add_co_ci_u32_e64 v31, null, 0, v29, s0
	v_sub_co_u32 v32, s0, v2, s70
	s_wait_alu 0xf1ff
	v_subrev_co_ci_u32_e64 v13, null, 0, v13, s0
	s_delay_alu instid0(VALU_DEP_2) | instskip(SKIP_2) | instid1(VALU_DEP_3)
	v_cmp_le_u32_e32 vcc_lo, s70, v32
	s_wait_alu 0xfffd
	v_cndmask_b32_e64 v23, 0, -1, vcc_lo
	v_cmp_le_u32_e32 vcc_lo, s71, v13
	s_wait_alu 0xfffd
	v_cndmask_b32_e64 v32, 0, -1, vcc_lo
	;; [unrolled: 3-line block ×4, first 2 shown]
	v_cmp_eq_u32_e32 vcc_lo, s71, v13
	s_wait_alu 0xfffd
	v_cndmask_b32_e32 v13, v32, v23, vcc_lo
	v_add_co_u32 v23, vcc_lo, v26, 1
	s_wait_alu 0xfffd
	v_add_co_ci_u32_e64 v32, null, 0, v29, vcc_lo
	v_cmp_eq_u32_e32 vcc_lo, s71, v14
	v_xor_b32_e32 v14, s68, v20
	s_wait_alu 0xfffd
	v_cndmask_b32_e32 v2, v33, v2, vcc_lo
	v_cmp_ne_u32_e32 vcc_lo, 0, v13
	s_delay_alu instid0(VALU_DEP_2) | instskip(SKIP_3) | instid1(VALU_DEP_1)
	v_cmp_ne_u32_e64 s0, 0, v2
	s_wait_alu 0xfffd
	v_dual_cndmask_b32 v13, v32, v31 :: v_dual_cndmask_b32 v2, v23, v30
                                        ; implicit-def: $vgpr23
	s_wait_alu 0xf1ff
	v_cndmask_b32_e64 v13, v29, v13, s0
	s_delay_alu instid0(VALU_DEP_2) | instskip(NEXT) | instid1(VALU_DEP_2)
	v_cndmask_b32_e64 v2, v26, v2, s0
	v_xor_b32_e32 v20, v13, v14
	s_delay_alu instid0(VALU_DEP_2) | instskip(NEXT) | instid1(VALU_DEP_1)
	v_xor_b32_e32 v2, v2, v14
	v_sub_co_u32 v13, vcc_lo, v2, v14
	s_wait_alu 0xfffd
	s_delay_alu instid0(VALU_DEP_3)
	v_sub_co_ci_u32_e64 v14, null, v20, v14, vcc_lo
.LBB43_21:                              ;   in Loop: Header=BB43_3 Depth=1
	s_wait_alu 0xfffe
	s_or_saveexec_b32 s0, s67
	v_cvt_f32_u32_e32 v20, s36
	s_wait_alu 0xfffe
	s_xor_b32 exec_lo, exec_lo, s0
	s_cbranch_execz .LBB43_23
; %bb.22:                               ;   in Loop: Header=BB43_3 Depth=1
	s_delay_alu instid0(VALU_DEP_1) | instskip(SKIP_1) | instid1(TRANS32_DEP_1)
	v_rcp_iflag_f32_e32 v2, v20
	s_sub_co_i32 s67, 0, s36
	v_mul_f32_e32 v2, 0x4f7ffffe, v2
	s_delay_alu instid0(VALU_DEP_1) | instskip(SKIP_1) | instid1(VALU_DEP_1)
	v_cvt_u32_f32_e32 v2, v2
	s_wait_alu 0xfffe
	v_mul_lo_u32 v13, s67, v2
	s_delay_alu instid0(VALU_DEP_1) | instskip(NEXT) | instid1(VALU_DEP_1)
	v_mul_hi_u32 v13, v2, v13
	v_add_nc_u32_e32 v2, v2, v13
	s_delay_alu instid0(VALU_DEP_1) | instskip(NEXT) | instid1(VALU_DEP_1)
	v_mul_hi_u32 v2, v23, v2
	v_mul_lo_u32 v13, v2, s36
	v_add_nc_u32_e32 v14, 1, v2
	s_delay_alu instid0(VALU_DEP_2) | instskip(NEXT) | instid1(VALU_DEP_1)
	v_sub_nc_u32_e32 v13, v23, v13
	v_subrev_nc_u32_e32 v23, s36, v13
	v_cmp_le_u32_e32 vcc_lo, s36, v13
	s_wait_alu 0xfffd
	s_delay_alu instid0(VALU_DEP_2) | instskip(NEXT) | instid1(VALU_DEP_1)
	v_dual_cndmask_b32 v13, v13, v23 :: v_dual_cndmask_b32 v2, v2, v14
	v_cmp_le_u32_e32 vcc_lo, s36, v13
	s_delay_alu instid0(VALU_DEP_2) | instskip(SKIP_1) | instid1(VALU_DEP_1)
	v_add_nc_u32_e32 v14, 1, v2
	s_wait_alu 0xfffd
	v_dual_cndmask_b32 v13, v2, v14 :: v_dual_mov_b32 v14, v1
.LBB43_23:                              ;   in Loop: Header=BB43_3 Depth=1
	s_or_b32 exec_lo, exec_lo, s0
	s_delay_alu instid0(VALU_DEP_1) | instskip(NEXT) | instid1(VALU_DEP_2)
	v_mul_lo_u32 v2, v14, s36
	v_mul_lo_u32 v23, v13, s37
	v_mad_co_u64_u32 v[29:30], null, v13, s36, 0
	v_mul_lo_u32 v26, v13, s13
	s_mov_b32 s0, exec_lo
	s_delay_alu instid0(VALU_DEP_2) | instskip(NEXT) | instid1(VALU_DEP_3)
	v_add3_u32 v2, v30, v23, v2
	v_sub_co_u32 v7, vcc_lo, v7, v29
	v_mul_lo_u32 v23, v14, s12
	s_wait_alu 0xfffd
	s_delay_alu instid0(VALU_DEP_3) | instskip(NEXT) | instid1(VALU_DEP_3)
	v_sub_co_ci_u32_e64 v2, null, v8, v2, vcc_lo
	v_add_co_u32 v14, vcc_lo, v3, v7
	v_mad_co_u64_u32 v[7:8], null, v13, s12, 0
	s_wait_alu 0xfffd
	s_delay_alu instid0(VALU_DEP_3) | instskip(NEXT) | instid1(VALU_DEP_3)
	v_add_co_ci_u32_e64 v2, null, v4, v2, vcc_lo
	v_mul_lo_u32 v29, v14, s15
	v_mad_co_u64_u32 v[13:14], null, v14, s14, 0
	s_delay_alu instid0(VALU_DEP_3) | instskip(SKIP_1) | instid1(VALU_DEP_1)
	v_mul_lo_u32 v2, v2, s14
	v_add3_u32 v8, v8, v26, v23
	v_lshlrev_b64_e32 v[7:8], 1, v[7:8]
	s_delay_alu instid0(VALU_DEP_3) | instskip(NEXT) | instid1(VALU_DEP_2)
	v_add3_u32 v14, v14, v29, v2
	v_add_co_u32 v2, vcc_lo, s30, v7
	s_delay_alu instid0(VALU_DEP_2) | instskip(SKIP_1) | instid1(VALU_DEP_4)
	v_lshlrev_b64_e32 v[13:14], 1, v[13:14]
	s_wait_alu 0xfffd
	v_add_co_ci_u32_e64 v8, null, s31, v8, vcc_lo
	s_delay_alu instid0(VALU_DEP_2) | instskip(SKIP_1) | instid1(VALU_DEP_2)
	v_add_co_u32 v7, vcc_lo, v2, v13
	s_wait_alu 0xfffd
	v_add_co_ci_u32_e64 v8, null, v8, v14, vcc_lo
	v_or_b32_e32 v2, s37, v27
	global_load_u16 v14, v[7:8], off
                                        ; implicit-def: $vgpr7_vgpr8
	v_cmpx_ne_u64_e32 0, v[1:2]
	s_wait_alu 0xfffe
	s_xor_b32 s67, exec_lo, s0
	s_cbranch_execz .LBB43_25
; %bb.24:                               ;   in Loop: Header=BB43_3 Depth=1
	s_ashr_i32 s68, s37, 31
	v_add_co_u32 v2, vcc_lo, v24, v21
	s_wait_alu 0xfffe
	s_mov_b32 s69, s68
	s_wait_alu 0xfffd
	v_add_co_ci_u32_e64 v7, null, v27, v21, vcc_lo
	s_wait_alu 0xfffe
	s_add_nc_u64 s[70:71], s[36:37], s[68:69]
	v_xor_b32_e32 v2, v2, v21
	s_wait_alu 0xfffe
	s_xor_b64 s[70:71], s[70:71], s[68:69]
	v_xor_b32_e32 v13, v7, v21
	s_wait_alu 0xfffe
	s_cvt_f32_u32 s0, s70
	s_cvt_f32_u32 s69, s71
	s_sub_nc_u64 s[78:79], 0, s[70:71]
	s_wait_alu 0xfffe
	s_delay_alu instid0(SALU_CYCLE_1) | instskip(SKIP_1) | instid1(SALU_CYCLE_2)
	s_fmamk_f32 s0, s69, 0x4f800000, s0
	s_wait_alu 0xfffe
	v_s_rcp_f32 s0, s0
	s_delay_alu instid0(TRANS32_DEP_1) | instskip(SKIP_1) | instid1(SALU_CYCLE_2)
	s_mul_f32 s0, s0, 0x5f7ffffc
	s_wait_alu 0xfffe
	s_mul_f32 s69, s0, 0x2f800000
	s_wait_alu 0xfffe
	s_delay_alu instid0(SALU_CYCLE_2) | instskip(SKIP_1) | instid1(SALU_CYCLE_2)
	s_trunc_f32 s69, s69
	s_wait_alu 0xfffe
	s_fmamk_f32 s0, s69, 0xcf800000, s0
	s_cvt_u32_f32 s77, s69
	s_wait_alu 0xfffe
	s_delay_alu instid0(SALU_CYCLE_1) | instskip(NEXT) | instid1(SALU_CYCLE_3)
	s_cvt_u32_f32 s76, s0
	s_mul_u64 s[80:81], s[78:79], s[76:77]
	s_delay_alu instid0(SALU_CYCLE_1)
	s_mul_hi_u32 s83, s76, s81
	s_mul_i32 s82, s76, s81
	s_mul_hi_u32 s0, s76, s80
	s_mul_i32 s75, s77, s80
	s_wait_alu 0xfffe
	s_add_nc_u64 s[82:83], s[0:1], s[82:83]
	s_mul_hi_u32 s69, s77, s80
	s_mul_hi_u32 s84, s77, s81
	s_add_co_u32 s0, s82, s75
	s_wait_alu 0xfffe
	s_add_co_ci_u32 s0, s83, s69
	s_mul_i32 s80, s77, s81
	s_add_co_ci_u32 s81, s84, 0
	s_wait_alu 0xfffe
	s_add_nc_u64 s[80:81], s[0:1], s[80:81]
	s_delay_alu instid0(SALU_CYCLE_1) | instskip(SKIP_4) | instid1(SALU_CYCLE_1)
	s_add_co_u32 s76, s76, s80
	s_cselect_b32 s0, -1, 0
	s_wait_alu 0xfffe
	s_cmp_lg_u32 s0, 0
	s_add_co_ci_u32 s77, s77, s81
	s_mul_u64 s[78:79], s[78:79], s[76:77]
	s_delay_alu instid0(SALU_CYCLE_1)
	s_mul_hi_u32 s81, s76, s79
	s_mul_i32 s80, s76, s79
	s_mul_hi_u32 s0, s76, s78
	s_mul_i32 s75, s77, s78
	s_wait_alu 0xfffe
	s_add_nc_u64 s[80:81], s[0:1], s[80:81]
	s_mul_hi_u32 s69, s77, s78
	s_mul_hi_u32 s82, s77, s79
	s_add_co_u32 s0, s80, s75
	s_wait_alu 0xfffe
	s_add_co_ci_u32 s0, s81, s69
	s_mul_i32 s78, s77, s79
	s_add_co_ci_u32 s79, s82, 0
	s_wait_alu 0xfffe
	s_add_nc_u64 s[78:79], s[0:1], s[78:79]
	s_delay_alu instid0(SALU_CYCLE_1)
	s_add_co_u32 s0, s76, s78
	s_cselect_b32 s69, -1, 0
	s_wait_alu 0xfffe
	v_mul_hi_u32 v29, v2, s0
	s_cmp_lg_u32 s69, 0
	v_mad_co_u64_u32 v[23:24], null, v13, s0, 0
	s_add_co_ci_u32 s69, s77, s79
	s_wait_alu 0xfffe
	v_mad_co_u64_u32 v[7:8], null, v2, s69, 0
	v_mad_co_u64_u32 v[26:27], null, v13, s69, 0
	s_delay_alu instid0(VALU_DEP_2) | instskip(SKIP_1) | instid1(VALU_DEP_3)
	v_add_co_u32 v7, vcc_lo, v29, v7
	s_wait_alu 0xfffd
	v_add_co_ci_u32_e64 v8, null, 0, v8, vcc_lo
	s_delay_alu instid0(VALU_DEP_2) | instskip(SKIP_1) | instid1(VALU_DEP_2)
	v_add_co_u32 v7, vcc_lo, v7, v23
	s_wait_alu 0xfffd
	v_add_co_ci_u32_e32 v7, vcc_lo, v8, v24, vcc_lo
	s_wait_alu 0xfffd
	v_add_co_ci_u32_e32 v8, vcc_lo, 0, v27, vcc_lo
	s_delay_alu instid0(VALU_DEP_2) | instskip(SKIP_1) | instid1(VALU_DEP_2)
	v_add_co_u32 v23, vcc_lo, v7, v26
	s_wait_alu 0xfffd
	v_add_co_ci_u32_e64 v24, null, 0, v8, vcc_lo
	s_delay_alu instid0(VALU_DEP_2) | instskip(SKIP_1) | instid1(VALU_DEP_3)
	v_mul_lo_u32 v26, s71, v23
	v_mad_co_u64_u32 v[7:8], null, s70, v23, 0
	v_mul_lo_u32 v27, s70, v24
	s_delay_alu instid0(VALU_DEP_2) | instskip(NEXT) | instid1(VALU_DEP_2)
	v_sub_co_u32 v2, vcc_lo, v2, v7
	v_add3_u32 v8, v8, v27, v26
	s_delay_alu instid0(VALU_DEP_1) | instskip(SKIP_2) | instid1(VALU_DEP_2)
	v_sub_nc_u32_e32 v26, v13, v8
	s_wait_alu 0xfffd
	v_sub_co_ci_u32_e64 v8, null, v13, v8, vcc_lo
	v_subrev_co_ci_u32_e64 v7, null, s71, v26, vcc_lo
	v_add_co_u32 v26, s0, v23, 2
	s_wait_alu 0xf1ff
	v_add_co_ci_u32_e64 v27, null, 0, v24, s0
	v_sub_co_u32 v29, s0, v2, s70
	s_wait_alu 0xf1ff
	v_subrev_co_ci_u32_e64 v7, null, 0, v7, s0
	s_delay_alu instid0(VALU_DEP_2) | instskip(SKIP_2) | instid1(VALU_DEP_3)
	v_cmp_le_u32_e32 vcc_lo, s70, v29
	s_wait_alu 0xfffd
	v_cndmask_b32_e64 v13, 0, -1, vcc_lo
	v_cmp_le_u32_e32 vcc_lo, s71, v7
	s_wait_alu 0xfffd
	v_cndmask_b32_e64 v29, 0, -1, vcc_lo
	v_cmp_le_u32_e32 vcc_lo, s70, v2
	s_wait_alu 0xfffd
	v_cndmask_b32_e64 v2, 0, -1, vcc_lo
	v_cmp_le_u32_e32 vcc_lo, s71, v8
	s_wait_alu 0xfffd
	v_cndmask_b32_e64 v30, 0, -1, vcc_lo
	v_cmp_eq_u32_e32 vcc_lo, s71, v7
	s_wait_alu 0xfffd
	v_cndmask_b32_e32 v7, v29, v13, vcc_lo
	v_add_co_u32 v13, vcc_lo, v23, 1
	s_wait_alu 0xfffd
	v_add_co_ci_u32_e64 v29, null, 0, v24, vcc_lo
	v_cmp_eq_u32_e32 vcc_lo, s71, v8
	v_xor_b32_e32 v8, s68, v21
	s_wait_alu 0xfffd
	v_cndmask_b32_e32 v2, v30, v2, vcc_lo
	v_cmp_ne_u32_e32 vcc_lo, 0, v7
	s_delay_alu instid0(VALU_DEP_2) | instskip(SKIP_4) | instid1(VALU_DEP_2)
	v_cmp_ne_u32_e64 s0, 0, v2
	s_wait_alu 0xfffd
	v_cndmask_b32_e32 v2, v13, v26, vcc_lo
	v_cndmask_b32_e32 v7, v29, v27, vcc_lo
	s_wait_alu 0xf1ff
	v_cndmask_b32_e64 v2, v23, v2, s0
	s_delay_alu instid0(VALU_DEP_2) | instskip(NEXT) | instid1(VALU_DEP_2)
	v_cndmask_b32_e64 v7, v24, v7, s0
                                        ; implicit-def: $vgpr24
	v_xor_b32_e32 v2, v2, v8
	s_delay_alu instid0(VALU_DEP_2) | instskip(NEXT) | instid1(VALU_DEP_2)
	v_xor_b32_e32 v13, v7, v8
	v_sub_co_u32 v7, vcc_lo, v2, v8
	s_wait_alu 0xfffd
	s_delay_alu instid0(VALU_DEP_2)
	v_sub_co_ci_u32_e64 v8, null, v13, v8, vcc_lo
.LBB43_25:                              ;   in Loop: Header=BB43_3 Depth=1
	s_wait_alu 0xfffe
	s_and_not1_saveexec_b32 s0, s67
	s_cbranch_execz .LBB43_27
; %bb.26:                               ;   in Loop: Header=BB43_3 Depth=1
	v_rcp_iflag_f32_e32 v2, v20
	s_sub_co_i32 s67, 0, s36
	s_delay_alu instid0(TRANS32_DEP_1) | instskip(NEXT) | instid1(VALU_DEP_1)
	v_mul_f32_e32 v2, 0x4f7ffffe, v2
	v_cvt_u32_f32_e32 v2, v2
	s_wait_alu 0xfffe
	s_delay_alu instid0(VALU_DEP_1) | instskip(NEXT) | instid1(VALU_DEP_1)
	v_mul_lo_u32 v7, s67, v2
	v_mul_hi_u32 v7, v2, v7
	s_delay_alu instid0(VALU_DEP_1) | instskip(NEXT) | instid1(VALU_DEP_1)
	v_add_nc_u32_e32 v2, v2, v7
	v_mul_hi_u32 v2, v24, v2
	s_delay_alu instid0(VALU_DEP_1) | instskip(SKIP_1) | instid1(VALU_DEP_2)
	v_mul_lo_u32 v7, v2, s36
	v_add_nc_u32_e32 v8, 1, v2
	v_sub_nc_u32_e32 v7, v24, v7
	s_delay_alu instid0(VALU_DEP_1) | instskip(SKIP_2) | instid1(VALU_DEP_2)
	v_subrev_nc_u32_e32 v13, s36, v7
	v_cmp_le_u32_e32 vcc_lo, s36, v7
	s_wait_alu 0xfffd
	v_dual_cndmask_b32 v7, v7, v13 :: v_dual_cndmask_b32 v2, v2, v8
	s_delay_alu instid0(VALU_DEP_1) | instskip(NEXT) | instid1(VALU_DEP_2)
	v_cmp_le_u32_e32 vcc_lo, s36, v7
	v_add_nc_u32_e32 v8, 1, v2
	s_wait_alu 0xfffd
	s_delay_alu instid0(VALU_DEP_1)
	v_dual_cndmask_b32 v7, v2, v8 :: v_dual_mov_b32 v8, v1
.LBB43_27:                              ;   in Loop: Header=BB43_3 Depth=1
	s_wait_alu 0xfffe
	s_or_b32 exec_lo, exec_lo, s0
	s_delay_alu instid0(VALU_DEP_1) | instskip(NEXT) | instid1(VALU_DEP_2)
	v_mul_lo_u32 v2, v8, s36
	v_mul_lo_u32 v13, v7, s37
	v_mad_co_u64_u32 v[23:24], null, v7, s36, 0
	v_mul_lo_u32 v21, v7, s13
	s_mov_b32 s0, exec_lo
	s_delay_alu instid0(VALU_DEP_2) | instskip(SKIP_1) | instid1(VALU_DEP_4)
	v_add3_u32 v2, v24, v13, v2
	v_mul_lo_u32 v13, v8, s12
	v_sub_co_u32 v8, vcc_lo, v9, v23
	s_wait_alu 0xfffd
	s_delay_alu instid0(VALU_DEP_3) | instskip(NEXT) | instid1(VALU_DEP_2)
	v_sub_co_ci_u32_e64 v2, null, v10, v2, vcc_lo
	v_add_co_u32 v9, vcc_lo, v3, v8
	v_mad_co_u64_u32 v[7:8], null, v7, s12, 0
	s_wait_alu 0xfffd
	s_delay_alu instid0(VALU_DEP_3) | instskip(NEXT) | instid1(VALU_DEP_3)
	v_add_co_ci_u32_e64 v2, null, v4, v2, vcc_lo
	v_mul_lo_u32 v23, v9, s15
	v_mad_co_u64_u32 v[9:10], null, v9, s14, 0
	s_delay_alu instid0(VALU_DEP_3) | instskip(SKIP_1) | instid1(VALU_DEP_1)
	v_mul_lo_u32 v2, v2, s14
	v_add3_u32 v8, v8, v21, v13
	v_lshlrev_b64_e32 v[7:8], 1, v[7:8]
	s_delay_alu instid0(VALU_DEP_3) | instskip(NEXT) | instid1(VALU_DEP_2)
	v_add3_u32 v10, v10, v23, v2
	v_add_co_u32 v2, vcc_lo, s30, v7
	s_delay_alu instid0(VALU_DEP_2) | instskip(SKIP_1) | instid1(VALU_DEP_4)
	v_lshlrev_b64_e32 v[9:10], 1, v[9:10]
	s_wait_alu 0xfffd
	v_add_co_ci_u32_e64 v8, null, s31, v8, vcc_lo
	s_delay_alu instid0(VALU_DEP_2) | instskip(SKIP_1) | instid1(VALU_DEP_2)
	v_add_co_u32 v7, vcc_lo, v2, v9
	s_wait_alu 0xfffd
	v_add_co_ci_u32_e64 v8, null, v8, v10, vcc_lo
	v_or_b32_e32 v2, s37, v28
	global_load_u16 v9, v[7:8], off
                                        ; implicit-def: $vgpr7_vgpr8
	v_cmpx_ne_u64_e32 0, v[1:2]
	s_wait_alu 0xfffe
	s_xor_b32 s67, exec_lo, s0
	s_cbranch_execz .LBB43_29
; %bb.28:                               ;   in Loop: Header=BB43_3 Depth=1
	s_ashr_i32 s68, s37, 31
	v_add_co_u32 v2, vcc_lo, v25, v22
	s_wait_alu 0xfffe
	s_mov_b32 s69, s68
	s_wait_alu 0xfffd
	v_add_co_ci_u32_e64 v7, null, v28, v22, vcc_lo
	s_wait_alu 0xfffe
	s_add_nc_u64 s[70:71], s[36:37], s[68:69]
	v_xor_b32_e32 v2, v2, v22
	s_wait_alu 0xfffe
	s_xor_b64 s[70:71], s[70:71], s[68:69]
	v_xor_b32_e32 v10, v7, v22
	s_wait_alu 0xfffe
	s_cvt_f32_u32 s0, s70
	s_cvt_f32_u32 s69, s71
	s_sub_nc_u64 s[78:79], 0, s[70:71]
	s_wait_alu 0xfffe
	s_delay_alu instid0(SALU_CYCLE_1) | instskip(SKIP_1) | instid1(SALU_CYCLE_2)
	s_fmamk_f32 s0, s69, 0x4f800000, s0
	s_wait_alu 0xfffe
	v_s_rcp_f32 s0, s0
	s_delay_alu instid0(TRANS32_DEP_1) | instskip(SKIP_1) | instid1(SALU_CYCLE_2)
	s_mul_f32 s0, s0, 0x5f7ffffc
	s_wait_alu 0xfffe
	s_mul_f32 s69, s0, 0x2f800000
	s_wait_alu 0xfffe
	s_delay_alu instid0(SALU_CYCLE_2) | instskip(SKIP_1) | instid1(SALU_CYCLE_2)
	s_trunc_f32 s69, s69
	s_wait_alu 0xfffe
	s_fmamk_f32 s0, s69, 0xcf800000, s0
	s_cvt_u32_f32 s77, s69
	s_wait_alu 0xfffe
	s_delay_alu instid0(SALU_CYCLE_1) | instskip(NEXT) | instid1(SALU_CYCLE_3)
	s_cvt_u32_f32 s76, s0
	s_mul_u64 s[80:81], s[78:79], s[76:77]
	s_delay_alu instid0(SALU_CYCLE_1)
	s_mul_hi_u32 s83, s76, s81
	s_mul_i32 s82, s76, s81
	s_mul_hi_u32 s0, s76, s80
	s_mul_i32 s75, s77, s80
	s_wait_alu 0xfffe
	s_add_nc_u64 s[82:83], s[0:1], s[82:83]
	s_mul_hi_u32 s69, s77, s80
	s_mul_hi_u32 s84, s77, s81
	s_add_co_u32 s0, s82, s75
	s_wait_alu 0xfffe
	s_add_co_ci_u32 s0, s83, s69
	s_mul_i32 s80, s77, s81
	s_add_co_ci_u32 s81, s84, 0
	s_wait_alu 0xfffe
	s_add_nc_u64 s[80:81], s[0:1], s[80:81]
	s_delay_alu instid0(SALU_CYCLE_1) | instskip(SKIP_4) | instid1(SALU_CYCLE_1)
	s_add_co_u32 s76, s76, s80
	s_cselect_b32 s0, -1, 0
	s_wait_alu 0xfffe
	s_cmp_lg_u32 s0, 0
	s_add_co_ci_u32 s77, s77, s81
	s_mul_u64 s[78:79], s[78:79], s[76:77]
	s_delay_alu instid0(SALU_CYCLE_1)
	s_mul_hi_u32 s81, s76, s79
	s_mul_i32 s80, s76, s79
	s_mul_hi_u32 s0, s76, s78
	s_mul_i32 s75, s77, s78
	s_wait_alu 0xfffe
	s_add_nc_u64 s[80:81], s[0:1], s[80:81]
	s_mul_hi_u32 s69, s77, s78
	s_mul_hi_u32 s82, s77, s79
	s_add_co_u32 s0, s80, s75
	s_wait_alu 0xfffe
	s_add_co_ci_u32 s0, s81, s69
	s_mul_i32 s78, s77, s79
	s_add_co_ci_u32 s79, s82, 0
	s_wait_alu 0xfffe
	s_add_nc_u64 s[78:79], s[0:1], s[78:79]
	s_delay_alu instid0(SALU_CYCLE_1)
	s_add_co_u32 s0, s76, s78
	s_cselect_b32 s69, -1, 0
	s_wait_alu 0xfffe
	v_mul_hi_u32 v13, v2, s0
	s_cmp_lg_u32 s69, 0
	v_mad_co_u64_u32 v[20:21], null, v10, s0, 0
	s_add_co_ci_u32 s69, s77, s79
	s_wait_alu 0xfffe
	v_mad_co_u64_u32 v[7:8], null, v2, s69, 0
	v_mad_co_u64_u32 v[23:24], null, v10, s69, 0
	s_delay_alu instid0(VALU_DEP_2) | instskip(SKIP_1) | instid1(VALU_DEP_3)
	v_add_co_u32 v7, vcc_lo, v13, v7
	s_wait_alu 0xfffd
	v_add_co_ci_u32_e64 v8, null, 0, v8, vcc_lo
	s_delay_alu instid0(VALU_DEP_2) | instskip(SKIP_1) | instid1(VALU_DEP_2)
	v_add_co_u32 v7, vcc_lo, v7, v20
	s_wait_alu 0xfffd
	v_add_co_ci_u32_e32 v7, vcc_lo, v8, v21, vcc_lo
	s_wait_alu 0xfffd
	v_add_co_ci_u32_e32 v8, vcc_lo, 0, v24, vcc_lo
	s_delay_alu instid0(VALU_DEP_2) | instskip(SKIP_1) | instid1(VALU_DEP_2)
	v_add_co_u32 v13, vcc_lo, v7, v23
	s_wait_alu 0xfffd
	v_add_co_ci_u32_e64 v20, null, 0, v8, vcc_lo
	s_delay_alu instid0(VALU_DEP_2) | instskip(SKIP_1) | instid1(VALU_DEP_3)
	v_mul_lo_u32 v21, s71, v13
	v_mad_co_u64_u32 v[7:8], null, s70, v13, 0
	v_mul_lo_u32 v23, s70, v20
	s_delay_alu instid0(VALU_DEP_2) | instskip(NEXT) | instid1(VALU_DEP_2)
	v_sub_co_u32 v2, vcc_lo, v2, v7
	v_add3_u32 v8, v8, v23, v21
	s_delay_alu instid0(VALU_DEP_1) | instskip(SKIP_2) | instid1(VALU_DEP_2)
	v_sub_nc_u32_e32 v21, v10, v8
	s_wait_alu 0xfffd
	v_sub_co_ci_u32_e64 v8, null, v10, v8, vcc_lo
	v_subrev_co_ci_u32_e64 v7, null, s71, v21, vcc_lo
	v_add_co_u32 v21, s0, v13, 2
	s_wait_alu 0xf1ff
	v_add_co_ci_u32_e64 v23, null, 0, v20, s0
	v_sub_co_u32 v24, s0, v2, s70
	s_wait_alu 0xf1ff
	v_subrev_co_ci_u32_e64 v7, null, 0, v7, s0
	s_delay_alu instid0(VALU_DEP_2) | instskip(SKIP_2) | instid1(VALU_DEP_3)
	v_cmp_le_u32_e32 vcc_lo, s70, v24
	s_wait_alu 0xfffd
	v_cndmask_b32_e64 v10, 0, -1, vcc_lo
	v_cmp_le_u32_e32 vcc_lo, s71, v7
	s_wait_alu 0xfffd
	v_cndmask_b32_e64 v24, 0, -1, vcc_lo
	v_cmp_le_u32_e32 vcc_lo, s70, v2
	s_wait_alu 0xfffd
	v_cndmask_b32_e64 v2, 0, -1, vcc_lo
	v_cmp_le_u32_e32 vcc_lo, s71, v8
	s_wait_alu 0xfffd
	v_cndmask_b32_e64 v25, 0, -1, vcc_lo
	v_cmp_eq_u32_e32 vcc_lo, s71, v7
	s_wait_alu 0xfffd
	v_cndmask_b32_e32 v7, v24, v10, vcc_lo
	v_add_co_u32 v10, vcc_lo, v13, 1
	s_wait_alu 0xfffd
	v_add_co_ci_u32_e64 v24, null, 0, v20, vcc_lo
	v_cmp_eq_u32_e32 vcc_lo, s71, v8
	v_xor_b32_e32 v8, s68, v22
	s_wait_alu 0xfffd
	v_cndmask_b32_e32 v2, v25, v2, vcc_lo
	v_cmp_ne_u32_e32 vcc_lo, 0, v7
                                        ; implicit-def: $vgpr25
	s_wait_alu 0xfffd
	v_cndmask_b32_e32 v7, v24, v23, vcc_lo
	s_delay_alu instid0(VALU_DEP_3) | instskip(SKIP_2) | instid1(VALU_DEP_2)
	v_cmp_ne_u32_e64 s0, 0, v2
	v_cndmask_b32_e32 v2, v10, v21, vcc_lo
	s_wait_alu 0xf1ff
	v_cndmask_b32_e64 v7, v20, v7, s0
	s_delay_alu instid0(VALU_DEP_2) | instskip(NEXT) | instid1(VALU_DEP_2)
	v_cndmask_b32_e64 v2, v13, v2, s0
                                        ; implicit-def: $vgpr20
	v_xor_b32_e32 v10, v7, v8
	s_delay_alu instid0(VALU_DEP_2) | instskip(NEXT) | instid1(VALU_DEP_1)
	v_xor_b32_e32 v2, v2, v8
	v_sub_co_u32 v7, vcc_lo, v2, v8
	s_wait_alu 0xfffd
	s_delay_alu instid0(VALU_DEP_3)
	v_sub_co_ci_u32_e64 v8, null, v10, v8, vcc_lo
.LBB43_29:                              ;   in Loop: Header=BB43_3 Depth=1
	s_wait_alu 0xfffe
	s_and_not1_saveexec_b32 s0, s67
	s_cbranch_execz .LBB43_31
; %bb.30:                               ;   in Loop: Header=BB43_3 Depth=1
	v_rcp_iflag_f32_e32 v2, v20
	s_sub_co_i32 s67, 0, s36
	s_delay_alu instid0(TRANS32_DEP_1) | instskip(NEXT) | instid1(VALU_DEP_1)
	v_mul_f32_e32 v2, 0x4f7ffffe, v2
	v_cvt_u32_f32_e32 v2, v2
	s_wait_alu 0xfffe
	s_delay_alu instid0(VALU_DEP_1) | instskip(NEXT) | instid1(VALU_DEP_1)
	v_mul_lo_u32 v7, s67, v2
	v_mul_hi_u32 v7, v2, v7
	s_delay_alu instid0(VALU_DEP_1) | instskip(NEXT) | instid1(VALU_DEP_1)
	v_add_nc_u32_e32 v2, v2, v7
	v_mul_hi_u32 v2, v25, v2
	s_delay_alu instid0(VALU_DEP_1) | instskip(SKIP_1) | instid1(VALU_DEP_2)
	v_mul_lo_u32 v7, v2, s36
	v_add_nc_u32_e32 v8, 1, v2
	v_sub_nc_u32_e32 v7, v25, v7
	s_delay_alu instid0(VALU_DEP_1) | instskip(SKIP_2) | instid1(VALU_DEP_2)
	v_subrev_nc_u32_e32 v10, s36, v7
	v_cmp_le_u32_e32 vcc_lo, s36, v7
	s_wait_alu 0xfffd
	v_dual_cndmask_b32 v7, v7, v10 :: v_dual_cndmask_b32 v2, v2, v8
	s_delay_alu instid0(VALU_DEP_1) | instskip(NEXT) | instid1(VALU_DEP_2)
	v_cmp_le_u32_e32 vcc_lo, s36, v7
	v_add_nc_u32_e32 v8, 1, v2
	s_wait_alu 0xfffd
	s_delay_alu instid0(VALU_DEP_1)
	v_dual_cndmask_b32 v7, v2, v8 :: v_dual_mov_b32 v8, v1
.LBB43_31:                              ;   in Loop: Header=BB43_3 Depth=1
	s_wait_alu 0xfffe
	s_or_b32 exec_lo, exec_lo, s0
	s_delay_alu instid0(VALU_DEP_1) | instskip(NEXT) | instid1(VALU_DEP_2)
	v_mul_lo_u32 v2, v8, s36
	v_mul_lo_u32 v10, v7, s37
	v_mad_co_u64_u32 v[20:21], null, v7, s36, 0
	v_mul_lo_u32 v13, v8, s12
	s_mov_b32 s0, exec_lo
	s_delay_alu instid0(VALU_DEP_2) | instskip(NEXT) | instid1(VALU_DEP_3)
	v_add3_u32 v2, v21, v10, v2
	v_sub_co_u32 v8, vcc_lo, v11, v20
	s_wait_alu 0xfffd
	s_delay_alu instid0(VALU_DEP_2) | instskip(NEXT) | instid1(VALU_DEP_2)
	v_sub_co_ci_u32_e64 v2, null, v12, v2, vcc_lo
	v_add_co_u32 v10, vcc_lo, v3, v8
	v_mul_lo_u32 v12, v7, s13
	s_wait_alu 0xfffd
	s_delay_alu instid0(VALU_DEP_3) | instskip(SKIP_3) | instid1(VALU_DEP_4)
	v_add_co_ci_u32_e64 v2, null, v4, v2, vcc_lo
	v_mad_co_u64_u32 v[7:8], null, v7, s12, 0
	v_mul_lo_u32 v20, v10, s15
	v_mad_co_u64_u32 v[10:11], null, v10, s14, 0
	v_mul_lo_u32 v2, v2, s14
	s_delay_alu instid0(VALU_DEP_4) | instskip(NEXT) | instid1(VALU_DEP_2)
	v_add3_u32 v8, v8, v12, v13
	v_add3_u32 v11, v11, v20, v2
	s_delay_alu instid0(VALU_DEP_2) | instskip(NEXT) | instid1(VALU_DEP_2)
	v_lshlrev_b64_e32 v[7:8], 1, v[7:8]
	v_lshlrev_b64_e32 v[10:11], 1, v[10:11]
	s_delay_alu instid0(VALU_DEP_2) | instskip(SKIP_1) | instid1(VALU_DEP_3)
	v_add_co_u32 v2, vcc_lo, s30, v7
	s_wait_alu 0xfffd
	v_add_co_ci_u32_e64 v8, null, s31, v8, vcc_lo
	s_delay_alu instid0(VALU_DEP_2) | instskip(SKIP_1) | instid1(VALU_DEP_2)
	v_add_co_u32 v7, vcc_lo, v2, v10
	s_wait_alu 0xfffd
	v_add_co_ci_u32_e64 v8, null, v8, v11, vcc_lo
	v_or_b32_e32 v2, s47, v4
	global_load_u16 v10, v[7:8], off
                                        ; implicit-def: $vgpr7_vgpr8
	v_cmpx_ne_u64_e32 0, v[1:2]
	s_wait_alu 0xfffe
	s_xor_b32 s67, exec_lo, s0
	s_cbranch_execz .LBB43_33
; %bb.32:                               ;   in Loop: Header=BB43_3 Depth=1
	s_ashr_i32 s68, s47, 31
	v_add_co_u32 v2, vcc_lo, v3, v16
	s_wait_alu 0xfffe
	s_mov_b32 s69, s68
	s_wait_alu 0xfffd
	v_add_co_ci_u32_e64 v7, null, v4, v16, vcc_lo
	s_wait_alu 0xfffe
	s_add_nc_u64 s[70:71], s[46:47], s[68:69]
	v_xor_b32_e32 v2, v2, v16
	s_wait_alu 0xfffe
	s_xor_b64 s[70:71], s[70:71], s[68:69]
	v_xor_b32_e32 v13, v7, v16
	s_wait_alu 0xfffe
	s_cvt_f32_u32 s0, s70
	s_cvt_f32_u32 s69, s71
	s_sub_nc_u64 s[78:79], 0, s[70:71]
	s_wait_alu 0xfffe
	s_delay_alu instid0(SALU_CYCLE_1) | instskip(SKIP_1) | instid1(SALU_CYCLE_2)
	s_fmamk_f32 s0, s69, 0x4f800000, s0
	s_wait_alu 0xfffe
	v_s_rcp_f32 s0, s0
	s_delay_alu instid0(TRANS32_DEP_1) | instskip(SKIP_1) | instid1(SALU_CYCLE_2)
	s_mul_f32 s0, s0, 0x5f7ffffc
	s_wait_alu 0xfffe
	s_mul_f32 s69, s0, 0x2f800000
	s_wait_alu 0xfffe
	s_delay_alu instid0(SALU_CYCLE_2) | instskip(SKIP_1) | instid1(SALU_CYCLE_2)
	s_trunc_f32 s69, s69
	s_wait_alu 0xfffe
	s_fmamk_f32 s0, s69, 0xcf800000, s0
	s_cvt_u32_f32 s77, s69
	s_wait_alu 0xfffe
	s_delay_alu instid0(SALU_CYCLE_1) | instskip(NEXT) | instid1(SALU_CYCLE_3)
	s_cvt_u32_f32 s76, s0
	s_mul_u64 s[80:81], s[78:79], s[76:77]
	s_delay_alu instid0(SALU_CYCLE_1)
	s_mul_hi_u32 s83, s76, s81
	s_mul_i32 s82, s76, s81
	s_mul_hi_u32 s0, s76, s80
	s_mul_i32 s75, s77, s80
	s_wait_alu 0xfffe
	s_add_nc_u64 s[82:83], s[0:1], s[82:83]
	s_mul_hi_u32 s69, s77, s80
	s_mul_hi_u32 s84, s77, s81
	s_add_co_u32 s0, s82, s75
	s_wait_alu 0xfffe
	s_add_co_ci_u32 s0, s83, s69
	s_mul_i32 s80, s77, s81
	s_add_co_ci_u32 s81, s84, 0
	s_wait_alu 0xfffe
	s_add_nc_u64 s[80:81], s[0:1], s[80:81]
	s_delay_alu instid0(SALU_CYCLE_1) | instskip(SKIP_4) | instid1(SALU_CYCLE_1)
	s_add_co_u32 s76, s76, s80
	s_cselect_b32 s0, -1, 0
	s_wait_alu 0xfffe
	s_cmp_lg_u32 s0, 0
	s_add_co_ci_u32 s77, s77, s81
	s_mul_u64 s[78:79], s[78:79], s[76:77]
	s_delay_alu instid0(SALU_CYCLE_1)
	s_mul_hi_u32 s81, s76, s79
	s_mul_i32 s80, s76, s79
	s_mul_hi_u32 s0, s76, s78
	s_mul_i32 s75, s77, s78
	s_wait_alu 0xfffe
	s_add_nc_u64 s[80:81], s[0:1], s[80:81]
	s_mul_hi_u32 s69, s77, s78
	s_mul_hi_u32 s82, s77, s79
	s_add_co_u32 s0, s80, s75
	s_wait_alu 0xfffe
	s_add_co_ci_u32 s0, s81, s69
	s_mul_i32 s78, s77, s79
	s_add_co_ci_u32 s79, s82, 0
	s_wait_alu 0xfffe
	s_add_nc_u64 s[78:79], s[0:1], s[78:79]
	s_delay_alu instid0(SALU_CYCLE_1)
	s_add_co_u32 s0, s76, s78
	s_cselect_b32 s69, -1, 0
	s_wait_alu 0xfffe
	v_mul_hi_u32 v22, v2, s0
	s_cmp_lg_u32 s69, 0
	v_mad_co_u64_u32 v[11:12], null, v13, s0, 0
	s_add_co_ci_u32 s69, s77, s79
	s_wait_alu 0xfffe
	v_mad_co_u64_u32 v[7:8], null, v2, s69, 0
	v_mad_co_u64_u32 v[20:21], null, v13, s69, 0
	s_delay_alu instid0(VALU_DEP_2) | instskip(SKIP_1) | instid1(VALU_DEP_3)
	v_add_co_u32 v7, vcc_lo, v22, v7
	s_wait_alu 0xfffd
	v_add_co_ci_u32_e64 v8, null, 0, v8, vcc_lo
	s_delay_alu instid0(VALU_DEP_2) | instskip(SKIP_1) | instid1(VALU_DEP_2)
	v_add_co_u32 v7, vcc_lo, v7, v11
	s_wait_alu 0xfffd
	v_add_co_ci_u32_e32 v7, vcc_lo, v8, v12, vcc_lo
	s_wait_alu 0xfffd
	v_add_co_ci_u32_e32 v8, vcc_lo, 0, v21, vcc_lo
	s_delay_alu instid0(VALU_DEP_2) | instskip(SKIP_1) | instid1(VALU_DEP_2)
	v_add_co_u32 v11, vcc_lo, v7, v20
	s_wait_alu 0xfffd
	v_add_co_ci_u32_e64 v12, null, 0, v8, vcc_lo
	s_delay_alu instid0(VALU_DEP_2) | instskip(SKIP_1) | instid1(VALU_DEP_3)
	v_mul_lo_u32 v20, s71, v11
	v_mad_co_u64_u32 v[7:8], null, s70, v11, 0
	v_mul_lo_u32 v21, s70, v12
	s_delay_alu instid0(VALU_DEP_2) | instskip(NEXT) | instid1(VALU_DEP_2)
	v_sub_co_u32 v2, vcc_lo, v2, v7
	v_add3_u32 v8, v8, v21, v20
	s_delay_alu instid0(VALU_DEP_1) | instskip(SKIP_2) | instid1(VALU_DEP_2)
	v_sub_nc_u32_e32 v20, v13, v8
	s_wait_alu 0xfffd
	v_sub_co_ci_u32_e64 v8, null, v13, v8, vcc_lo
	v_subrev_co_ci_u32_e64 v7, null, s71, v20, vcc_lo
	v_add_co_u32 v20, s0, v11, 2
	s_wait_alu 0xf1ff
	v_add_co_ci_u32_e64 v21, null, 0, v12, s0
	v_sub_co_u32 v22, s0, v2, s70
	s_wait_alu 0xf1ff
	v_subrev_co_ci_u32_e64 v7, null, 0, v7, s0
	s_delay_alu instid0(VALU_DEP_2) | instskip(SKIP_2) | instid1(VALU_DEP_3)
	v_cmp_le_u32_e32 vcc_lo, s70, v22
	s_wait_alu 0xfffd
	v_cndmask_b32_e64 v13, 0, -1, vcc_lo
	v_cmp_le_u32_e32 vcc_lo, s71, v7
	s_wait_alu 0xfffd
	v_cndmask_b32_e64 v22, 0, -1, vcc_lo
	;; [unrolled: 3-line block ×4, first 2 shown]
	v_cmp_eq_u32_e32 vcc_lo, s71, v7
	s_wait_alu 0xfffd
	v_cndmask_b32_e32 v7, v22, v13, vcc_lo
	v_add_co_u32 v13, vcc_lo, v11, 1
	s_wait_alu 0xfffd
	v_add_co_ci_u32_e64 v22, null, 0, v12, vcc_lo
	v_cmp_eq_u32_e32 vcc_lo, s71, v8
	v_xor_b32_e32 v8, s68, v16
	s_wait_alu 0xfffd
	v_cndmask_b32_e32 v2, v23, v2, vcc_lo
	v_cmp_ne_u32_e32 vcc_lo, 0, v7
	s_delay_alu instid0(VALU_DEP_2) | instskip(SKIP_3) | instid1(VALU_DEP_1)
	v_cmp_ne_u32_e64 s0, 0, v2
	s_wait_alu 0xfffd
	v_dual_cndmask_b32 v7, v22, v21 :: v_dual_cndmask_b32 v2, v13, v20
	s_wait_alu 0xf1ff
	v_cndmask_b32_e64 v7, v12, v7, s0
	s_delay_alu instid0(VALU_DEP_2) | instskip(NEXT) | instid1(VALU_DEP_2)
	v_cndmask_b32_e64 v2, v11, v2, s0
	v_xor_b32_e32 v11, v7, v8
	s_delay_alu instid0(VALU_DEP_2) | instskip(NEXT) | instid1(VALU_DEP_1)
	v_xor_b32_e32 v2, v2, v8
	v_sub_co_u32 v7, vcc_lo, v2, v8
	s_wait_alu 0xfffd
	s_delay_alu instid0(VALU_DEP_3)
	v_sub_co_ci_u32_e64 v8, null, v11, v8, vcc_lo
.LBB43_33:                              ;   in Loop: Header=BB43_3 Depth=1
	s_wait_alu 0xfffe
	s_and_not1_saveexec_b32 s0, s67
	s_cbranch_execz .LBB43_35
; %bb.34:                               ;   in Loop: Header=BB43_3 Depth=1
	v_cvt_f32_u32_e32 v2, s46
	s_sub_co_i32 s67, 0, s46
	s_delay_alu instid0(VALU_DEP_1) | instskip(NEXT) | instid1(TRANS32_DEP_1)
	v_rcp_iflag_f32_e32 v2, v2
	v_mul_f32_e32 v2, 0x4f7ffffe, v2
	s_delay_alu instid0(VALU_DEP_1) | instskip(SKIP_1) | instid1(VALU_DEP_1)
	v_cvt_u32_f32_e32 v2, v2
	s_wait_alu 0xfffe
	v_mul_lo_u32 v7, s67, v2
	s_delay_alu instid0(VALU_DEP_1) | instskip(NEXT) | instid1(VALU_DEP_1)
	v_mul_hi_u32 v7, v2, v7
	v_add_nc_u32_e32 v2, v2, v7
	s_delay_alu instid0(VALU_DEP_1) | instskip(NEXT) | instid1(VALU_DEP_1)
	v_mul_hi_u32 v2, v3, v2
	v_mul_lo_u32 v7, v2, s46
	v_add_nc_u32_e32 v8, 1, v2
	s_delay_alu instid0(VALU_DEP_2) | instskip(NEXT) | instid1(VALU_DEP_1)
	v_sub_nc_u32_e32 v7, v3, v7
	v_subrev_nc_u32_e32 v11, s46, v7
	v_cmp_le_u32_e32 vcc_lo, s46, v7
	s_wait_alu 0xfffd
	s_delay_alu instid0(VALU_DEP_2) | instskip(NEXT) | instid1(VALU_DEP_1)
	v_dual_cndmask_b32 v7, v7, v11 :: v_dual_cndmask_b32 v2, v2, v8
	v_cmp_le_u32_e32 vcc_lo, s46, v7
	s_delay_alu instid0(VALU_DEP_2) | instskip(SKIP_1) | instid1(VALU_DEP_1)
	v_add_nc_u32_e32 v8, 1, v2
	s_wait_alu 0xfffd
	v_dual_cndmask_b32 v7, v2, v8 :: v_dual_mov_b32 v8, v1
.LBB43_35:                              ;   in Loop: Header=BB43_3 Depth=1
	s_wait_alu 0xfffe
	s_or_b32 exec_lo, exec_lo, s0
	s_delay_alu instid0(VALU_DEP_1) | instskip(NEXT) | instid1(VALU_DEP_2)
	v_mad_co_u64_u32 v[11:12], null, s62, v7, v[3:4]
	v_mul_lo_u32 v2, s62, v8
	v_mul_lo_u32 v13, s63, v7
	;; [unrolled: 1-line block ×4, first 2 shown]
	v_mad_co_u64_u32 v[7:8], null, v7, s16, 0
	s_mov_b32 s0, exec_lo
	v_add3_u32 v2, v13, v12, v2
	v_mul_lo_u32 v13, v11, s19
	v_mad_co_u64_u32 v[11:12], null, v11, s18, 0
	v_add3_u32 v8, v8, v21, v20
	s_delay_alu instid0(VALU_DEP_4) | instskip(NEXT) | instid1(VALU_DEP_2)
	v_mul_lo_u32 v2, v2, s18
	v_lshlrev_b64_e32 v[7:8], 1, v[7:8]
	s_delay_alu instid0(VALU_DEP_2) | instskip(NEXT) | instid1(VALU_DEP_2)
	v_add3_u32 v12, v12, v13, v2
	v_add_co_u32 v2, vcc_lo, s44, v7
	s_wait_alu 0xfffd
	s_delay_alu instid0(VALU_DEP_3) | instskip(NEXT) | instid1(VALU_DEP_3)
	v_add_co_ci_u32_e64 v8, null, s45, v8, vcc_lo
	v_lshlrev_b64_e32 v[11:12], 1, v[11:12]
	s_delay_alu instid0(VALU_DEP_1) | instskip(SKIP_1) | instid1(VALU_DEP_2)
	v_add_co_u32 v7, vcc_lo, v2, v11
	s_wait_alu 0xfffd
	v_add_co_ci_u32_e64 v8, null, v8, v12, vcc_lo
	v_or_b32_e32 v2, s51, v4
	global_load_u16 v13, v[7:8], off
                                        ; implicit-def: $vgpr7_vgpr8
	v_cmpx_ne_u64_e32 0, v[1:2]
	s_wait_alu 0xfffe
	s_xor_b32 s67, exec_lo, s0
	s_cbranch_execnz .LBB43_39
; %bb.36:                               ;   in Loop: Header=BB43_3 Depth=1
	s_wait_alu 0xfffe
	s_and_not1_saveexec_b32 s0, s67
	s_cbranch_execnz .LBB43_40
.LBB43_37:                              ;   in Loop: Header=BB43_3 Depth=1
	s_wait_alu 0xfffe
	s_or_b32 exec_lo, exec_lo, s0
	s_delay_alu instid0(SALU_CYCLE_1)
	s_and_not1_b32 vcc_lo, exec_lo, s33
	s_wait_alu 0xfffe
	s_cbranch_vccnz .LBB43_41
.LBB43_38:                              ;   in Loop: Header=BB43_3 Depth=1
	v_mad_co_u64_u32 v[11:12], null, s60, v5, v[3:4]
	v_mul_lo_u32 v2, s60, v6
	v_mul_lo_u32 v16, s61, v5
	v_sub_co_u32 v22, vcc_lo, 1, v5
	s_wait_alu 0xfffd
	v_sub_co_ci_u32_e64 v23, null, 0, v6, vcc_lo
	v_mad_co_u64_u32 v[20:21], null, v11, s38, 0
	s_delay_alu instid0(VALU_DEP_3) | instskip(SKIP_4) | instid1(VALU_DEP_4)
	v_mul_lo_u32 v24, s5, v22
	v_add3_u32 v2, v16, v12, v2
	v_mul_lo_u32 v12, v11, s39
	v_mul_lo_u32 v16, s4, v23
	v_mad_co_u64_u32 v[22:23], null, s4, v22, v[3:4]
	v_mul_lo_u32 v25, v2, s38
	v_mul_lo_u32 v2, v2, s42
	s_delay_alu instid0(VALU_DEP_3) | instskip(NEXT) | instid1(VALU_DEP_4)
	v_add3_u32 v16, v24, v23, v16
	v_mul_lo_u32 v27, v22, s39
	s_delay_alu instid0(VALU_DEP_4)
	v_add3_u32 v21, v21, v12, v25
	v_sub_co_u32 v12, vcc_lo, 2, v5
	s_wait_alu 0xfffd
	v_sub_co_ci_u32_e64 v25, null, 0, v6, vcc_lo
	v_mul_lo_u32 v28, v16, s38
	v_lshlrev_b64_e32 v[20:21], 1, v[20:21]
	v_mad_co_u64_u32 v[23:24], null, v22, s38, 0
	s_delay_alu instid0(VALU_DEP_4)
	v_mul_lo_u32 v29, s4, v25
	v_mul_lo_u32 v30, s5, v12
	v_mad_co_u64_u32 v[25:26], null, s4, v12, v[3:4]
	v_add_co_u32 v20, vcc_lo, s34, v20
	s_wait_alu 0xfffd
	v_add_co_ci_u32_e64 v21, null, s35, v21, vcc_lo
	v_add3_u32 v24, v24, v27, v28
	v_mul_lo_u32 v16, v16, s42
	v_add3_u32 v28, v30, v26, v29
	global_load_u16 v29, v[20:21], off
	v_mul_lo_u32 v27, v25, s39
	v_lshlrev_b64_e32 v[20:21], 1, v[23:24]
	v_mad_co_u64_u32 v[23:24], null, v25, s38, 0
	v_mul_lo_u32 v26, v28, s38
	v_mul_lo_u32 v30, v11, s43
	v_mad_co_u64_u32 v[11:12], null, v11, s42, 0
	v_mul_lo_u32 v31, v22, s43
	v_add_co_u32 v20, vcc_lo, s34, v20
	s_wait_alu 0xfffd
	v_add_co_ci_u32_e64 v21, null, s35, v21, vcc_lo
	v_add3_u32 v24, v24, v27, v26
	v_mad_co_u64_u32 v[26:27], null, v22, s42, 0
	v_add3_u32 v12, v12, v30, v2
	v_mul_lo_u32 v2, v28, s42
	s_delay_alu instid0(VALU_DEP_4)
	v_lshlrev_b64_e32 v[22:23], 1, v[23:24]
	v_mul_lo_u32 v28, v25, s43
	v_mad_co_u64_u32 v[24:25], null, v25, s42, 0
	v_add3_u32 v27, v27, v31, v16
	v_lshlrev_b64_e32 v[11:12], 1, v[11:12]
	v_add_co_u32 v22, vcc_lo, s34, v22
	s_wait_alu 0xfffd
	v_add_co_ci_u32_e64 v23, null, s35, v23, vcc_lo
	v_add3_u32 v25, v25, v28, v2
	v_lshlrev_b64_e32 v[26:27], 1, v[26:27]
	v_add_co_u32 v11, vcc_lo, s40, v11
	s_wait_alu 0xfffd
	v_add_co_ci_u32_e64 v12, null, s41, v12, vcc_lo
	v_lshlrev_b64_e32 v[24:25], 1, v[24:25]
	s_delay_alu instid0(VALU_DEP_4) | instskip(SKIP_2) | instid1(VALU_DEP_3)
	v_add_co_u32 v26, vcc_lo, s40, v26
	s_wait_alu 0xfffd
	v_add_co_ci_u32_e64 v27, null, s41, v27, vcc_lo
	v_add_co_u32 v24, vcc_lo, s40, v24
	s_wait_alu 0xfffd
	v_add_co_ci_u32_e64 v25, null, s41, v25, vcc_lo
	global_load_u16 v2, v[11:12], off
	global_load_u16 v11, v[20:21], off
	;; [unrolled: 1-line block ×5, first 2 shown]
	s_wait_loadcnt 0x5
	v_cvt_f32_f16_e32 v21, v29
	s_wait_loadcnt 0x4
	v_cvt_f32_f16_e32 v20, v2
	;; [unrolled: 2-line block ×6, first 2 shown]
	s_branch .LBB43_42
.LBB43_39:                              ;   in Loop: Header=BB43_3 Depth=1
	s_ashr_i32 s68, s51, 31
	v_add_co_u32 v2, vcc_lo, v3, v16
	s_wait_alu 0xfffe
	s_mov_b32 s69, s68
	s_wait_alu 0xfffd
	v_add_co_ci_u32_e64 v7, null, v4, v16, vcc_lo
	s_wait_alu 0xfffe
	s_add_nc_u64 s[70:71], s[50:51], s[68:69]
	v_xor_b32_e32 v2, v2, v16
	s_wait_alu 0xfffe
	s_xor_b64 s[70:71], s[70:71], s[68:69]
	v_xor_b32_e32 v22, v7, v16
	s_wait_alu 0xfffe
	s_cvt_f32_u32 s0, s70
	s_cvt_f32_u32 s69, s71
	s_sub_nc_u64 s[78:79], 0, s[70:71]
	s_wait_alu 0xfffe
	s_delay_alu instid0(SALU_CYCLE_1) | instskip(SKIP_1) | instid1(SALU_CYCLE_2)
	s_fmamk_f32 s0, s69, 0x4f800000, s0
	s_wait_alu 0xfffe
	v_s_rcp_f32 s0, s0
	s_delay_alu instid0(TRANS32_DEP_1) | instskip(SKIP_1) | instid1(SALU_CYCLE_2)
	s_mul_f32 s0, s0, 0x5f7ffffc
	s_wait_alu 0xfffe
	s_mul_f32 s69, s0, 0x2f800000
	s_wait_alu 0xfffe
	s_delay_alu instid0(SALU_CYCLE_2) | instskip(SKIP_1) | instid1(SALU_CYCLE_2)
	s_trunc_f32 s69, s69
	s_wait_alu 0xfffe
	s_fmamk_f32 s0, s69, 0xcf800000, s0
	s_cvt_u32_f32 s77, s69
	s_wait_alu 0xfffe
	s_delay_alu instid0(SALU_CYCLE_1) | instskip(NEXT) | instid1(SALU_CYCLE_3)
	s_cvt_u32_f32 s76, s0
	s_mul_u64 s[80:81], s[78:79], s[76:77]
	s_delay_alu instid0(SALU_CYCLE_1)
	s_mul_hi_u32 s83, s76, s81
	s_mul_i32 s82, s76, s81
	s_mul_hi_u32 s0, s76, s80
	s_mul_i32 s75, s77, s80
	s_wait_alu 0xfffe
	s_add_nc_u64 s[82:83], s[0:1], s[82:83]
	s_mul_hi_u32 s69, s77, s80
	s_mul_hi_u32 s84, s77, s81
	s_add_co_u32 s0, s82, s75
	s_wait_alu 0xfffe
	s_add_co_ci_u32 s0, s83, s69
	s_mul_i32 s80, s77, s81
	s_add_co_ci_u32 s81, s84, 0
	s_wait_alu 0xfffe
	s_add_nc_u64 s[80:81], s[0:1], s[80:81]
	s_delay_alu instid0(SALU_CYCLE_1) | instskip(SKIP_4) | instid1(SALU_CYCLE_1)
	s_add_co_u32 s76, s76, s80
	s_cselect_b32 s0, -1, 0
	s_wait_alu 0xfffe
	s_cmp_lg_u32 s0, 0
	s_add_co_ci_u32 s77, s77, s81
	s_mul_u64 s[78:79], s[78:79], s[76:77]
	s_delay_alu instid0(SALU_CYCLE_1)
	s_mul_hi_u32 s81, s76, s79
	s_mul_i32 s80, s76, s79
	s_mul_hi_u32 s0, s76, s78
	s_mul_i32 s75, s77, s78
	s_wait_alu 0xfffe
	s_add_nc_u64 s[80:81], s[0:1], s[80:81]
	s_mul_hi_u32 s69, s77, s78
	s_mul_hi_u32 s82, s77, s79
	s_add_co_u32 s0, s80, s75
	s_wait_alu 0xfffe
	s_add_co_ci_u32 s0, s81, s69
	s_mul_i32 s78, s77, s79
	s_add_co_ci_u32 s79, s82, 0
	s_wait_alu 0xfffe
	s_add_nc_u64 s[78:79], s[0:1], s[78:79]
	s_delay_alu instid0(SALU_CYCLE_1)
	s_add_co_u32 s0, s76, s78
	s_cselect_b32 s69, -1, 0
	s_wait_alu 0xfffe
	v_mul_hi_u32 v23, v2, s0
	s_cmp_lg_u32 s69, 0
	v_mad_co_u64_u32 v[11:12], null, v22, s0, 0
	s_add_co_ci_u32 s69, s77, s79
	s_wait_alu 0xfffe
	v_mad_co_u64_u32 v[7:8], null, v2, s69, 0
	v_mad_co_u64_u32 v[20:21], null, v22, s69, 0
	s_delay_alu instid0(VALU_DEP_2) | instskip(SKIP_1) | instid1(VALU_DEP_3)
	v_add_co_u32 v7, vcc_lo, v23, v7
	s_wait_alu 0xfffd
	v_add_co_ci_u32_e64 v8, null, 0, v8, vcc_lo
	s_delay_alu instid0(VALU_DEP_2) | instskip(SKIP_1) | instid1(VALU_DEP_2)
	v_add_co_u32 v7, vcc_lo, v7, v11
	s_wait_alu 0xfffd
	v_add_co_ci_u32_e32 v7, vcc_lo, v8, v12, vcc_lo
	s_wait_alu 0xfffd
	v_add_co_ci_u32_e32 v8, vcc_lo, 0, v21, vcc_lo
	s_delay_alu instid0(VALU_DEP_2) | instskip(SKIP_1) | instid1(VALU_DEP_2)
	v_add_co_u32 v11, vcc_lo, v7, v20
	s_wait_alu 0xfffd
	v_add_co_ci_u32_e64 v12, null, 0, v8, vcc_lo
	s_delay_alu instid0(VALU_DEP_2) | instskip(SKIP_1) | instid1(VALU_DEP_3)
	v_mul_lo_u32 v20, s71, v11
	v_mad_co_u64_u32 v[7:8], null, s70, v11, 0
	v_mul_lo_u32 v21, s70, v12
	s_delay_alu instid0(VALU_DEP_2) | instskip(NEXT) | instid1(VALU_DEP_2)
	v_sub_co_u32 v2, vcc_lo, v2, v7
	v_add3_u32 v8, v8, v21, v20
	s_delay_alu instid0(VALU_DEP_1) | instskip(SKIP_2) | instid1(VALU_DEP_2)
	v_sub_nc_u32_e32 v20, v22, v8
	s_wait_alu 0xfffd
	v_sub_co_ci_u32_e64 v8, null, v22, v8, vcc_lo
	v_subrev_co_ci_u32_e64 v7, null, s71, v20, vcc_lo
	v_add_co_u32 v20, s0, v11, 2
	s_wait_alu 0xf1ff
	v_add_co_ci_u32_e64 v21, null, 0, v12, s0
	v_sub_co_u32 v23, s0, v2, s70
	s_wait_alu 0xf1ff
	v_subrev_co_ci_u32_e64 v7, null, 0, v7, s0
	s_delay_alu instid0(VALU_DEP_2) | instskip(SKIP_2) | instid1(VALU_DEP_3)
	v_cmp_le_u32_e32 vcc_lo, s70, v23
	s_wait_alu 0xfffd
	v_cndmask_b32_e64 v22, 0, -1, vcc_lo
	v_cmp_le_u32_e32 vcc_lo, s71, v7
	s_wait_alu 0xfffd
	v_cndmask_b32_e64 v23, 0, -1, vcc_lo
	;; [unrolled: 3-line block ×4, first 2 shown]
	v_cmp_eq_u32_e32 vcc_lo, s71, v7
	s_wait_alu 0xfffd
	v_cndmask_b32_e32 v7, v23, v22, vcc_lo
	v_add_co_u32 v22, vcc_lo, v11, 1
	s_wait_alu 0xfffd
	v_add_co_ci_u32_e64 v23, null, 0, v12, vcc_lo
	v_cmp_eq_u32_e32 vcc_lo, s71, v8
	v_xor_b32_e32 v8, s68, v16
	s_wait_alu 0xfffd
	v_cndmask_b32_e32 v2, v24, v2, vcc_lo
	v_cmp_ne_u32_e32 vcc_lo, 0, v7
	s_wait_alu 0xfffd
	v_cndmask_b32_e32 v7, v23, v21, vcc_lo
	s_delay_alu instid0(VALU_DEP_3) | instskip(SKIP_2) | instid1(VALU_DEP_2)
	v_cmp_ne_u32_e64 s0, 0, v2
	v_cndmask_b32_e32 v2, v22, v20, vcc_lo
	s_wait_alu 0xf1ff
	v_cndmask_b32_e64 v7, v12, v7, s0
	s_delay_alu instid0(VALU_DEP_2) | instskip(NEXT) | instid1(VALU_DEP_2)
	v_cndmask_b32_e64 v2, v11, v2, s0
	v_xor_b32_e32 v11, v7, v8
	s_delay_alu instid0(VALU_DEP_2) | instskip(NEXT) | instid1(VALU_DEP_1)
	v_xor_b32_e32 v2, v2, v8
	v_sub_co_u32 v7, vcc_lo, v2, v8
	s_wait_alu 0xfffd
	s_delay_alu instid0(VALU_DEP_3)
	v_sub_co_ci_u32_e64 v8, null, v11, v8, vcc_lo
	s_and_not1_saveexec_b32 s0, s67
	s_cbranch_execz .LBB43_37
.LBB43_40:                              ;   in Loop: Header=BB43_3 Depth=1
	v_cvt_f32_u32_e32 v2, s50
	s_sub_co_i32 s67, 0, s50
	s_delay_alu instid0(VALU_DEP_1) | instskip(NEXT) | instid1(TRANS32_DEP_1)
	v_rcp_iflag_f32_e32 v2, v2
	v_mul_f32_e32 v2, 0x4f7ffffe, v2
	s_delay_alu instid0(VALU_DEP_1) | instskip(SKIP_1) | instid1(VALU_DEP_1)
	v_cvt_u32_f32_e32 v2, v2
	s_wait_alu 0xfffe
	v_mul_lo_u32 v7, s67, v2
	s_delay_alu instid0(VALU_DEP_1) | instskip(NEXT) | instid1(VALU_DEP_1)
	v_mul_hi_u32 v7, v2, v7
	v_add_nc_u32_e32 v2, v2, v7
	s_delay_alu instid0(VALU_DEP_1) | instskip(NEXT) | instid1(VALU_DEP_1)
	v_mul_hi_u32 v2, v3, v2
	v_mul_lo_u32 v7, v2, s50
	v_add_nc_u32_e32 v8, 1, v2
	s_delay_alu instid0(VALU_DEP_2) | instskip(NEXT) | instid1(VALU_DEP_1)
	v_sub_nc_u32_e32 v7, v3, v7
	v_subrev_nc_u32_e32 v11, s50, v7
	v_cmp_le_u32_e32 vcc_lo, s50, v7
	s_wait_alu 0xfffd
	s_delay_alu instid0(VALU_DEP_2) | instskip(NEXT) | instid1(VALU_DEP_1)
	v_dual_cndmask_b32 v7, v7, v11 :: v_dual_cndmask_b32 v2, v2, v8
	v_cmp_le_u32_e32 vcc_lo, s50, v7
	s_delay_alu instid0(VALU_DEP_2) | instskip(SKIP_1) | instid1(VALU_DEP_1)
	v_add_nc_u32_e32 v8, 1, v2
	s_wait_alu 0xfffd
	v_dual_cndmask_b32 v7, v2, v8 :: v_dual_mov_b32 v8, v1
	s_or_b32 exec_lo, exec_lo, s0
	s_delay_alu instid0(SALU_CYCLE_1)
	s_and_not1_b32 vcc_lo, exec_lo, s33
	s_wait_alu 0xfffe
	s_cbranch_vccz .LBB43_38
.LBB43_41:                              ;   in Loop: Header=BB43_3 Depth=1
	v_dual_mov_b32 v16, 0 :: v_dual_mov_b32 v11, 0
	v_dual_mov_b32 v2, 0 :: v_dual_mov_b32 v21, 0
	v_mov_b32_e32 v20, 0
	v_mov_b32_e32 v12, 0
.LBB43_42:                              ;   in Loop: Header=BB43_3 Depth=1
	s_wait_loadcnt 0x6
	v_cvt_f32_f16_e32 v17, v17
	s_wait_loadcnt 0x3
	v_cvt_f32_f16_e32 v14, v14
	v_cvt_f32_f16_e32 v19, v19
	s_wait_loadcnt 0x1
	v_cvt_f32_f16_e32 v10, v10
	s_delay_alu instid0(VALU_DEP_2) | instskip(NEXT) | instid1(VALU_DEP_1)
	v_dual_add_f32 v14, v17, v14 :: v_dual_add_f32 v11, v11, v19
	v_add_f32_e32 v14, v14, v21
	s_delay_alu instid0(VALU_DEP_1) | instskip(NEXT) | instid1(VALU_DEP_1)
	v_add_f32_e32 v14, v20, v14
	v_mul_f32_e32 v17, 0xbfb8aa3b, v14
	s_delay_alu instid0(VALU_DEP_1) | instskip(SKIP_1) | instid1(VALU_DEP_1)
	v_fma_f32 v20, 0xbfb8aa3b, v14, -v17
	v_rndne_f32_e32 v21, v17
	v_dual_sub_f32 v17, v17, v21 :: v_dual_fmac_f32 v20, 0xb2a5705f, v14
	v_cmp_nlt_f32_e32 vcc_lo, 0x42ce8ed0, v14
	s_delay_alu instid0(VALU_DEP_2) | instskip(SKIP_1) | instid1(VALU_DEP_2)
	v_add_f32_e32 v17, v17, v20
	v_cvt_i32_f32_e32 v20, v21
	v_exp_f32_e32 v17, v17
	s_delay_alu instid0(TRANS32_DEP_1) | instskip(SKIP_1) | instid1(VALU_DEP_1)
	v_ldexp_f32 v17, v17, v20
	s_wait_alu 0xfffd
	v_cndmask_b32_e32 v17, 0, v17, vcc_lo
	v_cmp_ngt_f32_e32 vcc_lo, 0xc2b17218, v14
	s_wait_alu 0xfffd
	s_delay_alu instid0(VALU_DEP_2) | instskip(NEXT) | instid1(VALU_DEP_1)
	v_cndmask_b32_e32 v14, 0x7f800000, v17, vcc_lo
	v_add_f32_e32 v14, 1.0, v14
	s_delay_alu instid0(VALU_DEP_1) | instskip(SKIP_1) | instid1(VALU_DEP_2)
	v_div_scale_f32 v17, null, v14, v14, 1.0
	v_div_scale_f32 v22, vcc_lo, 1.0, v14, 1.0
	v_rcp_f32_e32 v20, v17
	s_delay_alu instid0(TRANS32_DEP_1) | instskip(NEXT) | instid1(VALU_DEP_1)
	v_fma_f32 v21, -v17, v20, 1.0
	v_fmac_f32_e32 v20, v21, v20
	s_delay_alu instid0(VALU_DEP_1) | instskip(NEXT) | instid1(VALU_DEP_1)
	v_mul_f32_e32 v21, v22, v20
	v_fma_f32 v23, -v17, v21, v22
	s_delay_alu instid0(VALU_DEP_1) | instskip(NEXT) | instid1(VALU_DEP_1)
	v_fmac_f32_e32 v21, v23, v20
	v_fma_f32 v17, -v17, v21, v22
	s_wait_alu 0xfffd
	s_delay_alu instid0(VALU_DEP_1) | instskip(NEXT) | instid1(VALU_DEP_1)
	v_div_fmas_f32 v17, v17, v20, v21
	v_div_fixup_f32 v19, v17, v14, 1.0
	v_add_f32_e32 v14, v16, v10
                                        ; implicit-def: $vgpr16
	s_delay_alu instid0(VALU_DEP_1) | instskip(NEXT) | instid1(VALU_DEP_1)
	v_fmac_f32_e32 v11, v14, v19
	v_cmp_ngt_f32_e64 s0, 0x3f200000, |v11|
	s_and_saveexec_b32 s67, s0
	s_wait_alu 0xfffe
	s_xor_b32 s0, exec_lo, s67
	s_cbranch_execz .LBB43_44
; %bb.43:                               ;   in Loop: Header=BB43_3 Depth=1
	v_add_f32_e64 v10, |v11|, |v11|
	s_delay_alu instid0(VALU_DEP_1) | instskip(SKIP_1) | instid1(VALU_DEP_2)
	v_mul_f32_e32 v16, 0x3fb8aa3b, v10
	v_cmp_ngt_f32_e32 vcc_lo, 0xc2ce8ed0, v10
	v_rndne_f32_e32 v17, v16
	v_fma_f32 v20, 0x3fb8aa3b, v10, -v16
	s_delay_alu instid0(VALU_DEP_2) | instskip(NEXT) | instid1(VALU_DEP_2)
	v_sub_f32_e32 v16, v16, v17
	v_fmac_f32_e32 v20, 0x32a5705f, v10
	v_cvt_i32_f32_e32 v17, v17
	s_delay_alu instid0(VALU_DEP_2) | instskip(NEXT) | instid1(VALU_DEP_1)
	v_add_f32_e32 v16, v16, v20
	v_exp_f32_e32 v16, v16
	s_delay_alu instid0(TRANS32_DEP_1) | instskip(SKIP_1) | instid1(VALU_DEP_1)
	v_ldexp_f32 v16, v16, v17
	s_wait_alu 0xfffd
	v_cndmask_b32_e32 v16, 0, v16, vcc_lo
	v_cmp_nlt_f32_e32 vcc_lo, 0x42b17218, v10
	s_wait_alu 0xfffd
	s_delay_alu instid0(VALU_DEP_2) | instskip(NEXT) | instid1(VALU_DEP_1)
	v_cndmask_b32_e32 v10, 0x7f800000, v16, vcc_lo
	v_add_f32_e32 v10, 1.0, v10
	s_delay_alu instid0(VALU_DEP_1) | instskip(NEXT) | instid1(TRANS32_DEP_1)
	v_rcp_f32_e32 v10, v10
	v_fma_f32 v16, v10, -2.0, 1.0
.LBB43_44:                              ;   in Loop: Header=BB43_3 Depth=1
	s_wait_alu 0xfffe
	s_and_not1_saveexec_b32 s0, s0
	s_cbranch_execz .LBB43_46
; %bb.45:                               ;   in Loop: Header=BB43_3 Depth=1
	v_mul_f32_e32 v10, v11, v11
	s_delay_alu instid0(VALU_DEP_1) | instskip(NEXT) | instid1(VALU_DEP_1)
	v_fmaak_f32 v16, s73, v10, 0x3ca908c9
	v_fmaak_f32 v16, v10, v16, 0xbd5c1c4e
	s_delay_alu instid0(VALU_DEP_1) | instskip(NEXT) | instid1(VALU_DEP_1)
	v_fmaak_f32 v16, v10, v16, 0x3e088382
	v_fmaak_f32 v16, v10, v16, 0xbeaaaa99
	s_delay_alu instid0(VALU_DEP_1) | instskip(NEXT) | instid1(VALU_DEP_1)
	v_mul_f32_e64 v16, |v11|, v16
	v_fma_f32 v16, v10, v16, |v11|
.LBB43_46:                              ;   in Loop: Header=BB43_3 Depth=1
	s_wait_alu 0xfffe
	s_or_b32 exec_lo, exec_lo, s0
	v_cvt_f32_f16_e32 v10, v18
	v_cvt_f32_f16_e32 v9, v9
	v_bfi_b32 v17, 0x7fffffff, v16, v11
	s_wait_loadcnt 0x0
	v_cvt_f32_f16_e32 v16, v13
	v_mad_co_u64_u32 v[20:21], null, s64, v7, v[3:4]
	v_add_f32_e32 v9, v10, v9
	v_mul_lo_u32 v27, s64, v8
	v_mul_lo_u32 v28, s65, v7
	;; [unrolled: 1-line block ×4, first 2 shown]
	v_add_f32_e32 v9, v9, v12
	v_mad_co_u64_u32 v[22:23], null, v7, s20, 0
	v_mul_lo_u32 v25, s59, v5
	v_mul_lo_u32 v26, s58, v6
	s_delay_alu instid0(VALU_DEP_4)
	v_add_f32_e32 v2, v2, v9
	v_add3_u32 v7, v28, v21, v27
	v_mul_lo_u32 v21, v20, s23
	v_sub_f32_e32 v16, v16, v17
	v_add3_u32 v23, v23, v30, v8
	v_mul_f32_e32 v9, 0xbfb8aa3b, v2
	s_delay_alu instid0(VALU_DEP_1) | instskip(SKIP_1) | instid1(VALU_DEP_1)
	v_fma_f32 v10, 0xbfb8aa3b, v2, -v9
	v_rndne_f32_e32 v12, v9
	v_dual_sub_f32 v9, v9, v12 :: v_dual_fmac_f32 v10, 0xb2a5705f, v2
	v_cmp_nlt_f32_e32 vcc_lo, 0x42ce8ed0, v2
	s_delay_alu instid0(VALU_DEP_2) | instskip(SKIP_1) | instid1(VALU_DEP_2)
	v_add_f32_e32 v9, v9, v10
	v_cvt_i32_f32_e32 v10, v12
	v_exp_f32_e32 v9, v9
	s_delay_alu instid0(TRANS32_DEP_1) | instskip(SKIP_1) | instid1(VALU_DEP_1)
	v_ldexp_f32 v9, v9, v10
	s_wait_alu 0xfffd
	v_cndmask_b32_e32 v9, 0, v9, vcc_lo
	v_cmp_ngt_f32_e32 vcc_lo, 0xc2b17218, v2
	s_wait_alu 0xfffd
	s_delay_alu instid0(VALU_DEP_2) | instskip(SKIP_1) | instid1(VALU_DEP_2)
	v_cndmask_b32_e32 v2, 0x7f800000, v9, vcc_lo
	v_mad_co_u64_u32 v[9:10], null, s58, v5, 0
	v_add_f32_e32 v18, 1.0, v2
	s_delay_alu instid0(VALU_DEP_2) | instskip(NEXT) | instid1(VALU_DEP_2)
	v_add3_u32 v10, v10, v26, v25
	v_div_scale_f32 v2, null, v18, v18, 1.0
	v_div_scale_f32 v29, vcc_lo, 1.0, v18, 1.0
	s_delay_alu instid0(VALU_DEP_2) | instskip(NEXT) | instid1(TRANS32_DEP_1)
	v_rcp_f32_e32 v24, v2
	v_fma_f32 v12, -v2, v24, 1.0
	s_delay_alu instid0(VALU_DEP_1) | instskip(SKIP_3) | instid1(VALU_DEP_4)
	v_fmac_f32_e32 v24, v12, v24
	v_mad_co_u64_u32 v[11:12], null, v20, s22, 0
	v_mul_lo_u32 v20, v7, s22
	v_add_co_u32 v7, s0, v3, v9
	v_mul_f32_e32 v31, v29, v24
	s_wait_alu 0xf1ff
	v_add_co_ci_u32_e64 v8, null, v4, v10, s0
	s_mov_b32 s0, exec_lo
	v_fma_f32 v27, -v2, v31, v29
	v_add3_u32 v12, v12, v21, v20
	v_lshlrev_b64_e32 v[20:21], 1, v[22:23]
	s_delay_alu instid0(VALU_DEP_3) | instskip(NEXT) | instid1(VALU_DEP_3)
	v_fmac_f32_e32 v31, v27, v24
	v_lshlrev_b64_e32 v[11:12], 1, v[11:12]
	s_delay_alu instid0(VALU_DEP_2) | instskip(SKIP_2) | instid1(VALU_DEP_2)
	v_fma_f32 v22, -v2, v31, v29
	v_or_b32_e32 v2, s55, v8
	s_wait_alu 0xfffd
	v_div_fmas_f32 v22, v22, v24, v31
	v_add_co_u32 v20, vcc_lo, s48, v20
	s_wait_alu 0xfffd
	v_add_co_ci_u32_e64 v21, null, s49, v21, vcc_lo
	s_delay_alu instid0(VALU_DEP_3) | instskip(NEXT) | instid1(VALU_DEP_3)
	v_div_fixup_f32 v18, v22, v18, 1.0
	v_add_co_u32 v11, vcc_lo, v20, v11
	s_wait_alu 0xfffd
	s_delay_alu instid0(VALU_DEP_3) | instskip(NEXT) | instid1(VALU_DEP_3)
	v_add_co_ci_u32_e64 v12, null, v21, v12, vcc_lo
	v_fma_mixlo_f16 v16, v18, v16, v17
	global_store_b16 v[11:12], v16, off
                                        ; implicit-def: $vgpr11_vgpr12
	v_cmpx_ne_u64_e32 0, v[1:2]
	s_wait_alu 0xfffe
	s_xor_b32 s67, exec_lo, s0
	s_cbranch_execz .LBB43_48
; %bb.47:                               ;   in Loop: Header=BB43_3 Depth=1
	s_ashr_i32 s68, s55, 31
	v_ashrrev_i32_e32 v2, 31, v8
	s_wait_alu 0xfffe
	s_mov_b32 s69, s68
	s_wait_alu 0xfffe
	s_add_nc_u64 s[70:71], s[54:55], s[68:69]
	v_add_co_u32 v7, vcc_lo, v7, v2
	s_wait_alu 0xfffe
	s_xor_b64 s[70:71], s[70:71], s[68:69]
	s_wait_alu 0xfffd
	v_add_co_ci_u32_e64 v8, null, v8, v2, vcc_lo
	s_wait_alu 0xfffe
	s_cvt_f32_u32 s0, s70
	s_cvt_f32_u32 s69, s71
	s_sub_nc_u64 s[78:79], 0, s[70:71]
	v_xor_b32_e32 v16, v7, v2
	v_xor_b32_e32 v22, v8, v2
	s_wait_alu 0xfffe
	s_fmamk_f32 s0, s69, 0x4f800000, s0
	v_xor_b32_e32 v2, s68, v2
	s_wait_alu 0xfffe
	s_delay_alu instid0(SALU_CYCLE_1) | instskip(NEXT) | instid1(TRANS32_DEP_1)
	v_s_rcp_f32 s0, s0
	s_mul_f32 s0, s0, 0x5f7ffffc
	s_wait_alu 0xfffe
	s_delay_alu instid0(SALU_CYCLE_2) | instskip(SKIP_1) | instid1(SALU_CYCLE_2)
	s_mul_f32 s69, s0, 0x2f800000
	s_wait_alu 0xfffe
	s_trunc_f32 s69, s69
	s_wait_alu 0xfffe
	s_delay_alu instid0(SALU_CYCLE_2) | instskip(SKIP_2) | instid1(SALU_CYCLE_1)
	s_fmamk_f32 s0, s69, 0xcf800000, s0
	s_cvt_u32_f32 s77, s69
	s_wait_alu 0xfffe
	s_cvt_u32_f32 s76, s0
	s_delay_alu instid0(SALU_CYCLE_3) | instskip(NEXT) | instid1(SALU_CYCLE_1)
	s_mul_u64 s[80:81], s[78:79], s[76:77]
	s_mul_hi_u32 s83, s76, s81
	s_mul_i32 s82, s76, s81
	s_mul_hi_u32 s0, s76, s80
	s_mul_i32 s75, s77, s80
	s_wait_alu 0xfffe
	s_add_nc_u64 s[82:83], s[0:1], s[82:83]
	s_mul_hi_u32 s69, s77, s80
	s_mul_hi_u32 s84, s77, s81
	s_add_co_u32 s0, s82, s75
	s_wait_alu 0xfffe
	s_add_co_ci_u32 s0, s83, s69
	s_mul_i32 s80, s77, s81
	s_add_co_ci_u32 s81, s84, 0
	s_wait_alu 0xfffe
	s_add_nc_u64 s[80:81], s[0:1], s[80:81]
	s_delay_alu instid0(SALU_CYCLE_1) | instskip(SKIP_4) | instid1(SALU_CYCLE_1)
	s_add_co_u32 s76, s76, s80
	s_cselect_b32 s0, -1, 0
	s_wait_alu 0xfffe
	s_cmp_lg_u32 s0, 0
	s_add_co_ci_u32 s77, s77, s81
	s_mul_u64 s[78:79], s[78:79], s[76:77]
	s_delay_alu instid0(SALU_CYCLE_1)
	s_mul_hi_u32 s81, s76, s79
	s_mul_i32 s80, s76, s79
	s_mul_hi_u32 s0, s76, s78
	s_mul_i32 s75, s77, s78
	s_wait_alu 0xfffe
	s_add_nc_u64 s[80:81], s[0:1], s[80:81]
	s_mul_hi_u32 s69, s77, s78
	s_mul_hi_u32 s82, s77, s79
	s_add_co_u32 s0, s80, s75
	s_wait_alu 0xfffe
	s_add_co_ci_u32 s0, s81, s69
	s_mul_i32 s78, s77, s79
	s_add_co_ci_u32 s79, s82, 0
	s_wait_alu 0xfffe
	s_add_nc_u64 s[78:79], s[0:1], s[78:79]
	s_delay_alu instid0(SALU_CYCLE_1)
	s_add_co_u32 s0, s76, s78
	s_cselect_b32 s69, -1, 0
	s_wait_alu 0xfffe
	v_mul_hi_u32 v23, v16, s0
	s_cmp_lg_u32 s69, 0
	v_mad_co_u64_u32 v[11:12], null, v22, s0, 0
	s_add_co_ci_u32 s69, s77, s79
	s_wait_alu 0xfffe
	v_mad_co_u64_u32 v[7:8], null, v16, s69, 0
	v_mad_co_u64_u32 v[20:21], null, v22, s69, 0
	s_delay_alu instid0(VALU_DEP_2) | instskip(SKIP_1) | instid1(VALU_DEP_3)
	v_add_co_u32 v7, vcc_lo, v23, v7
	s_wait_alu 0xfffd
	v_add_co_ci_u32_e64 v8, null, 0, v8, vcc_lo
	s_delay_alu instid0(VALU_DEP_2) | instskip(SKIP_1) | instid1(VALU_DEP_2)
	v_add_co_u32 v7, vcc_lo, v7, v11
	s_wait_alu 0xfffd
	v_add_co_ci_u32_e32 v7, vcc_lo, v8, v12, vcc_lo
	s_wait_alu 0xfffd
	v_add_co_ci_u32_e32 v8, vcc_lo, 0, v21, vcc_lo
	s_delay_alu instid0(VALU_DEP_2) | instskip(SKIP_1) | instid1(VALU_DEP_2)
	v_add_co_u32 v11, vcc_lo, v7, v20
	s_wait_alu 0xfffd
	v_add_co_ci_u32_e64 v12, null, 0, v8, vcc_lo
	s_delay_alu instid0(VALU_DEP_2) | instskip(SKIP_1) | instid1(VALU_DEP_3)
	v_mul_lo_u32 v20, s71, v11
	v_mad_co_u64_u32 v[7:8], null, s70, v11, 0
	v_mul_lo_u32 v21, s70, v12
	s_delay_alu instid0(VALU_DEP_2) | instskip(NEXT) | instid1(VALU_DEP_2)
	v_sub_co_u32 v7, vcc_lo, v16, v7
	v_add3_u32 v8, v8, v21, v20
	s_delay_alu instid0(VALU_DEP_1) | instskip(SKIP_2) | instid1(VALU_DEP_2)
	v_sub_nc_u32_e32 v20, v22, v8
	s_wait_alu 0xfffd
	v_sub_co_ci_u32_e64 v8, null, v22, v8, vcc_lo
	v_subrev_co_ci_u32_e64 v16, null, s71, v20, vcc_lo
	v_add_co_u32 v20, s0, v11, 2
	s_wait_alu 0xf1ff
	v_add_co_ci_u32_e64 v21, null, 0, v12, s0
	v_sub_co_u32 v23, s0, v7, s70
	s_wait_alu 0xf1ff
	v_subrev_co_ci_u32_e64 v16, null, 0, v16, s0
	s_delay_alu instid0(VALU_DEP_2) | instskip(SKIP_2) | instid1(VALU_DEP_3)
	v_cmp_le_u32_e32 vcc_lo, s70, v23
	s_wait_alu 0xfffd
	v_cndmask_b32_e64 v22, 0, -1, vcc_lo
	v_cmp_le_u32_e32 vcc_lo, s71, v16
	s_wait_alu 0xfffd
	v_cndmask_b32_e64 v23, 0, -1, vcc_lo
	;; [unrolled: 3-line block ×4, first 2 shown]
	v_cmp_eq_u32_e32 vcc_lo, s71, v16
	s_wait_alu 0xfffd
	v_cndmask_b32_e32 v16, v23, v22, vcc_lo
	v_add_co_u32 v22, vcc_lo, v11, 1
	s_wait_alu 0xfffd
	v_add_co_ci_u32_e64 v23, null, 0, v12, vcc_lo
	v_cmp_eq_u32_e32 vcc_lo, s71, v8
	s_wait_alu 0xfffd
	v_cndmask_b32_e32 v7, v24, v7, vcc_lo
	v_cmp_ne_u32_e32 vcc_lo, 0, v16
	s_delay_alu instid0(VALU_DEP_2) | instskip(SKIP_3) | instid1(VALU_DEP_1)
	v_cmp_ne_u32_e64 s0, 0, v7
	s_wait_alu 0xfffd
	v_dual_cndmask_b32 v8, v23, v21 :: v_dual_cndmask_b32 v7, v22, v20
	s_wait_alu 0xf1ff
	v_cndmask_b32_e64 v8, v12, v8, s0
	s_delay_alu instid0(VALU_DEP_2) | instskip(NEXT) | instid1(VALU_DEP_2)
	v_cndmask_b32_e64 v7, v11, v7, s0
	v_xor_b32_e32 v8, v8, v2
	s_delay_alu instid0(VALU_DEP_2) | instskip(NEXT) | instid1(VALU_DEP_1)
	v_xor_b32_e32 v7, v7, v2
	v_sub_co_u32 v11, vcc_lo, v7, v2
	s_wait_alu 0xfffd
	s_delay_alu instid0(VALU_DEP_3)
	v_sub_co_ci_u32_e64 v12, null, v8, v2, vcc_lo
                                        ; implicit-def: $vgpr7
.LBB43_48:                              ;   in Loop: Header=BB43_3 Depth=1
	s_wait_alu 0xfffe
	s_or_saveexec_b32 s0, s67
	v_cvt_f32_u32_e32 v16, s54
	s_wait_alu 0xfffe
	s_xor_b32 exec_lo, exec_lo, s0
	s_cbranch_execz .LBB43_50
; %bb.49:                               ;   in Loop: Header=BB43_3 Depth=1
	s_delay_alu instid0(VALU_DEP_1) | instskip(SKIP_2) | instid1(TRANS32_DEP_1)
	v_rcp_iflag_f32_e32 v2, v16
	s_sub_co_i32 s67, 0, s54
	v_mov_b32_e32 v12, v1
	v_mul_f32_e32 v2, 0x4f7ffffe, v2
	s_delay_alu instid0(VALU_DEP_1) | instskip(SKIP_1) | instid1(VALU_DEP_1)
	v_cvt_u32_f32_e32 v2, v2
	s_wait_alu 0xfffe
	v_mul_lo_u32 v8, s67, v2
	s_delay_alu instid0(VALU_DEP_1) | instskip(NEXT) | instid1(VALU_DEP_1)
	v_mul_hi_u32 v8, v2, v8
	v_add_nc_u32_e32 v2, v2, v8
	s_delay_alu instid0(VALU_DEP_1) | instskip(NEXT) | instid1(VALU_DEP_1)
	v_mul_hi_u32 v2, v7, v2
	v_mul_lo_u32 v8, v2, s54
	s_delay_alu instid0(VALU_DEP_1) | instskip(SKIP_1) | instid1(VALU_DEP_2)
	v_sub_nc_u32_e32 v7, v7, v8
	v_add_nc_u32_e32 v8, 1, v2
	v_subrev_nc_u32_e32 v11, s54, v7
	v_cmp_le_u32_e32 vcc_lo, s54, v7
	s_wait_alu 0xfffd
	s_delay_alu instid0(VALU_DEP_2) | instskip(NEXT) | instid1(VALU_DEP_1)
	v_dual_cndmask_b32 v7, v7, v11 :: v_dual_cndmask_b32 v2, v2, v8
	v_cmp_le_u32_e32 vcc_lo, s54, v7
	s_delay_alu instid0(VALU_DEP_2) | instskip(SKIP_1) | instid1(VALU_DEP_1)
	v_add_nc_u32_e32 v8, 1, v2
	s_wait_alu 0xfffd
	v_cndmask_b32_e32 v11, v2, v8, vcc_lo
.LBB43_50:                              ;   in Loop: Header=BB43_3 Depth=1
	s_or_b32 exec_lo, exec_lo, s0
	v_mul_lo_u32 v2, v12, s54
	s_delay_alu instid0(VALU_DEP_2) | instskip(SKIP_4) | instid1(VALU_DEP_3)
	v_mul_lo_u32 v7, v11, s55
	v_mad_co_u64_u32 v[20:21], null, v11, s54, 0
	v_mul_lo_u32 v12, v12, s24
	v_mul_lo_u32 v22, v11, s25
	s_mov_b32 s0, exec_lo
	v_add3_u32 v2, v21, v7, v2
	s_delay_alu instid0(VALU_DEP_4)
	v_sub_co_u32 v9, vcc_lo, v9, v20
	v_lshlrev_b64_e32 v[7:8], 2, v[5:6]
	v_alignbit_b32 v5, v6, v5, 30
	s_wait_alu 0xfffd
	v_sub_co_ci_u32_e64 v2, null, v10, v2, vcc_lo
	v_add_co_u32 v20, vcc_lo, v3, v9
	v_mad_co_u64_u32 v[9:10], null, v11, s24, 0
	s_wait_alu 0xfffd
	s_delay_alu instid0(VALU_DEP_3) | instskip(NEXT) | instid1(VALU_DEP_3)
	v_add_co_ci_u32_e64 v2, null, v4, v2, vcc_lo
	v_mul_lo_u32 v24, v20, s27
	v_mad_co_u64_u32 v[20:21], null, v20, s26, 0
	s_delay_alu instid0(VALU_DEP_3)
	v_mul_lo_u32 v2, v2, s26
	v_mul_lo_u32 v11, s4, v5
	;; [unrolled: 1-line block ×3, first 2 shown]
	v_mad_co_u64_u32 v[5:6], null, s4, v7, s[4:5]
	v_add3_u32 v10, v10, v22, v12
	v_cvt_f16_f32_e32 v22, v19
	v_add3_u32 v21, v21, v24, v2
	s_delay_alu instid0(VALU_DEP_3) | instskip(SKIP_2) | instid1(VALU_DEP_4)
	v_lshlrev_b64_e32 v[9:10], 1, v[9:10]
	v_add3_u32 v6, v23, v6, v11
	v_add_co_u32 v11, vcc_lo, v3, v5
	v_lshlrev_b64_e32 v[19:20], 1, v[20:21]
	s_wait_alu 0xfffd
	s_delay_alu instid0(VALU_DEP_3) | instskip(SKIP_3) | instid1(VALU_DEP_3)
	v_add_co_ci_u32_e64 v12, null, v4, v6, vcc_lo
	v_add_co_u32 v9, vcc_lo, s52, v9
	s_wait_alu 0xfffd
	v_add_co_ci_u32_e64 v10, null, s53, v10, vcc_lo
	v_or_b32_e32 v2, s55, v12
	s_delay_alu instid0(VALU_DEP_3) | instskip(SKIP_1) | instid1(VALU_DEP_3)
	v_add_co_u32 v9, vcc_lo, v9, v19
	s_wait_alu 0xfffd
	v_add_co_ci_u32_e64 v10, null, v10, v20, vcc_lo
	global_store_b16 v[9:10], v22, off
                                        ; implicit-def: $vgpr9_vgpr10
	v_cmpx_ne_u64_e32 0, v[1:2]
	s_wait_alu 0xfffe
	s_xor_b32 s67, exec_lo, s0
	s_cbranch_execz .LBB43_52
; %bb.51:                               ;   in Loop: Header=BB43_3 Depth=1
	s_ashr_i32 s68, s55, 31
	v_ashrrev_i32_e32 v2, 31, v12
	s_wait_alu 0xfffe
	s_mov_b32 s69, s68
	s_wait_alu 0xfffe
	s_add_nc_u64 s[70:71], s[54:55], s[68:69]
	v_add_co_u32 v9, vcc_lo, v11, v2
	s_wait_alu 0xfffe
	s_xor_b64 s[70:71], s[70:71], s[68:69]
	s_wait_alu 0xfffd
	v_add_co_ci_u32_e64 v10, null, v12, v2, vcc_lo
	s_wait_alu 0xfffe
	s_cvt_f32_u32 s0, s70
	s_cvt_f32_u32 s69, s71
	s_sub_nc_u64 s[78:79], 0, s[70:71]
	v_xor_b32_e32 v21, v9, v2
	v_xor_b32_e32 v22, v10, v2
	s_wait_alu 0xfffe
	s_fmamk_f32 s0, s69, 0x4f800000, s0
	v_xor_b32_e32 v2, s68, v2
	s_wait_alu 0xfffe
	s_delay_alu instid0(SALU_CYCLE_1) | instskip(NEXT) | instid1(TRANS32_DEP_1)
	v_s_rcp_f32 s0, s0
	s_mul_f32 s0, s0, 0x5f7ffffc
	s_wait_alu 0xfffe
	s_delay_alu instid0(SALU_CYCLE_2) | instskip(SKIP_1) | instid1(SALU_CYCLE_2)
	s_mul_f32 s69, s0, 0x2f800000
	s_wait_alu 0xfffe
	s_trunc_f32 s69, s69
	s_wait_alu 0xfffe
	s_delay_alu instid0(SALU_CYCLE_2) | instskip(SKIP_2) | instid1(SALU_CYCLE_1)
	s_fmamk_f32 s0, s69, 0xcf800000, s0
	s_cvt_u32_f32 s77, s69
	s_wait_alu 0xfffe
	s_cvt_u32_f32 s76, s0
	s_delay_alu instid0(SALU_CYCLE_3) | instskip(NEXT) | instid1(SALU_CYCLE_1)
	s_mul_u64 s[80:81], s[78:79], s[76:77]
	s_mul_hi_u32 s83, s76, s81
	s_mul_i32 s82, s76, s81
	s_mul_hi_u32 s0, s76, s80
	s_mul_i32 s75, s77, s80
	s_wait_alu 0xfffe
	s_add_nc_u64 s[82:83], s[0:1], s[82:83]
	s_mul_hi_u32 s69, s77, s80
	s_mul_hi_u32 s84, s77, s81
	s_add_co_u32 s0, s82, s75
	s_wait_alu 0xfffe
	s_add_co_ci_u32 s0, s83, s69
	s_mul_i32 s80, s77, s81
	s_add_co_ci_u32 s81, s84, 0
	s_wait_alu 0xfffe
	s_add_nc_u64 s[80:81], s[0:1], s[80:81]
	s_delay_alu instid0(SALU_CYCLE_1) | instskip(SKIP_4) | instid1(SALU_CYCLE_1)
	s_add_co_u32 s76, s76, s80
	s_cselect_b32 s0, -1, 0
	s_wait_alu 0xfffe
	s_cmp_lg_u32 s0, 0
	s_add_co_ci_u32 s77, s77, s81
	s_mul_u64 s[78:79], s[78:79], s[76:77]
	s_delay_alu instid0(SALU_CYCLE_1)
	s_mul_hi_u32 s81, s76, s79
	s_mul_i32 s80, s76, s79
	s_mul_hi_u32 s0, s76, s78
	s_mul_i32 s75, s77, s78
	s_wait_alu 0xfffe
	s_add_nc_u64 s[80:81], s[0:1], s[80:81]
	s_mul_hi_u32 s69, s77, s78
	s_mul_hi_u32 s82, s77, s79
	s_add_co_u32 s0, s80, s75
	s_wait_alu 0xfffe
	s_add_co_ci_u32 s0, s81, s69
	s_mul_i32 s78, s77, s79
	s_add_co_ci_u32 s79, s82, 0
	s_wait_alu 0xfffe
	s_add_nc_u64 s[78:79], s[0:1], s[78:79]
	s_delay_alu instid0(SALU_CYCLE_1)
	s_add_co_u32 s0, s76, s78
	s_cselect_b32 s69, -1, 0
	s_wait_alu 0xfffe
	v_mul_hi_u32 v23, v21, s0
	s_cmp_lg_u32 s69, 0
	v_mad_co_u64_u32 v[11:12], null, v22, s0, 0
	s_add_co_ci_u32 s69, s77, s79
	s_wait_alu 0xfffe
	v_mad_co_u64_u32 v[9:10], null, v21, s69, 0
	v_mad_co_u64_u32 v[19:20], null, v22, s69, 0
	s_delay_alu instid0(VALU_DEP_2) | instskip(SKIP_1) | instid1(VALU_DEP_3)
	v_add_co_u32 v9, vcc_lo, v23, v9
	s_wait_alu 0xfffd
	v_add_co_ci_u32_e64 v10, null, 0, v10, vcc_lo
	s_delay_alu instid0(VALU_DEP_2) | instskip(SKIP_1) | instid1(VALU_DEP_2)
	v_add_co_u32 v9, vcc_lo, v9, v11
	s_wait_alu 0xfffd
	v_add_co_ci_u32_e32 v9, vcc_lo, v10, v12, vcc_lo
	s_wait_alu 0xfffd
	v_add_co_ci_u32_e32 v10, vcc_lo, 0, v20, vcc_lo
	s_delay_alu instid0(VALU_DEP_2) | instskip(SKIP_1) | instid1(VALU_DEP_2)
	v_add_co_u32 v11, vcc_lo, v9, v19
	s_wait_alu 0xfffd
	v_add_co_ci_u32_e64 v12, null, 0, v10, vcc_lo
	s_delay_alu instid0(VALU_DEP_2) | instskip(SKIP_1) | instid1(VALU_DEP_3)
	v_mul_lo_u32 v19, s71, v11
	v_mad_co_u64_u32 v[9:10], null, s70, v11, 0
	v_mul_lo_u32 v20, s70, v12
	s_delay_alu instid0(VALU_DEP_2) | instskip(NEXT) | instid1(VALU_DEP_2)
	v_sub_co_u32 v9, vcc_lo, v21, v9
	v_add3_u32 v10, v10, v20, v19
	v_add_co_u32 v20, s0, v11, 2
	s_wait_alu 0xf1ff
	v_add_co_ci_u32_e64 v21, null, 0, v12, s0
	s_delay_alu instid0(VALU_DEP_3) | instskip(SKIP_3) | instid1(VALU_DEP_3)
	v_sub_nc_u32_e32 v19, v22, v10
	v_sub_co_u32 v23, s0, v9, s70
	s_wait_alu 0xfffd
	v_sub_co_ci_u32_e64 v10, null, v22, v10, vcc_lo
	v_subrev_co_ci_u32_e64 v19, null, s71, v19, vcc_lo
	s_delay_alu instid0(VALU_DEP_3) | instskip(SKIP_1) | instid1(VALU_DEP_2)
	v_cmp_le_u32_e32 vcc_lo, s70, v23
	s_wait_alu 0xf1ff
	v_subrev_co_ci_u32_e64 v19, null, 0, v19, s0
	s_wait_alu 0xfffd
	v_cndmask_b32_e64 v22, 0, -1, vcc_lo
	s_delay_alu instid0(VALU_DEP_2)
	v_cmp_le_u32_e32 vcc_lo, s71, v19
	s_wait_alu 0xfffd
	v_cndmask_b32_e64 v23, 0, -1, vcc_lo
	v_cmp_le_u32_e32 vcc_lo, s70, v9
	s_wait_alu 0xfffd
	v_cndmask_b32_e64 v9, 0, -1, vcc_lo
	;; [unrolled: 3-line block ×3, first 2 shown]
	v_cmp_eq_u32_e32 vcc_lo, s71, v19
	s_wait_alu 0xfffd
	v_cndmask_b32_e32 v19, v23, v22, vcc_lo
	v_add_co_u32 v22, vcc_lo, v11, 1
	s_wait_alu 0xfffd
	v_add_co_ci_u32_e64 v23, null, 0, v12, vcc_lo
	v_cmp_eq_u32_e32 vcc_lo, s71, v10
	s_wait_alu 0xfffd
	v_cndmask_b32_e32 v9, v24, v9, vcc_lo
	v_cmp_ne_u32_e32 vcc_lo, 0, v19
	s_delay_alu instid0(VALU_DEP_2) | instskip(SKIP_3) | instid1(VALU_DEP_1)
	v_cmp_ne_u32_e64 s0, 0, v9
	s_wait_alu 0xfffd
	v_dual_cndmask_b32 v10, v23, v21 :: v_dual_cndmask_b32 v9, v22, v20
	s_wait_alu 0xf1ff
	v_cndmask_b32_e64 v10, v12, v10, s0
	s_delay_alu instid0(VALU_DEP_2) | instskip(NEXT) | instid1(VALU_DEP_2)
	v_cndmask_b32_e64 v9, v11, v9, s0
                                        ; implicit-def: $vgpr11
	v_xor_b32_e32 v10, v10, v2
	s_delay_alu instid0(VALU_DEP_2) | instskip(NEXT) | instid1(VALU_DEP_1)
	v_xor_b32_e32 v9, v9, v2
	v_sub_co_u32 v9, vcc_lo, v9, v2
	s_wait_alu 0xfffd
	s_delay_alu instid0(VALU_DEP_3)
	v_sub_co_ci_u32_e64 v10, null, v10, v2, vcc_lo
.LBB43_52:                              ;   in Loop: Header=BB43_3 Depth=1
	s_wait_alu 0xfffe
	s_and_not1_saveexec_b32 s0, s67
	s_cbranch_execz .LBB43_54
; %bb.53:                               ;   in Loop: Header=BB43_3 Depth=1
	v_rcp_iflag_f32_e32 v2, v16
	s_sub_co_i32 s67, 0, s54
	s_delay_alu instid0(TRANS32_DEP_1) | instskip(NEXT) | instid1(VALU_DEP_1)
	v_mul_f32_e32 v2, 0x4f7ffffe, v2
	v_cvt_u32_f32_e32 v2, v2
	s_wait_alu 0xfffe
	s_delay_alu instid0(VALU_DEP_1) | instskip(NEXT) | instid1(VALU_DEP_1)
	v_mul_lo_u32 v9, s67, v2
	v_mul_hi_u32 v9, v2, v9
	s_delay_alu instid0(VALU_DEP_1) | instskip(NEXT) | instid1(VALU_DEP_1)
	v_add_nc_u32_e32 v2, v2, v9
	v_mul_hi_u32 v2, v11, v2
	s_delay_alu instid0(VALU_DEP_1) | instskip(SKIP_1) | instid1(VALU_DEP_2)
	v_mul_lo_u32 v9, v2, s54
	v_add_nc_u32_e32 v10, 1, v2
	v_sub_nc_u32_e32 v9, v11, v9
	s_delay_alu instid0(VALU_DEP_1) | instskip(SKIP_2) | instid1(VALU_DEP_2)
	v_subrev_nc_u32_e32 v11, s54, v9
	v_cmp_le_u32_e32 vcc_lo, s54, v9
	s_wait_alu 0xfffd
	v_dual_cndmask_b32 v9, v9, v11 :: v_dual_cndmask_b32 v2, v2, v10
	s_delay_alu instid0(VALU_DEP_1) | instskip(NEXT) | instid1(VALU_DEP_2)
	v_cmp_le_u32_e32 vcc_lo, s54, v9
	v_add_nc_u32_e32 v10, 1, v2
	s_wait_alu 0xfffd
	s_delay_alu instid0(VALU_DEP_1)
	v_dual_cndmask_b32 v9, v2, v10 :: v_dual_mov_b32 v10, v1
.LBB43_54:                              ;   in Loop: Header=BB43_3 Depth=1
	s_wait_alu 0xfffe
	s_or_b32 exec_lo, exec_lo, s0
	s_delay_alu instid0(VALU_DEP_1) | instskip(NEXT) | instid1(VALU_DEP_2)
	v_mul_lo_u32 v2, v10, s54
	v_mul_lo_u32 v19, v9, s55
	v_mad_co_u64_u32 v[11:12], null, v9, s54, 0
	v_mul_lo_u32 v20, v10, s24
	s_mov_b32 s0, exec_lo
	s_delay_alu instid0(VALU_DEP_2) | instskip(NEXT) | instid1(VALU_DEP_3)
	v_add3_u32 v2, v12, v19, v2
	v_sub_co_u32 v5, vcc_lo, v5, v11
	v_mul_lo_u32 v19, v9, s25
	v_mad_co_u64_u32 v[9:10], null, v9, s24, 0
	s_wait_alu 0xfffd
	v_sub_co_ci_u32_e64 v2, null, v6, v2, vcc_lo
	v_add_co_u32 v5, vcc_lo, v3, v5
	s_wait_alu 0xfffd
	s_delay_alu instid0(VALU_DEP_2)
	v_add_co_ci_u32_e64 v2, null, v4, v2, vcc_lo
	v_add_co_u32 v6, vcc_lo, v7, 2
	s_wait_alu 0xfffd
	v_add_co_ci_u32_e64 v21, null, 0, v8, vcc_lo
	v_mul_lo_u32 v22, v5, s27
	v_mul_lo_u32 v2, v2, s26
	v_mad_co_u64_u32 v[11:12], null, v5, s26, 0
	v_mul_lo_u32 v23, s5, v6
	v_mul_lo_u32 v21, s4, v21
	v_mad_co_u64_u32 v[5:6], null, s4, v6, 0
	v_add3_u32 v10, v10, v19, v20
	v_cvt_f16_f32_e32 v20, v18
	v_add3_u32 v12, v12, v22, v2
	s_delay_alu instid0(VALU_DEP_3) | instskip(SKIP_1) | instid1(VALU_DEP_3)
	v_lshlrev_b64_e32 v[9:10], 1, v[9:10]
	v_add3_u32 v6, v6, v21, v23
	v_lshlrev_b64_e32 v[18:19], 1, v[11:12]
	v_add_co_u32 v11, vcc_lo, v3, v5
	s_wait_alu 0xfffd
	s_delay_alu instid0(VALU_DEP_3) | instskip(SKIP_3) | instid1(VALU_DEP_3)
	v_add_co_ci_u32_e64 v12, null, v4, v6, vcc_lo
	v_add_co_u32 v9, vcc_lo, s52, v9
	s_wait_alu 0xfffd
	v_add_co_ci_u32_e64 v10, null, s53, v10, vcc_lo
	v_or_b32_e32 v2, s55, v12
	s_delay_alu instid0(VALU_DEP_3) | instskip(SKIP_1) | instid1(VALU_DEP_3)
	v_add_co_u32 v9, vcc_lo, v9, v18
	s_wait_alu 0xfffd
	v_add_co_ci_u32_e64 v10, null, v10, v19, vcc_lo
	global_store_b16 v[9:10], v20, off
                                        ; implicit-def: $vgpr9_vgpr10
	v_cmpx_ne_u64_e32 0, v[1:2]
	s_wait_alu 0xfffe
	s_xor_b32 s67, exec_lo, s0
	s_cbranch_execz .LBB43_56
; %bb.55:                               ;   in Loop: Header=BB43_3 Depth=1
	s_ashr_i32 s68, s55, 31
	v_ashrrev_i32_e32 v2, 31, v12
	s_wait_alu 0xfffe
	s_mov_b32 s69, s68
	s_wait_alu 0xfffe
	s_add_nc_u64 s[70:71], s[54:55], s[68:69]
	v_add_co_u32 v9, vcc_lo, v11, v2
	s_wait_alu 0xfffe
	s_xor_b64 s[70:71], s[70:71], s[68:69]
	s_wait_alu 0xfffd
	v_add_co_ci_u32_e64 v10, null, v12, v2, vcc_lo
	s_wait_alu 0xfffe
	s_cvt_f32_u32 s0, s70
	s_cvt_f32_u32 s69, s71
	s_sub_nc_u64 s[78:79], 0, s[70:71]
	v_xor_b32_e32 v20, v9, v2
	v_xor_b32_e32 v21, v10, v2
	s_wait_alu 0xfffe
	s_fmamk_f32 s0, s69, 0x4f800000, s0
	v_xor_b32_e32 v2, s68, v2
	s_wait_alu 0xfffe
	s_delay_alu instid0(SALU_CYCLE_1) | instskip(NEXT) | instid1(TRANS32_DEP_1)
	v_s_rcp_f32 s0, s0
	s_mul_f32 s0, s0, 0x5f7ffffc
	s_wait_alu 0xfffe
	s_delay_alu instid0(SALU_CYCLE_2) | instskip(SKIP_1) | instid1(SALU_CYCLE_2)
	s_mul_f32 s69, s0, 0x2f800000
	s_wait_alu 0xfffe
	s_trunc_f32 s69, s69
	s_wait_alu 0xfffe
	s_delay_alu instid0(SALU_CYCLE_2) | instskip(SKIP_2) | instid1(SALU_CYCLE_1)
	s_fmamk_f32 s0, s69, 0xcf800000, s0
	s_cvt_u32_f32 s77, s69
	s_wait_alu 0xfffe
	s_cvt_u32_f32 s76, s0
	s_delay_alu instid0(SALU_CYCLE_3) | instskip(NEXT) | instid1(SALU_CYCLE_1)
	s_mul_u64 s[80:81], s[78:79], s[76:77]
	s_mul_hi_u32 s83, s76, s81
	s_mul_i32 s82, s76, s81
	s_mul_hi_u32 s0, s76, s80
	s_mul_i32 s75, s77, s80
	s_wait_alu 0xfffe
	s_add_nc_u64 s[82:83], s[0:1], s[82:83]
	s_mul_hi_u32 s69, s77, s80
	s_mul_hi_u32 s84, s77, s81
	s_add_co_u32 s0, s82, s75
	s_wait_alu 0xfffe
	s_add_co_ci_u32 s0, s83, s69
	s_mul_i32 s80, s77, s81
	s_add_co_ci_u32 s81, s84, 0
	s_wait_alu 0xfffe
	s_add_nc_u64 s[80:81], s[0:1], s[80:81]
	s_delay_alu instid0(SALU_CYCLE_1) | instskip(SKIP_4) | instid1(SALU_CYCLE_1)
	s_add_co_u32 s76, s76, s80
	s_cselect_b32 s0, -1, 0
	s_wait_alu 0xfffe
	s_cmp_lg_u32 s0, 0
	s_add_co_ci_u32 s77, s77, s81
	s_mul_u64 s[78:79], s[78:79], s[76:77]
	s_delay_alu instid0(SALU_CYCLE_1)
	s_mul_hi_u32 s81, s76, s79
	s_mul_i32 s80, s76, s79
	s_mul_hi_u32 s0, s76, s78
	s_mul_i32 s75, s77, s78
	s_wait_alu 0xfffe
	s_add_nc_u64 s[80:81], s[0:1], s[80:81]
	s_mul_hi_u32 s69, s77, s78
	s_mul_hi_u32 s82, s77, s79
	s_add_co_u32 s0, s80, s75
	s_wait_alu 0xfffe
	s_add_co_ci_u32 s0, s81, s69
	s_mul_i32 s78, s77, s79
	s_add_co_ci_u32 s79, s82, 0
	s_wait_alu 0xfffe
	s_add_nc_u64 s[78:79], s[0:1], s[78:79]
	s_delay_alu instid0(SALU_CYCLE_1)
	s_add_co_u32 s0, s76, s78
	s_cselect_b32 s69, -1, 0
	s_wait_alu 0xfffe
	v_mul_hi_u32 v22, v20, s0
	s_cmp_lg_u32 s69, 0
	v_mad_co_u64_u32 v[11:12], null, v21, s0, 0
	s_add_co_ci_u32 s69, s77, s79
	s_wait_alu 0xfffe
	v_mad_co_u64_u32 v[9:10], null, v20, s69, 0
	v_mad_co_u64_u32 v[18:19], null, v21, s69, 0
	s_delay_alu instid0(VALU_DEP_2) | instskip(SKIP_1) | instid1(VALU_DEP_3)
	v_add_co_u32 v9, vcc_lo, v22, v9
	s_wait_alu 0xfffd
	v_add_co_ci_u32_e64 v10, null, 0, v10, vcc_lo
	s_delay_alu instid0(VALU_DEP_2) | instskip(SKIP_1) | instid1(VALU_DEP_2)
	v_add_co_u32 v9, vcc_lo, v9, v11
	s_wait_alu 0xfffd
	v_add_co_ci_u32_e32 v9, vcc_lo, v10, v12, vcc_lo
	s_wait_alu 0xfffd
	v_add_co_ci_u32_e32 v10, vcc_lo, 0, v19, vcc_lo
	s_delay_alu instid0(VALU_DEP_2) | instskip(SKIP_1) | instid1(VALU_DEP_2)
	v_add_co_u32 v11, vcc_lo, v9, v18
	s_wait_alu 0xfffd
	v_add_co_ci_u32_e64 v12, null, 0, v10, vcc_lo
	s_delay_alu instid0(VALU_DEP_2) | instskip(SKIP_1) | instid1(VALU_DEP_3)
	v_mul_lo_u32 v18, s71, v11
	v_mad_co_u64_u32 v[9:10], null, s70, v11, 0
	v_mul_lo_u32 v19, s70, v12
	s_delay_alu instid0(VALU_DEP_2) | instskip(NEXT) | instid1(VALU_DEP_2)
	v_sub_co_u32 v9, vcc_lo, v20, v9
	v_add3_u32 v10, v10, v19, v18
	v_add_co_u32 v19, s0, v11, 2
	s_wait_alu 0xf1ff
	v_add_co_ci_u32_e64 v20, null, 0, v12, s0
	s_delay_alu instid0(VALU_DEP_3) | instskip(SKIP_3) | instid1(VALU_DEP_3)
	v_sub_nc_u32_e32 v18, v21, v10
	v_sub_co_u32 v22, s0, v9, s70
	s_wait_alu 0xfffd
	v_sub_co_ci_u32_e64 v10, null, v21, v10, vcc_lo
	v_subrev_co_ci_u32_e64 v18, null, s71, v18, vcc_lo
	s_delay_alu instid0(VALU_DEP_3) | instskip(SKIP_1) | instid1(VALU_DEP_2)
	v_cmp_le_u32_e32 vcc_lo, s70, v22
	s_wait_alu 0xf1ff
	v_subrev_co_ci_u32_e64 v18, null, 0, v18, s0
	s_wait_alu 0xfffd
	v_cndmask_b32_e64 v21, 0, -1, vcc_lo
	s_delay_alu instid0(VALU_DEP_2)
	v_cmp_le_u32_e32 vcc_lo, s71, v18
	s_wait_alu 0xfffd
	v_cndmask_b32_e64 v22, 0, -1, vcc_lo
	v_cmp_le_u32_e32 vcc_lo, s70, v9
	s_wait_alu 0xfffd
	v_cndmask_b32_e64 v9, 0, -1, vcc_lo
	;; [unrolled: 3-line block ×3, first 2 shown]
	v_cmp_eq_u32_e32 vcc_lo, s71, v18
	s_wait_alu 0xfffd
	v_cndmask_b32_e32 v18, v22, v21, vcc_lo
	v_add_co_u32 v21, vcc_lo, v11, 1
	s_wait_alu 0xfffd
	v_add_co_ci_u32_e64 v22, null, 0, v12, vcc_lo
	v_cmp_eq_u32_e32 vcc_lo, s71, v10
	s_wait_alu 0xfffd
	v_cndmask_b32_e32 v9, v23, v9, vcc_lo
	v_cmp_ne_u32_e32 vcc_lo, 0, v18
	s_wait_alu 0xfffd
	v_cndmask_b32_e32 v10, v22, v20, vcc_lo
	s_delay_alu instid0(VALU_DEP_3) | instskip(SKIP_2) | instid1(VALU_DEP_2)
	v_cmp_ne_u32_e64 s0, 0, v9
	v_cndmask_b32_e32 v9, v21, v19, vcc_lo
	s_wait_alu 0xf1ff
	v_cndmask_b32_e64 v10, v12, v10, s0
	s_delay_alu instid0(VALU_DEP_2) | instskip(NEXT) | instid1(VALU_DEP_2)
	v_cndmask_b32_e64 v9, v11, v9, s0
                                        ; implicit-def: $vgpr11
	v_xor_b32_e32 v10, v10, v2
	s_delay_alu instid0(VALU_DEP_2) | instskip(NEXT) | instid1(VALU_DEP_1)
	v_xor_b32_e32 v9, v9, v2
	v_sub_co_u32 v9, vcc_lo, v9, v2
	s_wait_alu 0xfffd
	s_delay_alu instid0(VALU_DEP_3)
	v_sub_co_ci_u32_e64 v10, null, v10, v2, vcc_lo
.LBB43_56:                              ;   in Loop: Header=BB43_3 Depth=1
	s_wait_alu 0xfffe
	s_and_not1_saveexec_b32 s0, s67
	s_cbranch_execz .LBB43_58
; %bb.57:                               ;   in Loop: Header=BB43_3 Depth=1
	v_rcp_iflag_f32_e32 v2, v16
	s_sub_co_i32 s67, 0, s54
	s_delay_alu instid0(TRANS32_DEP_1) | instskip(NEXT) | instid1(VALU_DEP_1)
	v_mul_f32_e32 v2, 0x4f7ffffe, v2
	v_cvt_u32_f32_e32 v2, v2
	s_wait_alu 0xfffe
	s_delay_alu instid0(VALU_DEP_1) | instskip(NEXT) | instid1(VALU_DEP_1)
	v_mul_lo_u32 v9, s67, v2
	v_mul_hi_u32 v9, v2, v9
	s_delay_alu instid0(VALU_DEP_1) | instskip(NEXT) | instid1(VALU_DEP_1)
	v_add_nc_u32_e32 v2, v2, v9
	v_mul_hi_u32 v2, v11, v2
	s_delay_alu instid0(VALU_DEP_1) | instskip(SKIP_1) | instid1(VALU_DEP_2)
	v_mul_lo_u32 v9, v2, s54
	v_add_nc_u32_e32 v10, 1, v2
	v_sub_nc_u32_e32 v9, v11, v9
	s_delay_alu instid0(VALU_DEP_1) | instskip(SKIP_2) | instid1(VALU_DEP_2)
	v_subrev_nc_u32_e32 v11, s54, v9
	v_cmp_le_u32_e32 vcc_lo, s54, v9
	s_wait_alu 0xfffd
	v_dual_cndmask_b32 v9, v9, v11 :: v_dual_cndmask_b32 v2, v2, v10
	s_delay_alu instid0(VALU_DEP_1) | instskip(NEXT) | instid1(VALU_DEP_2)
	v_cmp_le_u32_e32 vcc_lo, s54, v9
	v_add_nc_u32_e32 v10, 1, v2
	s_wait_alu 0xfffd
	s_delay_alu instid0(VALU_DEP_1)
	v_dual_cndmask_b32 v9, v2, v10 :: v_dual_mov_b32 v10, v1
.LBB43_58:                              ;   in Loop: Header=BB43_3 Depth=1
	s_wait_alu 0xfffe
	s_or_b32 exec_lo, exec_lo, s0
	s_delay_alu instid0(VALU_DEP_1) | instskip(NEXT) | instid1(VALU_DEP_2)
	v_mul_lo_u32 v2, v10, s54
	v_mul_lo_u32 v18, v9, s55
	v_mad_co_u64_u32 v[11:12], null, v9, s54, 0
	v_mul_lo_u32 v19, v10, s24
	s_mov_b32 s0, exec_lo
	s_delay_alu instid0(VALU_DEP_2) | instskip(NEXT) | instid1(VALU_DEP_3)
	v_add3_u32 v2, v12, v18, v2
	v_sub_co_u32 v5, vcc_lo, v5, v11
	v_mul_lo_u32 v18, v9, s25
	v_mad_co_u64_u32 v[9:10], null, v9, s24, 0
	s_wait_alu 0xfffd
	v_sub_co_ci_u32_e64 v2, null, v6, v2, vcc_lo
	v_add_co_u32 v5, vcc_lo, v3, v5
	s_wait_alu 0xfffd
	s_delay_alu instid0(VALU_DEP_2)
	v_add_co_ci_u32_e64 v2, null, v4, v2, vcc_lo
	v_add_co_u32 v6, vcc_lo, v7, 3
	s_wait_alu 0xfffd
	v_add_co_ci_u32_e64 v20, null, 0, v8, vcc_lo
	v_mul_lo_u32 v21, v5, s27
	v_mul_lo_u32 v2, v2, s26
	v_mad_co_u64_u32 v[11:12], null, v5, s26, 0
	v_mul_lo_u32 v22, s5, v6
	v_mul_lo_u32 v20, s4, v20
	v_mad_co_u64_u32 v[5:6], null, s4, v6, 0
	v_add3_u32 v10, v10, v18, v19
	v_cvt_f16_f32_e32 v19, v17
	v_add3_u32 v12, v12, v21, v2
	s_delay_alu instid0(VALU_DEP_3) | instskip(SKIP_1) | instid1(VALU_DEP_3)
	v_lshlrev_b64_e32 v[9:10], 1, v[9:10]
	v_add3_u32 v6, v6, v20, v22
	v_lshlrev_b64_e32 v[17:18], 1, v[11:12]
	v_add_co_u32 v11, vcc_lo, v3, v5
	s_wait_alu 0xfffd
	s_delay_alu instid0(VALU_DEP_3) | instskip(SKIP_3) | instid1(VALU_DEP_3)
	v_add_co_ci_u32_e64 v12, null, v4, v6, vcc_lo
	v_add_co_u32 v9, vcc_lo, s52, v9
	s_wait_alu 0xfffd
	v_add_co_ci_u32_e64 v10, null, s53, v10, vcc_lo
	v_or_b32_e32 v2, s55, v12
	s_delay_alu instid0(VALU_DEP_3) | instskip(SKIP_1) | instid1(VALU_DEP_3)
	v_add_co_u32 v9, vcc_lo, v9, v17
	s_wait_alu 0xfffd
	v_add_co_ci_u32_e64 v10, null, v10, v18, vcc_lo
	global_store_b16 v[9:10], v19, off
                                        ; implicit-def: $vgpr9_vgpr10
	v_cmpx_ne_u64_e32 0, v[1:2]
	s_wait_alu 0xfffe
	s_xor_b32 s67, exec_lo, s0
	s_cbranch_execz .LBB43_60
; %bb.59:                               ;   in Loop: Header=BB43_3 Depth=1
	s_ashr_i32 s68, s55, 31
	v_ashrrev_i32_e32 v2, 31, v12
	s_wait_alu 0xfffe
	s_mov_b32 s69, s68
	s_wait_alu 0xfffe
	s_add_nc_u64 s[70:71], s[54:55], s[68:69]
	v_add_co_u32 v9, vcc_lo, v11, v2
	s_wait_alu 0xfffe
	s_xor_b64 s[70:71], s[70:71], s[68:69]
	s_wait_alu 0xfffd
	v_add_co_ci_u32_e64 v10, null, v12, v2, vcc_lo
	s_wait_alu 0xfffe
	s_cvt_f32_u32 s0, s70
	s_cvt_f32_u32 s69, s71
	s_sub_nc_u64 s[78:79], 0, s[70:71]
	v_xor_b32_e32 v19, v9, v2
	v_xor_b32_e32 v20, v10, v2
	s_wait_alu 0xfffe
	s_fmamk_f32 s0, s69, 0x4f800000, s0
	v_xor_b32_e32 v2, s68, v2
	s_wait_alu 0xfffe
	s_delay_alu instid0(SALU_CYCLE_1) | instskip(NEXT) | instid1(TRANS32_DEP_1)
	v_s_rcp_f32 s0, s0
	s_mul_f32 s0, s0, 0x5f7ffffc
	s_wait_alu 0xfffe
	s_delay_alu instid0(SALU_CYCLE_2) | instskip(SKIP_1) | instid1(SALU_CYCLE_2)
	s_mul_f32 s69, s0, 0x2f800000
	s_wait_alu 0xfffe
	s_trunc_f32 s69, s69
	s_wait_alu 0xfffe
	s_delay_alu instid0(SALU_CYCLE_2) | instskip(SKIP_2) | instid1(SALU_CYCLE_1)
	s_fmamk_f32 s0, s69, 0xcf800000, s0
	s_cvt_u32_f32 s77, s69
	s_wait_alu 0xfffe
	s_cvt_u32_f32 s76, s0
	s_delay_alu instid0(SALU_CYCLE_3) | instskip(NEXT) | instid1(SALU_CYCLE_1)
	s_mul_u64 s[80:81], s[78:79], s[76:77]
	s_mul_hi_u32 s83, s76, s81
	s_mul_i32 s82, s76, s81
	s_mul_hi_u32 s0, s76, s80
	s_mul_i32 s75, s77, s80
	s_wait_alu 0xfffe
	s_add_nc_u64 s[82:83], s[0:1], s[82:83]
	s_mul_hi_u32 s69, s77, s80
	s_mul_hi_u32 s84, s77, s81
	s_add_co_u32 s0, s82, s75
	s_wait_alu 0xfffe
	s_add_co_ci_u32 s0, s83, s69
	s_mul_i32 s80, s77, s81
	s_add_co_ci_u32 s81, s84, 0
	s_wait_alu 0xfffe
	s_add_nc_u64 s[80:81], s[0:1], s[80:81]
	s_delay_alu instid0(SALU_CYCLE_1) | instskip(SKIP_4) | instid1(SALU_CYCLE_1)
	s_add_co_u32 s76, s76, s80
	s_cselect_b32 s0, -1, 0
	s_wait_alu 0xfffe
	s_cmp_lg_u32 s0, 0
	s_add_co_ci_u32 s77, s77, s81
	s_mul_u64 s[78:79], s[78:79], s[76:77]
	s_delay_alu instid0(SALU_CYCLE_1)
	s_mul_hi_u32 s81, s76, s79
	s_mul_i32 s80, s76, s79
	s_mul_hi_u32 s0, s76, s78
	s_mul_i32 s75, s77, s78
	s_wait_alu 0xfffe
	s_add_nc_u64 s[80:81], s[0:1], s[80:81]
	s_mul_hi_u32 s69, s77, s78
	s_mul_hi_u32 s82, s77, s79
	s_add_co_u32 s0, s80, s75
	s_wait_alu 0xfffe
	s_add_co_ci_u32 s0, s81, s69
	s_mul_i32 s78, s77, s79
	s_add_co_ci_u32 s79, s82, 0
	s_wait_alu 0xfffe
	s_add_nc_u64 s[78:79], s[0:1], s[78:79]
	s_delay_alu instid0(SALU_CYCLE_1)
	s_add_co_u32 s0, s76, s78
	s_cselect_b32 s69, -1, 0
	s_wait_alu 0xfffe
	v_mul_hi_u32 v21, v19, s0
	s_cmp_lg_u32 s69, 0
	v_mad_co_u64_u32 v[11:12], null, v20, s0, 0
	s_add_co_ci_u32 s69, s77, s79
	s_wait_alu 0xfffe
	v_mad_co_u64_u32 v[9:10], null, v19, s69, 0
	v_mad_co_u64_u32 v[17:18], null, v20, s69, 0
	s_delay_alu instid0(VALU_DEP_2) | instskip(SKIP_1) | instid1(VALU_DEP_3)
	v_add_co_u32 v9, vcc_lo, v21, v9
	s_wait_alu 0xfffd
	v_add_co_ci_u32_e64 v10, null, 0, v10, vcc_lo
	s_delay_alu instid0(VALU_DEP_2) | instskip(SKIP_1) | instid1(VALU_DEP_2)
	v_add_co_u32 v9, vcc_lo, v9, v11
	s_wait_alu 0xfffd
	v_add_co_ci_u32_e32 v9, vcc_lo, v10, v12, vcc_lo
	s_wait_alu 0xfffd
	v_add_co_ci_u32_e32 v10, vcc_lo, 0, v18, vcc_lo
	s_delay_alu instid0(VALU_DEP_2) | instskip(SKIP_1) | instid1(VALU_DEP_2)
	v_add_co_u32 v11, vcc_lo, v9, v17
	s_wait_alu 0xfffd
	v_add_co_ci_u32_e64 v12, null, 0, v10, vcc_lo
	s_delay_alu instid0(VALU_DEP_2) | instskip(SKIP_1) | instid1(VALU_DEP_3)
	v_mul_lo_u32 v17, s71, v11
	v_mad_co_u64_u32 v[9:10], null, s70, v11, 0
	v_mul_lo_u32 v18, s70, v12
	s_delay_alu instid0(VALU_DEP_2) | instskip(NEXT) | instid1(VALU_DEP_2)
	v_sub_co_u32 v9, vcc_lo, v19, v9
	v_add3_u32 v10, v10, v18, v17
	v_add_co_u32 v18, s0, v11, 2
	s_wait_alu 0xf1ff
	v_add_co_ci_u32_e64 v19, null, 0, v12, s0
	s_delay_alu instid0(VALU_DEP_3) | instskip(SKIP_3) | instid1(VALU_DEP_3)
	v_sub_nc_u32_e32 v17, v20, v10
	v_sub_co_u32 v21, s0, v9, s70
	s_wait_alu 0xfffd
	v_sub_co_ci_u32_e64 v10, null, v20, v10, vcc_lo
	v_subrev_co_ci_u32_e64 v17, null, s71, v17, vcc_lo
	s_delay_alu instid0(VALU_DEP_3) | instskip(SKIP_1) | instid1(VALU_DEP_2)
	v_cmp_le_u32_e32 vcc_lo, s70, v21
	s_wait_alu 0xf1ff
	v_subrev_co_ci_u32_e64 v17, null, 0, v17, s0
	s_wait_alu 0xfffd
	v_cndmask_b32_e64 v20, 0, -1, vcc_lo
	s_delay_alu instid0(VALU_DEP_2)
	v_cmp_le_u32_e32 vcc_lo, s71, v17
	s_wait_alu 0xfffd
	v_cndmask_b32_e64 v21, 0, -1, vcc_lo
	v_cmp_le_u32_e32 vcc_lo, s70, v9
	s_wait_alu 0xfffd
	v_cndmask_b32_e64 v9, 0, -1, vcc_lo
	;; [unrolled: 3-line block ×3, first 2 shown]
	v_cmp_eq_u32_e32 vcc_lo, s71, v17
	s_wait_alu 0xfffd
	v_cndmask_b32_e32 v17, v21, v20, vcc_lo
	v_add_co_u32 v20, vcc_lo, v11, 1
	s_wait_alu 0xfffd
	v_add_co_ci_u32_e64 v21, null, 0, v12, vcc_lo
	v_cmp_eq_u32_e32 vcc_lo, s71, v10
	s_wait_alu 0xfffd
	v_cndmask_b32_e32 v9, v22, v9, vcc_lo
	v_cmp_ne_u32_e32 vcc_lo, 0, v17
	s_wait_alu 0xfffd
	v_cndmask_b32_e32 v10, v21, v19, vcc_lo
	s_delay_alu instid0(VALU_DEP_3) | instskip(SKIP_2) | instid1(VALU_DEP_2)
	v_cmp_ne_u32_e64 s0, 0, v9
	v_cndmask_b32_e32 v9, v20, v18, vcc_lo
	s_wait_alu 0xf1ff
	v_cndmask_b32_e64 v10, v12, v10, s0
	s_delay_alu instid0(VALU_DEP_2) | instskip(NEXT) | instid1(VALU_DEP_2)
	v_cndmask_b32_e64 v9, v11, v9, s0
                                        ; implicit-def: $vgpr11
	v_xor_b32_e32 v10, v10, v2
	s_delay_alu instid0(VALU_DEP_2) | instskip(NEXT) | instid1(VALU_DEP_1)
	v_xor_b32_e32 v9, v9, v2
	v_sub_co_u32 v9, vcc_lo, v9, v2
	s_wait_alu 0xfffd
	s_delay_alu instid0(VALU_DEP_3)
	v_sub_co_ci_u32_e64 v10, null, v10, v2, vcc_lo
.LBB43_60:                              ;   in Loop: Header=BB43_3 Depth=1
	s_wait_alu 0xfffe
	s_and_not1_saveexec_b32 s0, s67
	s_cbranch_execz .LBB43_62
; %bb.61:                               ;   in Loop: Header=BB43_3 Depth=1
	v_rcp_iflag_f32_e32 v2, v16
	s_sub_co_i32 s67, 0, s54
	s_delay_alu instid0(TRANS32_DEP_1) | instskip(NEXT) | instid1(VALU_DEP_1)
	v_mul_f32_e32 v2, 0x4f7ffffe, v2
	v_cvt_u32_f32_e32 v2, v2
	s_wait_alu 0xfffe
	s_delay_alu instid0(VALU_DEP_1) | instskip(NEXT) | instid1(VALU_DEP_1)
	v_mul_lo_u32 v9, s67, v2
	v_mul_hi_u32 v9, v2, v9
	s_delay_alu instid0(VALU_DEP_1) | instskip(NEXT) | instid1(VALU_DEP_1)
	v_add_nc_u32_e32 v2, v2, v9
	v_mul_hi_u32 v2, v11, v2
	s_delay_alu instid0(VALU_DEP_1) | instskip(SKIP_1) | instid1(VALU_DEP_2)
	v_mul_lo_u32 v9, v2, s54
	v_add_nc_u32_e32 v10, 1, v2
	v_sub_nc_u32_e32 v9, v11, v9
	s_delay_alu instid0(VALU_DEP_1) | instskip(SKIP_2) | instid1(VALU_DEP_2)
	v_subrev_nc_u32_e32 v11, s54, v9
	v_cmp_le_u32_e32 vcc_lo, s54, v9
	s_wait_alu 0xfffd
	v_dual_cndmask_b32 v9, v9, v11 :: v_dual_cndmask_b32 v2, v2, v10
	s_delay_alu instid0(VALU_DEP_1) | instskip(NEXT) | instid1(VALU_DEP_2)
	v_cmp_le_u32_e32 vcc_lo, s54, v9
	v_add_nc_u32_e32 v10, 1, v2
	s_wait_alu 0xfffd
	s_delay_alu instid0(VALU_DEP_1)
	v_dual_cndmask_b32 v9, v2, v10 :: v_dual_mov_b32 v10, v1
.LBB43_62:                              ;   in Loop: Header=BB43_3 Depth=1
	s_wait_alu 0xfffe
	s_or_b32 exec_lo, exec_lo, s0
	s_delay_alu instid0(VALU_DEP_1) | instskip(NEXT) | instid1(VALU_DEP_2)
	v_mul_lo_u32 v2, v10, s54
	v_mul_lo_u32 v17, v9, s55
	v_mad_co_u64_u32 v[11:12], null, v9, s54, 0
	v_mul_lo_u32 v18, v10, s24
	s_mov_b32 s0, exec_lo
	s_delay_alu instid0(VALU_DEP_2) | instskip(NEXT) | instid1(VALU_DEP_3)
	v_add3_u32 v2, v12, v17, v2
	v_sub_co_u32 v5, vcc_lo, v5, v11
	v_mul_lo_u32 v12, v9, s25
	v_mad_co_u64_u32 v[9:10], null, v9, s24, 0
	s_wait_alu 0xfffd
	v_sub_co_ci_u32_e64 v2, null, v6, v2, vcc_lo
	v_add_co_u32 v5, vcc_lo, v3, v5
	s_wait_alu 0xfffd
	s_delay_alu instid0(VALU_DEP_2)
	v_add_co_ci_u32_e64 v2, null, v4, v2, vcc_lo
	v_add_co_u32 v6, vcc_lo, v7, 4
	s_wait_alu 0xfffd
	v_add_co_ci_u32_e64 v11, null, 0, v8, vcc_lo
	v_mul_lo_u32 v17, v5, s27
	v_mul_lo_u32 v2, v2, s26
	v_mad_co_u64_u32 v[7:8], null, v5, s26, 0
	v_mul_lo_u32 v19, s5, v6
	v_mul_lo_u32 v20, s4, v11
	v_mad_co_u64_u32 v[5:6], null, s4, v6, 0
	v_add3_u32 v10, v10, v12, v18
	v_add3_u32 v8, v8, v17, v2
	s_delay_alu instid0(VALU_DEP_2) | instskip(NEXT) | instid1(VALU_DEP_4)
	v_lshlrev_b64_e32 v[11:12], 1, v[9:10]
	v_add3_u32 v6, v6, v20, v19
	v_add_co_u32 v9, vcc_lo, v3, v5
	s_delay_alu instid0(VALU_DEP_4) | instskip(SKIP_1) | instid1(VALU_DEP_3)
	v_lshlrev_b64_e32 v[7:8], 1, v[7:8]
	s_wait_alu 0xfffd
	v_add_co_ci_u32_e64 v10, null, v4, v6, vcc_lo
	v_add_co_u32 v11, vcc_lo, s52, v11
	s_wait_alu 0xfffd
	v_add_co_ci_u32_e64 v12, null, s53, v12, vcc_lo
	s_delay_alu instid0(VALU_DEP_3) | instskip(NEXT) | instid1(VALU_DEP_3)
	v_or_b32_e32 v2, s55, v10
	v_add_co_u32 v7, vcc_lo, v11, v7
	s_wait_alu 0xfffd
	s_delay_alu instid0(VALU_DEP_3)
	v_add_co_ci_u32_e64 v8, null, v12, v8, vcc_lo
	global_store_b16 v[7:8], v13, off
                                        ; implicit-def: $vgpr7_vgpr8
	v_cmpx_ne_u64_e32 0, v[1:2]
	s_wait_alu 0xfffe
	s_xor_b32 s67, exec_lo, s0
	s_cbranch_execz .LBB43_64
; %bb.63:                               ;   in Loop: Header=BB43_3 Depth=1
	s_ashr_i32 s68, s55, 31
	v_ashrrev_i32_e32 v2, 31, v10
	s_wait_alu 0xfffe
	s_mov_b32 s69, s68
	s_wait_alu 0xfffe
	s_add_nc_u64 s[70:71], s[54:55], s[68:69]
	v_add_co_u32 v7, vcc_lo, v9, v2
	s_wait_alu 0xfffe
	s_xor_b64 s[70:71], s[70:71], s[68:69]
	s_wait_alu 0xfffd
	v_add_co_ci_u32_e64 v8, null, v10, v2, vcc_lo
	s_wait_alu 0xfffe
	s_cvt_f32_u32 s0, s70
	s_cvt_f32_u32 s69, s71
	s_sub_nc_u64 s[78:79], 0, s[70:71]
	v_xor_b32_e32 v13, v7, v2
	v_xor_b32_e32 v16, v8, v2
	s_wait_alu 0xfffe
	s_fmamk_f32 s0, s69, 0x4f800000, s0
	v_xor_b32_e32 v2, s68, v2
	s_wait_alu 0xfffe
	s_delay_alu instid0(SALU_CYCLE_1) | instskip(NEXT) | instid1(TRANS32_DEP_1)
	v_s_rcp_f32 s0, s0
	s_mul_f32 s0, s0, 0x5f7ffffc
	s_wait_alu 0xfffe
	s_delay_alu instid0(SALU_CYCLE_2) | instskip(SKIP_1) | instid1(SALU_CYCLE_2)
	s_mul_f32 s69, s0, 0x2f800000
	s_wait_alu 0xfffe
	s_trunc_f32 s69, s69
	s_wait_alu 0xfffe
	s_delay_alu instid0(SALU_CYCLE_2) | instskip(SKIP_2) | instid1(SALU_CYCLE_1)
	s_fmamk_f32 s0, s69, 0xcf800000, s0
	s_cvt_u32_f32 s77, s69
	s_wait_alu 0xfffe
	s_cvt_u32_f32 s76, s0
	s_delay_alu instid0(SALU_CYCLE_3) | instskip(NEXT) | instid1(SALU_CYCLE_1)
	s_mul_u64 s[80:81], s[78:79], s[76:77]
	s_mul_hi_u32 s83, s76, s81
	s_mul_i32 s82, s76, s81
	s_mul_hi_u32 s0, s76, s80
	s_mul_i32 s75, s77, s80
	s_wait_alu 0xfffe
	s_add_nc_u64 s[82:83], s[0:1], s[82:83]
	s_mul_hi_u32 s69, s77, s80
	s_mul_hi_u32 s84, s77, s81
	s_add_co_u32 s0, s82, s75
	s_wait_alu 0xfffe
	s_add_co_ci_u32 s0, s83, s69
	s_mul_i32 s80, s77, s81
	s_add_co_ci_u32 s81, s84, 0
	s_wait_alu 0xfffe
	s_add_nc_u64 s[80:81], s[0:1], s[80:81]
	s_delay_alu instid0(SALU_CYCLE_1) | instskip(SKIP_4) | instid1(SALU_CYCLE_1)
	s_add_co_u32 s76, s76, s80
	s_cselect_b32 s0, -1, 0
	s_wait_alu 0xfffe
	s_cmp_lg_u32 s0, 0
	s_add_co_ci_u32 s77, s77, s81
	s_mul_u64 s[78:79], s[78:79], s[76:77]
	s_delay_alu instid0(SALU_CYCLE_1)
	s_mul_hi_u32 s81, s76, s79
	s_mul_i32 s80, s76, s79
	s_mul_hi_u32 s0, s76, s78
	s_mul_i32 s75, s77, s78
	s_wait_alu 0xfffe
	s_add_nc_u64 s[80:81], s[0:1], s[80:81]
	s_mul_hi_u32 s69, s77, s78
	s_mul_hi_u32 s82, s77, s79
	s_add_co_u32 s0, s80, s75
	s_wait_alu 0xfffe
	s_add_co_ci_u32 s0, s81, s69
	s_mul_i32 s78, s77, s79
	s_add_co_ci_u32 s79, s82, 0
	s_wait_alu 0xfffe
	s_add_nc_u64 s[78:79], s[0:1], s[78:79]
	s_delay_alu instid0(SALU_CYCLE_1)
	s_add_co_u32 s0, s76, s78
	s_cselect_b32 s69, -1, 0
	s_wait_alu 0xfffe
	v_mul_hi_u32 v17, v13, s0
	s_cmp_lg_u32 s69, 0
	v_mad_co_u64_u32 v[9:10], null, v16, s0, 0
	s_add_co_ci_u32 s69, s77, s79
	s_wait_alu 0xfffe
	v_mad_co_u64_u32 v[7:8], null, v13, s69, 0
	v_mad_co_u64_u32 v[11:12], null, v16, s69, 0
	s_delay_alu instid0(VALU_DEP_2) | instskip(SKIP_1) | instid1(VALU_DEP_3)
	v_add_co_u32 v7, vcc_lo, v17, v7
	s_wait_alu 0xfffd
	v_add_co_ci_u32_e64 v8, null, 0, v8, vcc_lo
	s_delay_alu instid0(VALU_DEP_2) | instskip(SKIP_1) | instid1(VALU_DEP_2)
	v_add_co_u32 v7, vcc_lo, v7, v9
	s_wait_alu 0xfffd
	v_add_co_ci_u32_e32 v7, vcc_lo, v8, v10, vcc_lo
	s_wait_alu 0xfffd
	v_add_co_ci_u32_e32 v8, vcc_lo, 0, v12, vcc_lo
	s_delay_alu instid0(VALU_DEP_2) | instskip(SKIP_1) | instid1(VALU_DEP_2)
	v_add_co_u32 v9, vcc_lo, v7, v11
	s_wait_alu 0xfffd
	v_add_co_ci_u32_e64 v10, null, 0, v8, vcc_lo
	s_delay_alu instid0(VALU_DEP_2) | instskip(SKIP_1) | instid1(VALU_DEP_3)
	v_mul_lo_u32 v11, s71, v9
	v_mad_co_u64_u32 v[7:8], null, s70, v9, 0
	v_mul_lo_u32 v12, s70, v10
	s_delay_alu instid0(VALU_DEP_2) | instskip(NEXT) | instid1(VALU_DEP_2)
	v_sub_co_u32 v7, vcc_lo, v13, v7
	v_add3_u32 v8, v8, v12, v11
	v_add_co_u32 v12, s0, v9, 2
	s_wait_alu 0xf1ff
	v_add_co_ci_u32_e64 v13, null, 0, v10, s0
	s_delay_alu instid0(VALU_DEP_3) | instskip(SKIP_3) | instid1(VALU_DEP_3)
	v_sub_nc_u32_e32 v11, v16, v8
	v_sub_co_u32 v17, s0, v7, s70
	s_wait_alu 0xfffd
	v_sub_co_ci_u32_e64 v8, null, v16, v8, vcc_lo
	v_subrev_co_ci_u32_e64 v11, null, s71, v11, vcc_lo
	s_delay_alu instid0(VALU_DEP_3) | instskip(SKIP_1) | instid1(VALU_DEP_2)
	v_cmp_le_u32_e32 vcc_lo, s70, v17
	s_wait_alu 0xf1ff
	v_subrev_co_ci_u32_e64 v11, null, 0, v11, s0
	s_wait_alu 0xfffd
	v_cndmask_b32_e64 v16, 0, -1, vcc_lo
	s_delay_alu instid0(VALU_DEP_2)
	v_cmp_le_u32_e32 vcc_lo, s71, v11
	s_wait_alu 0xfffd
	v_cndmask_b32_e64 v17, 0, -1, vcc_lo
	v_cmp_le_u32_e32 vcc_lo, s70, v7
	s_wait_alu 0xfffd
	v_cndmask_b32_e64 v7, 0, -1, vcc_lo
	;; [unrolled: 3-line block ×3, first 2 shown]
	v_cmp_eq_u32_e32 vcc_lo, s71, v11
	s_wait_alu 0xfffd
	v_cndmask_b32_e32 v11, v17, v16, vcc_lo
	v_add_co_u32 v16, vcc_lo, v9, 1
	s_wait_alu 0xfffd
	v_add_co_ci_u32_e64 v17, null, 0, v10, vcc_lo
	v_cmp_eq_u32_e32 vcc_lo, s71, v8
	s_wait_alu 0xfffd
	v_cndmask_b32_e32 v7, v18, v7, vcc_lo
	v_cmp_ne_u32_e32 vcc_lo, 0, v11
	s_wait_alu 0xfffd
	v_cndmask_b32_e32 v8, v17, v13, vcc_lo
	s_delay_alu instid0(VALU_DEP_3) | instskip(SKIP_2) | instid1(VALU_DEP_2)
	v_cmp_ne_u32_e64 s0, 0, v7
	v_cndmask_b32_e32 v7, v16, v12, vcc_lo
                                        ; implicit-def: $vgpr16
	s_wait_alu 0xf1ff
	v_cndmask_b32_e64 v8, v10, v8, s0
	s_delay_alu instid0(VALU_DEP_2) | instskip(NEXT) | instid1(VALU_DEP_2)
	v_cndmask_b32_e64 v7, v9, v7, s0
                                        ; implicit-def: $vgpr9
	v_xor_b32_e32 v8, v8, v2
	s_delay_alu instid0(VALU_DEP_2) | instskip(NEXT) | instid1(VALU_DEP_1)
	v_xor_b32_e32 v7, v7, v2
	v_sub_co_u32 v7, vcc_lo, v7, v2
	s_wait_alu 0xfffd
	s_delay_alu instid0(VALU_DEP_3)
	v_sub_co_ci_u32_e64 v8, null, v8, v2, vcc_lo
.LBB43_64:                              ;   in Loop: Header=BB43_3 Depth=1
	s_wait_alu 0xfffe
	s_and_not1_saveexec_b32 s0, s67
	s_cbranch_execz .LBB43_2
; %bb.65:                               ;   in Loop: Header=BB43_3 Depth=1
	v_rcp_iflag_f32_e32 v2, v16
	s_sub_co_i32 s67, 0, s54
	s_delay_alu instid0(TRANS32_DEP_1) | instskip(NEXT) | instid1(VALU_DEP_1)
	v_mul_f32_e32 v2, 0x4f7ffffe, v2
	v_cvt_u32_f32_e32 v2, v2
	s_wait_alu 0xfffe
	s_delay_alu instid0(VALU_DEP_1) | instskip(NEXT) | instid1(VALU_DEP_1)
	v_mul_lo_u32 v7, s67, v2
	v_mul_hi_u32 v7, v2, v7
	s_delay_alu instid0(VALU_DEP_1) | instskip(NEXT) | instid1(VALU_DEP_1)
	v_add_nc_u32_e32 v2, v2, v7
	v_mul_hi_u32 v2, v9, v2
	s_delay_alu instid0(VALU_DEP_1) | instskip(SKIP_1) | instid1(VALU_DEP_2)
	v_mul_lo_u32 v7, v2, s54
	v_add_nc_u32_e32 v8, 1, v2
	v_sub_nc_u32_e32 v7, v9, v7
	s_delay_alu instid0(VALU_DEP_1) | instskip(SKIP_2) | instid1(VALU_DEP_2)
	v_subrev_nc_u32_e32 v9, s54, v7
	v_cmp_le_u32_e32 vcc_lo, s54, v7
	s_wait_alu 0xfffd
	v_dual_cndmask_b32 v7, v7, v9 :: v_dual_cndmask_b32 v2, v2, v8
	s_delay_alu instid0(VALU_DEP_1) | instskip(NEXT) | instid1(VALU_DEP_2)
	v_cmp_le_u32_e32 vcc_lo, s54, v7
	v_add_nc_u32_e32 v8, 1, v2
	s_wait_alu 0xfffd
	s_delay_alu instid0(VALU_DEP_1)
	v_dual_cndmask_b32 v7, v2, v8 :: v_dual_mov_b32 v8, v1
	s_branch .LBB43_2
.LBB43_66:
	s_endpgm
	.section	.rodata,"a",@progbits
	.p2align	6, 0x0
	.amdhsa_kernel _ZN2at6native12_GLOBAL__N_16kernel16gru_cell_forwardIN3c104HalfEflLi2EEEvNS_4cuda6detail10TensorInfoIT_T1_EESB_SB_SB_SB_SB_SB_SA_SA_
		.amdhsa_group_segment_fixed_size 0
		.amdhsa_private_segment_fixed_size 0
		.amdhsa_kernarg_size 3184
		.amdhsa_user_sgpr_count 2
		.amdhsa_user_sgpr_dispatch_ptr 0
		.amdhsa_user_sgpr_queue_ptr 0
		.amdhsa_user_sgpr_kernarg_segment_ptr 1
		.amdhsa_user_sgpr_dispatch_id 0
		.amdhsa_user_sgpr_private_segment_size 0
		.amdhsa_wavefront_size32 1
		.amdhsa_uses_dynamic_stack 0
		.amdhsa_enable_private_segment 0
		.amdhsa_system_sgpr_workgroup_id_x 1
		.amdhsa_system_sgpr_workgroup_id_y 0
		.amdhsa_system_sgpr_workgroup_id_z 0
		.amdhsa_system_sgpr_workgroup_info 0
		.amdhsa_system_vgpr_workitem_id 0
		.amdhsa_next_free_vgpr 35
		.amdhsa_next_free_sgpr 85
		.amdhsa_reserve_vcc 1
		.amdhsa_float_round_mode_32 0
		.amdhsa_float_round_mode_16_64 0
		.amdhsa_float_denorm_mode_32 3
		.amdhsa_float_denorm_mode_16_64 3
		.amdhsa_fp16_overflow 0
		.amdhsa_workgroup_processor_mode 1
		.amdhsa_memory_ordered 1
		.amdhsa_forward_progress 1
		.amdhsa_inst_pref_size 146
		.amdhsa_round_robin_scheduling 0
		.amdhsa_exception_fp_ieee_invalid_op 0
		.amdhsa_exception_fp_denorm_src 0
		.amdhsa_exception_fp_ieee_div_zero 0
		.amdhsa_exception_fp_ieee_overflow 0
		.amdhsa_exception_fp_ieee_underflow 0
		.amdhsa_exception_fp_ieee_inexact 0
		.amdhsa_exception_int_div_zero 0
	.end_amdhsa_kernel
	.section	.text._ZN2at6native12_GLOBAL__N_16kernel16gru_cell_forwardIN3c104HalfEflLi2EEEvNS_4cuda6detail10TensorInfoIT_T1_EESB_SB_SB_SB_SB_SB_SA_SA_,"axG",@progbits,_ZN2at6native12_GLOBAL__N_16kernel16gru_cell_forwardIN3c104HalfEflLi2EEEvNS_4cuda6detail10TensorInfoIT_T1_EESB_SB_SB_SB_SB_SB_SA_SA_,comdat
.Lfunc_end43:
	.size	_ZN2at6native12_GLOBAL__N_16kernel16gru_cell_forwardIN3c104HalfEflLi2EEEvNS_4cuda6detail10TensorInfoIT_T1_EESB_SB_SB_SB_SB_SB_SA_SA_, .Lfunc_end43-_ZN2at6native12_GLOBAL__N_16kernel16gru_cell_forwardIN3c104HalfEflLi2EEEvNS_4cuda6detail10TensorInfoIT_T1_EESB_SB_SB_SB_SB_SB_SA_SA_
                                        ; -- End function
	.set _ZN2at6native12_GLOBAL__N_16kernel16gru_cell_forwardIN3c104HalfEflLi2EEEvNS_4cuda6detail10TensorInfoIT_T1_EESB_SB_SB_SB_SB_SB_SA_SA_.num_vgpr, 35
	.set _ZN2at6native12_GLOBAL__N_16kernel16gru_cell_forwardIN3c104HalfEflLi2EEEvNS_4cuda6detail10TensorInfoIT_T1_EESB_SB_SB_SB_SB_SB_SA_SA_.num_agpr, 0
	.set _ZN2at6native12_GLOBAL__N_16kernel16gru_cell_forwardIN3c104HalfEflLi2EEEvNS_4cuda6detail10TensorInfoIT_T1_EESB_SB_SB_SB_SB_SB_SA_SA_.numbered_sgpr, 85
	.set _ZN2at6native12_GLOBAL__N_16kernel16gru_cell_forwardIN3c104HalfEflLi2EEEvNS_4cuda6detail10TensorInfoIT_T1_EESB_SB_SB_SB_SB_SB_SA_SA_.num_named_barrier, 0
	.set _ZN2at6native12_GLOBAL__N_16kernel16gru_cell_forwardIN3c104HalfEflLi2EEEvNS_4cuda6detail10TensorInfoIT_T1_EESB_SB_SB_SB_SB_SB_SA_SA_.private_seg_size, 0
	.set _ZN2at6native12_GLOBAL__N_16kernel16gru_cell_forwardIN3c104HalfEflLi2EEEvNS_4cuda6detail10TensorInfoIT_T1_EESB_SB_SB_SB_SB_SB_SA_SA_.uses_vcc, 1
	.set _ZN2at6native12_GLOBAL__N_16kernel16gru_cell_forwardIN3c104HalfEflLi2EEEvNS_4cuda6detail10TensorInfoIT_T1_EESB_SB_SB_SB_SB_SB_SA_SA_.uses_flat_scratch, 0
	.set _ZN2at6native12_GLOBAL__N_16kernel16gru_cell_forwardIN3c104HalfEflLi2EEEvNS_4cuda6detail10TensorInfoIT_T1_EESB_SB_SB_SB_SB_SB_SA_SA_.has_dyn_sized_stack, 0
	.set _ZN2at6native12_GLOBAL__N_16kernel16gru_cell_forwardIN3c104HalfEflLi2EEEvNS_4cuda6detail10TensorInfoIT_T1_EESB_SB_SB_SB_SB_SB_SA_SA_.has_recursion, 0
	.set _ZN2at6native12_GLOBAL__N_16kernel16gru_cell_forwardIN3c104HalfEflLi2EEEvNS_4cuda6detail10TensorInfoIT_T1_EESB_SB_SB_SB_SB_SB_SA_SA_.has_indirect_call, 0
	.section	.AMDGPU.csdata,"",@progbits
; Kernel info:
; codeLenInByte = 18664
; TotalNumSgprs: 87
; NumVgprs: 35
; ScratchSize: 0
; MemoryBound: 0
; FloatMode: 240
; IeeeMode: 1
; LDSByteSize: 0 bytes/workgroup (compile time only)
; SGPRBlocks: 0
; VGPRBlocks: 4
; NumSGPRsForWavesPerEU: 87
; NumVGPRsForWavesPerEU: 35
; Occupancy: 16
; WaveLimiterHint : 1
; COMPUTE_PGM_RSRC2:SCRATCH_EN: 0
; COMPUTE_PGM_RSRC2:USER_SGPR: 2
; COMPUTE_PGM_RSRC2:TRAP_HANDLER: 0
; COMPUTE_PGM_RSRC2:TGID_X_EN: 1
; COMPUTE_PGM_RSRC2:TGID_Y_EN: 0
; COMPUTE_PGM_RSRC2:TGID_Z_EN: 0
; COMPUTE_PGM_RSRC2:TIDIG_COMP_CNT: 0
	.section	.text._ZN2at6native12_GLOBAL__N_16kernel16gru_cell_forwardIN3c108BFloat16EfiLi1EEEvNS_4cuda6detail10TensorInfoIT_T1_EESB_SB_SB_SB_SB_SB_SA_SA_,"axG",@progbits,_ZN2at6native12_GLOBAL__N_16kernel16gru_cell_forwardIN3c108BFloat16EfiLi1EEEvNS_4cuda6detail10TensorInfoIT_T1_EESB_SB_SB_SB_SB_SB_SA_SA_,comdat
	.globl	_ZN2at6native12_GLOBAL__N_16kernel16gru_cell_forwardIN3c108BFloat16EfiLi1EEEvNS_4cuda6detail10TensorInfoIT_T1_EESB_SB_SB_SB_SB_SB_SA_SA_ ; -- Begin function _ZN2at6native12_GLOBAL__N_16kernel16gru_cell_forwardIN3c108BFloat16EfiLi1EEEvNS_4cuda6detail10TensorInfoIT_T1_EESB_SB_SB_SB_SB_SB_SA_SA_
	.p2align	8
	.type	_ZN2at6native12_GLOBAL__N_16kernel16gru_cell_forwardIN3c108BFloat16EfiLi1EEEvNS_4cuda6detail10TensorInfoIT_T1_EESB_SB_SB_SB_SB_SB_SA_SA_,@function
_ZN2at6native12_GLOBAL__N_16kernel16gru_cell_forwardIN3c108BFloat16EfiLi1EEEvNS_4cuda6detail10TensorInfoIT_T1_EESB_SB_SB_SB_SB_SB_SA_SA_: ; @_ZN2at6native12_GLOBAL__N_16kernel16gru_cell_forwardIN3c108BFloat16EfiLi1EEEvNS_4cuda6detail10TensorInfoIT_T1_EESB_SB_SB_SB_SB_SB_SA_SA_
; %bb.0:
	s_clause 0x1
	s_load_b32 s4, s[0:1], 0x5fc
	s_load_b64 s[2:3], s[0:1], 0x5e8
	s_wait_kmcnt 0x0
	s_and_b32 s25, s4, 0xffff
	s_mov_b32 s4, exec_lo
	v_mad_co_u64_u32 v[0:1], null, ttmp9, s25, v[0:1]
	s_delay_alu instid0(VALU_DEP_1)
	v_cmpx_gt_i32_e64 s3, v0
	s_cbranch_execz .LBB44_10
; %bb.1:
	s_load_b64 s[4:5], s[0:1], 0x1b0
	s_add_nc_u64 s[8:9], s[0:1], 0x5f0
	s_clause 0x4
	s_load_b32 s18, s[0:1], 0x21c
	s_load_b64 s[6:7], s[0:1], 0x288
	s_load_b32 s19, s[0:1], 0x2f4
	s_load_b32 s30, s[0:1], 0x3cc
	s_load_b32 s31, s[0:1], 0x4a4
	s_load_b32 s26, s[8:9], 0x0
	s_mov_b32 s24, 0
	s_mov_b32 s34, 0xbbbac73d
	s_wait_kmcnt 0x0
	s_cmp_lg_u64 s[4:5], 0
	v_mul_lo_u32 v3, v0, s31
	s_cselect_b32 s20, -1, 0
	s_abs_i32 s21, s2
	s_mul_i32 s25, s26, s25
	s_cvt_f32_u32 s8, s21
	s_sub_co_i32 s33, 0, s21
	s_ashr_i32 s26, s2, 31
	s_lshl_b32 s27, s2, 1
	v_rcp_iflag_f32_e32 v1, s8
	s_clause 0x7
	s_load_b64 s[8:9], s[0:1], 0x360
	s_load_b64 s[10:11], s[0:1], 0x438
	;; [unrolled: 1-line block ×3, first 2 shown]
	s_load_b32 s22, s[0:1], 0x6c
	s_load_b64 s[14:15], s[0:1], 0xd8
	s_load_b32 s23, s[0:1], 0x144
	s_load_b64 s[16:17], s[0:1], 0x510
	s_load_b32 s1, s[0:1], 0x57c
	s_lshl_b32 s28, s2, 2
	s_sub_co_i32 s29, 0, s2
	s_mul_i32 s31, s25, s31
	v_readfirstlane_b32 s0, v1
	v_mul_lo_u32 v1, v0, s30
	s_mul_i32 s30, s25, s30
	s_mul_f32 s0, s0, 0x4f7ffffe
	s_wait_alu 0xfffe
	s_delay_alu instid0(SALU_CYCLE_2) | instskip(SKIP_1) | instid1(SALU_CYCLE_2)
	s_cvt_u32_f32 s0, s0
	s_wait_alu 0xfffe
	s_mul_i32 s33, s33, s0
	s_delay_alu instid0(SALU_CYCLE_1) | instskip(NEXT) | instid1(SALU_CYCLE_1)
	s_mul_hi_u32 s33, s0, s33
	s_add_co_i32 s33, s0, s33
	s_branch .LBB44_3
.LBB44_2:                               ;   in Loop: Header=BB44_3 Depth=1
	s_wait_alu 0xfffe
	s_or_b32 exec_lo, exec_lo, s0
	v_lshlrev_b32_e32 v7, 16, v7
	v_lshlrev_b32_e32 v8, 16, v8
	v_bfi_b32 v17, 0x7fffffff, v12, v11
	v_bfe_u32 v12, v10, 16, 1
	v_cmp_o_f32_e64 s0, v9, v9
	s_delay_alu instid0(VALU_DEP_4) | instskip(NEXT) | instid1(VALU_DEP_1)
	v_dual_add_f32 v7, v7, v8 :: v_dual_lshlrev_b32 v6, 2, v6
	v_add_f32_e32 v7, v7, v14
	s_delay_alu instid0(VALU_DEP_1) | instskip(NEXT) | instid1(VALU_DEP_1)
	v_add_f32_e32 v13, v13, v7
	v_mul_f32_e32 v7, 0xbfb8aa3b, v13
	v_cmp_nlt_f32_e32 vcc_lo, 0x42ce8ed0, v13
	s_delay_alu instid0(VALU_DEP_2) | instskip(SKIP_1) | instid1(VALU_DEP_1)
	v_fma_f32 v8, 0xbfb8aa3b, v13, -v7
	v_rndne_f32_e32 v14, v7
	v_dual_fmac_f32 v8, 0xb2a5705f, v13 :: v_dual_sub_f32 v7, v7, v14
	v_cvt_i32_f32_e32 v14, v14
	s_delay_alu instid0(VALU_DEP_2) | instskip(NEXT) | instid1(VALU_DEP_1)
	v_add_f32_e32 v7, v7, v8
	v_exp_f32_e32 v15, v7
	v_mad_co_u64_u32 v[7:8], null, s28, v4, v[0:1]
	s_wait_loadcnt 0x0
	v_lshlrev_b32_e32 v8, 16, v2
	v_ashrrev_i32_e32 v4, 31, v3
	s_delay_alu instid0(VALU_DEP_2) | instskip(SKIP_1) | instid1(TRANS32_DEP_1)
	v_sub_f32_e32 v18, v8, v17
	v_add3_u32 v8, v10, v12, 0x7fff
	v_ldexp_f32 v11, v15, v14
	v_lshlrev_b32_e32 v14, 2, v5
	v_bfe_u32 v15, v9, 16, 1
	v_lshlrev_b64_e32 v[4:5], 1, v[3:4]
	v_add_nc_u32_e32 v3, s31, v3
	s_delay_alu instid0(VALU_DEP_4)
	v_sub_nc_u32_e32 v12, v6, v14
	s_wait_alu 0xfffd
	v_cndmask_b32_e32 v11, 0, v11, vcc_lo
	v_cmp_ngt_f32_e32 vcc_lo, 0xc2b17218, v13
	v_mul_lo_u32 v6, v7, s1
	v_lshrrev_b32_e32 v7, 16, v8
	v_add_nc_u32_e32 v22, 4, v12
	v_or_b32_e32 v8, 1, v12
	s_wait_alu 0xfffd
	v_cndmask_b32_e32 v11, 0x7f800000, v11, vcc_lo
	v_add_co_u32 v4, vcc_lo, s10, v4
	s_wait_alu 0xfffd
	v_add_co_ci_u32_e64 v5, null, s11, v5, vcc_lo
	s_delay_alu instid0(VALU_DEP_3)
	v_add_f32_e32 v14, 1.0, v11
	v_add3_u32 v11, v9, v15, 0x7fff
	v_cmp_o_f32_e32 vcc_lo, v10, v10
	v_or_b32_e32 v16, 2, v12
	v_bfe_u32 v13, v17, 16, 1
	v_div_scale_f32 v15, null, v14, v14, 1.0
	s_wait_alu 0xfffd
	v_cndmask_b32_e32 v23, 0x7fc0, v7, vcc_lo
	v_div_scale_f32 v25, vcc_lo, 1.0, v14, 1.0
	s_delay_alu instid0(VALU_DEP_3) | instskip(SKIP_3) | instid1(VALU_DEP_1)
	v_rcp_f32_e32 v19, v15
	v_lshrrev_b32_e32 v21, 16, v11
	v_or_b32_e32 v20, 3, v12
	v_add3_u32 v13, v17, v13, 0x7fff
	v_lshrrev_b32_e32 v24, 16, v13
	s_delay_alu instid0(TRANS32_DEP_1) | instskip(NEXT) | instid1(VALU_DEP_1)
	v_fma_f32 v7, -v15, v19, 1.0
	v_fmac_f32_e32 v19, v7, v19
	v_add_nc_u32_e32 v1, s30, v1
	v_ashrrev_i32_e32 v7, 31, v6
	s_delay_alu instid0(VALU_DEP_2) | instskip(SKIP_4) | instid1(VALU_DEP_3)
	v_mad_co_u64_u32 v[10:11], null, s2, v8, v[0:1]
	v_mad_co_u64_u32 v[11:12], null, s2, v16, v[0:1]
	v_mul_f32_e32 v16, v25, v19
	v_mad_co_u64_u32 v[8:9], null, s2, v22, v[0:1]
	v_mad_co_u64_u32 v[12:13], null, s2, v20, v[0:1]
	v_fma_f32 v9, -v15, v16, v25
	v_add_nc_u32_e32 v0, s25, v0
	v_mul_lo_u32 v11, v11, s1
	v_lshlrev_b64_e32 v[6:7], 1, v[6:7]
	s_wait_alu 0xf1ff
	v_cndmask_b32_e64 v20, 0x7fc0, v21, s0
	v_fmac_f32_e32 v16, v9, v19
	v_mul_lo_u32 v9, v10, s1
	v_mul_lo_u32 v13, v12, s1
	v_cmp_o_f32_e64 s0, v17, v17
	s_delay_alu instid0(VALU_DEP_4)
	v_fma_f32 v10, -v15, v16, v25
	v_mul_lo_u32 v15, v8, s1
	v_ashrrev_i32_e32 v12, 31, v11
	s_wait_alu 0xf1ff
	v_cndmask_b32_e64 v21, 0x7fc0, v24, s0
	v_cmp_le_i32_e64 s0, s3, v0
	s_wait_alu 0xfffd
	v_div_fmas_f32 v8, v10, v19, v16
	v_ashrrev_i32_e32 v10, 31, v9
	v_add_co_u32 v6, vcc_lo, s16, v6
	v_ashrrev_i32_e32 v16, 31, v15
	s_delay_alu instid0(VALU_DEP_4)
	v_div_fixup_f32 v19, v8, v14, 1.0
	v_ashrrev_i32_e32 v14, 31, v13
	v_lshlrev_b64_e32 v[8:9], 1, v[9:10]
	v_lshlrev_b64_e32 v[10:11], 1, v[11:12]
	s_wait_alu 0xfffd
	v_add_co_ci_u32_e64 v7, null, s17, v7, vcc_lo
	v_fma_f32 v17, v19, v18, v17
	v_lshlrev_b64_e32 v[12:13], 1, v[13:14]
	v_lshlrev_b64_e32 v[14:15], 1, v[15:16]
	v_bfe_u32 v16, v19, 16, 1
	v_add_co_u32 v8, vcc_lo, s16, v8
	v_bfe_u32 v18, v17, 16, 1
	s_wait_alu 0xfffd
	v_add_co_ci_u32_e64 v9, null, s17, v9, vcc_lo
	v_add3_u32 v16, v19, v16, 0x7fff
	v_add_co_u32 v10, vcc_lo, s16, v10
	s_wait_alu 0xfffd
	v_add_co_ci_u32_e64 v11, null, s17, v11, vcc_lo
	v_add_co_u32 v12, vcc_lo, s16, v12
	v_add3_u32 v18, v17, v18, 0x7fff
	v_lshrrev_b32_e32 v16, 16, v16
	s_wait_alu 0xfffd
	v_add_co_ci_u32_e64 v13, null, s17, v13, vcc_lo
	v_cmp_o_f32_e32 vcc_lo, v19, v19
	v_lshrrev_b32_e32 v18, 16, v18
	s_or_b32 s24, s0, s24
	s_wait_alu 0xfffd
	v_cndmask_b32_e32 v16, 0x7fc0, v16, vcc_lo
	v_cmp_o_f32_e32 vcc_lo, v17, v17
	s_wait_alu 0xfffd
	v_cndmask_b32_e32 v17, 0x7fc0, v18, vcc_lo
	v_add_co_u32 v14, vcc_lo, s16, v14
	s_wait_alu 0xfffd
	v_add_co_ci_u32_e64 v15, null, s17, v15, vcc_lo
	global_store_b16 v[4:5], v17, off
	s_clause 0x4
	global_store_b16 v[6:7], v23, off
	global_store_b16 v[8:9], v16, off
	;; [unrolled: 1-line block ×5, first 2 shown]
	s_wait_alu 0xfffe
	s_and_not1_b32 exec_lo, exec_lo, s24
	s_cbranch_execz .LBB44_10
.LBB44_3:                               ; =>This Inner Loop Header: Depth=1
	v_sub_nc_u32_e32 v2, 0, v0
	s_delay_alu instid0(VALU_DEP_1) | instskip(NEXT) | instid1(VALU_DEP_1)
	v_max_i32_e32 v2, v0, v2
	v_mul_hi_u32 v4, v2, s33
	s_delay_alu instid0(VALU_DEP_1) | instskip(NEXT) | instid1(VALU_DEP_1)
	v_mul_lo_u32 v5, v4, s21
	v_sub_nc_u32_e32 v2, v2, v5
	s_delay_alu instid0(VALU_DEP_1) | instskip(SKIP_2) | instid1(VALU_DEP_2)
	v_subrev_nc_u32_e32 v6, s21, v2
	v_cmp_le_u32_e32 vcc_lo, s21, v2
	s_wait_alu 0xfffd
	v_dual_cndmask_b32 v2, v2, v6 :: v_dual_add_nc_u32 v5, 1, v4
	s_delay_alu instid0(VALU_DEP_1) | instskip(SKIP_1) | instid1(VALU_DEP_3)
	v_cndmask_b32_e32 v4, v4, v5, vcc_lo
	v_ashrrev_i32_e32 v5, 31, v0
	v_cmp_le_u32_e32 vcc_lo, s21, v2
	s_delay_alu instid0(VALU_DEP_3) | instskip(NEXT) | instid1(VALU_DEP_3)
	v_add_nc_u32_e32 v6, 1, v4
	v_xor_b32_e32 v5, s26, v5
	s_wait_alu 0xfffd
	s_delay_alu instid0(VALU_DEP_2) | instskip(NEXT) | instid1(VALU_DEP_1)
	v_cndmask_b32_e32 v2, v4, v6, vcc_lo
	v_xor_b32_e32 v6, v2, v5
	v_lshlrev_b32_e32 v2, 1, v5
	s_delay_alu instid0(VALU_DEP_2) | instskip(SKIP_1) | instid1(VALU_DEP_2)
	v_sub_nc_u32_e32 v4, v6, v5
	v_lshlrev_b32_e32 v9, 1, v6
	v_mad_co_u64_u32 v[7:8], null, s27, v4, v[0:1]
	s_delay_alu instid0(VALU_DEP_2) | instskip(SKIP_1) | instid1(VALU_DEP_2)
	v_sub_nc_u32_e32 v8, v9, v2
	v_ashrrev_i32_e32 v2, 31, v1
	v_or_b32_e32 v9, 1, v8
	v_add_nc_u32_e32 v11, 2, v8
	s_wait_kmcnt 0x0
	v_mul_lo_u32 v8, v7, s22
	v_mul_lo_u32 v10, v7, s23
	v_mad_co_u64_u32 v[12:13], null, s2, v9, v[0:1]
	v_mad_co_u64_u32 v[13:14], null, s2, v11, v[0:1]
	v_lshlrev_b64_e32 v[14:15], 1, v[1:2]
	v_ashrrev_i32_e32 v9, 31, v8
	v_ashrrev_i32_e32 v11, 31, v10
	v_mul_lo_u32 v7, v12, s22
	v_mul_lo_u32 v12, v12, s23
	;; [unrolled: 1-line block ×3, first 2 shown]
	v_lshlrev_b64_e32 v[20:21], 1, v[8:9]
	v_mul_lo_u32 v18, v13, s23
	v_lshlrev_b64_e32 v[9:10], 1, v[10:11]
	v_add_co_u32 v14, vcc_lo, s8, v14
	v_ashrrev_i32_e32 v8, 31, v7
	s_wait_alu 0xfffd
	v_add_co_ci_u32_e64 v15, null, s9, v15, vcc_lo
	v_ashrrev_i32_e32 v17, 31, v16
	v_add_co_u32 v20, vcc_lo, s12, v20
	v_ashrrev_i32_e32 v13, 31, v12
	s_wait_alu 0xfffd
	v_add_co_ci_u32_e64 v21, null, s13, v21, vcc_lo
	v_lshlrev_b64_e32 v[7:8], 1, v[7:8]
	v_add_co_u32 v22, vcc_lo, s14, v9
	v_ashrrev_i32_e32 v19, 31, v18
	s_wait_alu 0xfffd
	v_add_co_ci_u32_e64 v23, null, s15, v10, vcc_lo
	v_lshlrev_b64_e32 v[9:10], 1, v[16:17]
	v_lshlrev_b64_e32 v[11:12], 1, v[12:13]
	;; [unrolled: 1-line block ×3, first 2 shown]
	v_add_co_u32 v7, vcc_lo, s12, v7
	s_wait_alu 0xfffd
	v_add_co_ci_u32_e64 v8, null, s13, v8, vcc_lo
	v_add_co_u32 v9, vcc_lo, s12, v9
	s_wait_alu 0xfffd
	v_add_co_ci_u32_e64 v10, null, s13, v10, vcc_lo
	;; [unrolled: 3-line block ×4, first 2 shown]
	s_clause 0x2
	global_load_u16 v11, v[20:21], off
	global_load_u16 v7, v[7:8], off
	;; [unrolled: 1-line block ×3, first 2 shown]
	s_clause 0x2
	global_load_u16 v12, v[22:23], off
	global_load_u16 v8, v[18:19], off
	;; [unrolled: 1-line block ×4, first 2 shown]
	s_and_not1_b32 vcc_lo, exec_lo, s20
	s_wait_alu 0xfffe
	s_cbranch_vccnz .LBB44_5
; %bb.4:                                ;   in Loop: Header=BB44_3 Depth=1
	v_sub_nc_u32_e32 v15, v5, v6
	v_mad_co_u64_u32 v[13:14], null, s29, v4, v[0:1]
	s_delay_alu instid0(VALU_DEP_2) | instskip(SKIP_1) | instid1(VALU_DEP_3)
	v_mul_lo_u32 v17, s2, v15
	v_add_nc_u32_e32 v15, 2, v15
	v_mul_lo_u32 v14, v13, s18
	v_mul_lo_u32 v16, v13, s19
	s_delay_alu instid0(VALU_DEP_3) | instskip(SKIP_1) | instid1(VALU_DEP_4)
	v_mad_co_u64_u32 v[18:19], null, s2, v15, v[0:1]
	v_add3_u32 v20, v17, s2, v0
	v_ashrrev_i32_e32 v15, 31, v14
	s_delay_alu instid0(VALU_DEP_2) | instskip(NEXT) | instid1(VALU_DEP_4)
	v_mul_lo_u32 v13, v20, s18
	v_mul_lo_u32 v19, v18, s18
	;; [unrolled: 1-line block ×4, first 2 shown]
	v_lshlrev_b64_e32 v[25:26], 1, v[14:15]
	v_ashrrev_i32_e32 v17, 31, v16
	v_ashrrev_i32_e32 v14, 31, v13
	;; [unrolled: 1-line block ×5, first 2 shown]
	v_lshlrev_b64_e32 v[15:16], 1, v[16:17]
	v_lshlrev_b64_e32 v[13:14], 1, v[13:14]
	;; [unrolled: 1-line block ×3, first 2 shown]
	v_add_co_u32 v17, vcc_lo, s4, v25
	s_wait_alu 0xfffd
	v_add_co_ci_u32_e64 v18, null, s5, v26, vcc_lo
	v_lshlrev_b64_e32 v[21:22], 1, v[21:22]
	v_add_co_u32 v13, vcc_lo, s4, v13
	s_wait_alu 0xfffd
	v_add_co_ci_u32_e64 v14, null, s5, v14, vcc_lo
	v_add_co_u32 v19, vcc_lo, s4, v19
	v_lshlrev_b64_e32 v[23:24], 1, v[23:24]
	s_wait_alu 0xfffd
	v_add_co_ci_u32_e64 v20, null, s5, v20, vcc_lo
	v_add_co_u32 v15, vcc_lo, s6, v15
	s_wait_alu 0xfffd
	v_add_co_ci_u32_e64 v16, null, s7, v16, vcc_lo
	v_add_co_u32 v21, vcc_lo, s6, v21
	;; [unrolled: 3-line block ×3, first 2 shown]
	s_wait_alu 0xfffd
	v_add_co_ci_u32_e64 v24, null, s7, v24, vcc_lo
	global_load_u16 v17, v[17:18], off
	global_load_u16 v15, v[15:16], off
	s_clause 0x1
	global_load_u16 v13, v[13:14], off
	global_load_u16 v16, v[19:20], off
	s_clause 0x1
	global_load_u16 v19, v[23:24], off
	global_load_u16 v20, v[21:22], off
	s_wait_loadcnt 0x5
	v_lshlrev_b32_e32 v18, 16, v17
	s_wait_loadcnt 0x4
	v_lshlrev_b32_e32 v17, 16, v15
	;; [unrolled: 2-line block ×6, first 2 shown]
	s_branch .LBB44_6
.LBB44_5:                               ;   in Loop: Header=BB44_3 Depth=1
	v_dual_mov_b32 v15, 0 :: v_dual_mov_b32 v16, 0
	v_dual_mov_b32 v13, 0 :: v_dual_mov_b32 v14, 0
	;; [unrolled: 1-line block ×3, first 2 shown]
.LBB44_6:                               ;   in Loop: Header=BB44_3 Depth=1
	s_wait_loadcnt 0x6
	v_lshlrev_b32_e32 v11, 16, v11
	s_wait_loadcnt 0x3
	v_lshlrev_b32_e32 v12, 16, v12
	v_lshlrev_b32_e32 v10, 16, v10
	s_wait_loadcnt 0x1
	v_lshlrev_b32_e32 v9, 16, v9
	s_delay_alu instid0(VALU_DEP_3) | instskip(NEXT) | instid1(VALU_DEP_2)
	v_add_f32_e32 v11, v11, v12
	v_add_f32_e32 v9, v15, v9
	s_delay_alu instid0(VALU_DEP_2) | instskip(NEXT) | instid1(VALU_DEP_1)
	v_add_f32_e32 v11, v11, v18
	v_add_f32_e32 v11, v17, v11
	s_delay_alu instid0(VALU_DEP_1) | instskip(SKIP_1) | instid1(VALU_DEP_2)
	v_mul_f32_e32 v12, 0xbfb8aa3b, v11
	v_cmp_nlt_f32_e32 vcc_lo, 0x42ce8ed0, v11
	v_fma_f32 v17, 0xbfb8aa3b, v11, -v12
	v_rndne_f32_e32 v18, v12
	s_delay_alu instid0(VALU_DEP_1) | instskip(NEXT) | instid1(VALU_DEP_1)
	v_dual_fmac_f32 v17, 0xb2a5705f, v11 :: v_dual_sub_f32 v12, v12, v18
	v_add_f32_e32 v12, v12, v17
	v_cvt_i32_f32_e32 v17, v18
	s_delay_alu instid0(VALU_DEP_2) | instskip(NEXT) | instid1(TRANS32_DEP_1)
	v_exp_f32_e32 v12, v12
	v_ldexp_f32 v12, v12, v17
	s_wait_alu 0xfffd
	s_delay_alu instid0(VALU_DEP_1) | instskip(SKIP_2) | instid1(VALU_DEP_2)
	v_cndmask_b32_e32 v12, 0, v12, vcc_lo
	v_cmp_ngt_f32_e32 vcc_lo, 0xc2b17218, v11
	s_wait_alu 0xfffd
	v_cndmask_b32_e32 v11, 0x7f800000, v12, vcc_lo
	s_delay_alu instid0(VALU_DEP_1) | instskip(NEXT) | instid1(VALU_DEP_1)
	v_add_f32_e32 v12, 1.0, v11
	v_div_scale_f32 v11, null, v12, v12, 1.0
	v_div_scale_f32 v19, vcc_lo, 1.0, v12, 1.0
	s_delay_alu instid0(VALU_DEP_2) | instskip(NEXT) | instid1(TRANS32_DEP_1)
	v_rcp_f32_e32 v17, v11
	v_fma_f32 v18, -v11, v17, 1.0
	s_delay_alu instid0(VALU_DEP_1) | instskip(NEXT) | instid1(VALU_DEP_1)
	v_fmac_f32_e32 v17, v18, v17
	v_mul_f32_e32 v18, v19, v17
	s_delay_alu instid0(VALU_DEP_1) | instskip(NEXT) | instid1(VALU_DEP_1)
	v_fma_f32 v20, -v11, v18, v19
	v_fmac_f32_e32 v18, v20, v17
	s_delay_alu instid0(VALU_DEP_1) | instskip(SKIP_1) | instid1(VALU_DEP_1)
	v_fma_f32 v11, -v11, v18, v19
	s_wait_alu 0xfffd
	v_div_fmas_f32 v17, v11, v17, v18
	v_add_f32_e32 v11, v16, v10
	s_delay_alu instid0(VALU_DEP_2) | instskip(NEXT) | instid1(VALU_DEP_1)
	v_div_fixup_f32 v10, v17, v12, 1.0
                                        ; implicit-def: $vgpr12
	v_fmac_f32_e32 v11, v9, v10
	s_delay_alu instid0(VALU_DEP_1)
	v_cmp_ngt_f32_e64 s0, 0x3f200000, |v11|
	s_and_saveexec_b32 s35, s0
	s_wait_alu 0xfffe
	s_xor_b32 s0, exec_lo, s35
	s_cbranch_execz .LBB44_8
; %bb.7:                                ;   in Loop: Header=BB44_3 Depth=1
	v_add_f32_e64 v12, |v11|, |v11|
	s_delay_alu instid0(VALU_DEP_1) | instskip(SKIP_1) | instid1(VALU_DEP_2)
	v_mul_f32_e32 v15, 0x3fb8aa3b, v12
	v_cmp_ngt_f32_e32 vcc_lo, 0xc2ce8ed0, v12
	v_rndne_f32_e32 v16, v15
	v_fma_f32 v17, 0x3fb8aa3b, v12, -v15
	s_delay_alu instid0(VALU_DEP_2) | instskip(NEXT) | instid1(VALU_DEP_2)
	v_sub_f32_e32 v15, v15, v16
	v_fmac_f32_e32 v17, 0x32a5705f, v12
	v_cvt_i32_f32_e32 v16, v16
	s_delay_alu instid0(VALU_DEP_2) | instskip(NEXT) | instid1(VALU_DEP_1)
	v_add_f32_e32 v15, v15, v17
	v_exp_f32_e32 v15, v15
	s_delay_alu instid0(TRANS32_DEP_1) | instskip(SKIP_1) | instid1(VALU_DEP_1)
	v_ldexp_f32 v15, v15, v16
	s_wait_alu 0xfffd
	v_cndmask_b32_e32 v15, 0, v15, vcc_lo
	v_cmp_nlt_f32_e32 vcc_lo, 0x42b17218, v12
	s_wait_alu 0xfffd
	s_delay_alu instid0(VALU_DEP_2) | instskip(NEXT) | instid1(VALU_DEP_1)
	v_cndmask_b32_e32 v12, 0x7f800000, v15, vcc_lo
	v_add_f32_e32 v12, 1.0, v12
	s_delay_alu instid0(VALU_DEP_1) | instskip(NEXT) | instid1(TRANS32_DEP_1)
	v_rcp_f32_e32 v12, v12
	v_fma_f32 v12, v12, -2.0, 1.0
.LBB44_8:                               ;   in Loop: Header=BB44_3 Depth=1
	s_wait_alu 0xfffe
	s_and_not1_saveexec_b32 s0, s0
	s_cbranch_execz .LBB44_2
; %bb.9:                                ;   in Loop: Header=BB44_3 Depth=1
	v_mul_f32_e32 v12, v11, v11
	s_delay_alu instid0(VALU_DEP_1) | instskip(NEXT) | instid1(VALU_DEP_1)
	v_fmaak_f32 v15, s34, v12, 0x3ca908c9
	v_fmaak_f32 v15, v12, v15, 0xbd5c1c4e
	s_delay_alu instid0(VALU_DEP_1) | instskip(NEXT) | instid1(VALU_DEP_1)
	v_fmaak_f32 v15, v12, v15, 0x3e088382
	v_fmaak_f32 v15, v12, v15, 0xbeaaaa99
	s_delay_alu instid0(VALU_DEP_1) | instskip(NEXT) | instid1(VALU_DEP_1)
	v_mul_f32_e64 v15, |v11|, v15
	v_fma_f32 v12, v12, v15, |v11|
	s_branch .LBB44_2
.LBB44_10:
	s_endpgm
	.section	.rodata,"a",@progbits
	.p2align	6, 0x0
	.amdhsa_kernel _ZN2at6native12_GLOBAL__N_16kernel16gru_cell_forwardIN3c108BFloat16EfiLi1EEEvNS_4cuda6detail10TensorInfoIT_T1_EESB_SB_SB_SB_SB_SB_SA_SA_
		.amdhsa_group_segment_fixed_size 0
		.amdhsa_private_segment_fixed_size 0
		.amdhsa_kernarg_size 1776
		.amdhsa_user_sgpr_count 2
		.amdhsa_user_sgpr_dispatch_ptr 0
		.amdhsa_user_sgpr_queue_ptr 0
		.amdhsa_user_sgpr_kernarg_segment_ptr 1
		.amdhsa_user_sgpr_dispatch_id 0
		.amdhsa_user_sgpr_private_segment_size 0
		.amdhsa_wavefront_size32 1
		.amdhsa_uses_dynamic_stack 0
		.amdhsa_enable_private_segment 0
		.amdhsa_system_sgpr_workgroup_id_x 1
		.amdhsa_system_sgpr_workgroup_id_y 0
		.amdhsa_system_sgpr_workgroup_id_z 0
		.amdhsa_system_sgpr_workgroup_info 0
		.amdhsa_system_vgpr_workitem_id 0
		.amdhsa_next_free_vgpr 27
		.amdhsa_next_free_sgpr 36
		.amdhsa_reserve_vcc 1
		.amdhsa_float_round_mode_32 0
		.amdhsa_float_round_mode_16_64 0
		.amdhsa_float_denorm_mode_32 3
		.amdhsa_float_denorm_mode_16_64 3
		.amdhsa_fp16_overflow 0
		.amdhsa_workgroup_processor_mode 1
		.amdhsa_memory_ordered 1
		.amdhsa_forward_progress 1
		.amdhsa_inst_pref_size 21
		.amdhsa_round_robin_scheduling 0
		.amdhsa_exception_fp_ieee_invalid_op 0
		.amdhsa_exception_fp_denorm_src 0
		.amdhsa_exception_fp_ieee_div_zero 0
		.amdhsa_exception_fp_ieee_overflow 0
		.amdhsa_exception_fp_ieee_underflow 0
		.amdhsa_exception_fp_ieee_inexact 0
		.amdhsa_exception_int_div_zero 0
	.end_amdhsa_kernel
	.section	.text._ZN2at6native12_GLOBAL__N_16kernel16gru_cell_forwardIN3c108BFloat16EfiLi1EEEvNS_4cuda6detail10TensorInfoIT_T1_EESB_SB_SB_SB_SB_SB_SA_SA_,"axG",@progbits,_ZN2at6native12_GLOBAL__N_16kernel16gru_cell_forwardIN3c108BFloat16EfiLi1EEEvNS_4cuda6detail10TensorInfoIT_T1_EESB_SB_SB_SB_SB_SB_SA_SA_,comdat
.Lfunc_end44:
	.size	_ZN2at6native12_GLOBAL__N_16kernel16gru_cell_forwardIN3c108BFloat16EfiLi1EEEvNS_4cuda6detail10TensorInfoIT_T1_EESB_SB_SB_SB_SB_SB_SA_SA_, .Lfunc_end44-_ZN2at6native12_GLOBAL__N_16kernel16gru_cell_forwardIN3c108BFloat16EfiLi1EEEvNS_4cuda6detail10TensorInfoIT_T1_EESB_SB_SB_SB_SB_SB_SA_SA_
                                        ; -- End function
	.set _ZN2at6native12_GLOBAL__N_16kernel16gru_cell_forwardIN3c108BFloat16EfiLi1EEEvNS_4cuda6detail10TensorInfoIT_T1_EESB_SB_SB_SB_SB_SB_SA_SA_.num_vgpr, 27
	.set _ZN2at6native12_GLOBAL__N_16kernel16gru_cell_forwardIN3c108BFloat16EfiLi1EEEvNS_4cuda6detail10TensorInfoIT_T1_EESB_SB_SB_SB_SB_SB_SA_SA_.num_agpr, 0
	.set _ZN2at6native12_GLOBAL__N_16kernel16gru_cell_forwardIN3c108BFloat16EfiLi1EEEvNS_4cuda6detail10TensorInfoIT_T1_EESB_SB_SB_SB_SB_SB_SA_SA_.numbered_sgpr, 36
	.set _ZN2at6native12_GLOBAL__N_16kernel16gru_cell_forwardIN3c108BFloat16EfiLi1EEEvNS_4cuda6detail10TensorInfoIT_T1_EESB_SB_SB_SB_SB_SB_SA_SA_.num_named_barrier, 0
	.set _ZN2at6native12_GLOBAL__N_16kernel16gru_cell_forwardIN3c108BFloat16EfiLi1EEEvNS_4cuda6detail10TensorInfoIT_T1_EESB_SB_SB_SB_SB_SB_SA_SA_.private_seg_size, 0
	.set _ZN2at6native12_GLOBAL__N_16kernel16gru_cell_forwardIN3c108BFloat16EfiLi1EEEvNS_4cuda6detail10TensorInfoIT_T1_EESB_SB_SB_SB_SB_SB_SA_SA_.uses_vcc, 1
	.set _ZN2at6native12_GLOBAL__N_16kernel16gru_cell_forwardIN3c108BFloat16EfiLi1EEEvNS_4cuda6detail10TensorInfoIT_T1_EESB_SB_SB_SB_SB_SB_SA_SA_.uses_flat_scratch, 0
	.set _ZN2at6native12_GLOBAL__N_16kernel16gru_cell_forwardIN3c108BFloat16EfiLi1EEEvNS_4cuda6detail10TensorInfoIT_T1_EESB_SB_SB_SB_SB_SB_SA_SA_.has_dyn_sized_stack, 0
	.set _ZN2at6native12_GLOBAL__N_16kernel16gru_cell_forwardIN3c108BFloat16EfiLi1EEEvNS_4cuda6detail10TensorInfoIT_T1_EESB_SB_SB_SB_SB_SB_SA_SA_.has_recursion, 0
	.set _ZN2at6native12_GLOBAL__N_16kernel16gru_cell_forwardIN3c108BFloat16EfiLi1EEEvNS_4cuda6detail10TensorInfoIT_T1_EESB_SB_SB_SB_SB_SB_SA_SA_.has_indirect_call, 0
	.section	.AMDGPU.csdata,"",@progbits
; Kernel info:
; codeLenInByte = 2676
; TotalNumSgprs: 38
; NumVgprs: 27
; ScratchSize: 0
; MemoryBound: 0
; FloatMode: 240
; IeeeMode: 1
; LDSByteSize: 0 bytes/workgroup (compile time only)
; SGPRBlocks: 0
; VGPRBlocks: 3
; NumSGPRsForWavesPerEU: 38
; NumVGPRsForWavesPerEU: 27
; Occupancy: 16
; WaveLimiterHint : 1
; COMPUTE_PGM_RSRC2:SCRATCH_EN: 0
; COMPUTE_PGM_RSRC2:USER_SGPR: 2
; COMPUTE_PGM_RSRC2:TRAP_HANDLER: 0
; COMPUTE_PGM_RSRC2:TGID_X_EN: 1
; COMPUTE_PGM_RSRC2:TGID_Y_EN: 0
; COMPUTE_PGM_RSRC2:TGID_Z_EN: 0
; COMPUTE_PGM_RSRC2:TIDIG_COMP_CNT: 0
	.section	.text._ZN2at6native12_GLOBAL__N_16kernel16gru_cell_forwardIN3c108BFloat16EfiLi2EEEvNS_4cuda6detail10TensorInfoIT_T1_EESB_SB_SB_SB_SB_SB_SA_SA_,"axG",@progbits,_ZN2at6native12_GLOBAL__N_16kernel16gru_cell_forwardIN3c108BFloat16EfiLi2EEEvNS_4cuda6detail10TensorInfoIT_T1_EESB_SB_SB_SB_SB_SB_SA_SA_,comdat
	.globl	_ZN2at6native12_GLOBAL__N_16kernel16gru_cell_forwardIN3c108BFloat16EfiLi2EEEvNS_4cuda6detail10TensorInfoIT_T1_EESB_SB_SB_SB_SB_SB_SA_SA_ ; -- Begin function _ZN2at6native12_GLOBAL__N_16kernel16gru_cell_forwardIN3c108BFloat16EfiLi2EEEvNS_4cuda6detail10TensorInfoIT_T1_EESB_SB_SB_SB_SB_SB_SA_SA_
	.p2align	8
	.type	_ZN2at6native12_GLOBAL__N_16kernel16gru_cell_forwardIN3c108BFloat16EfiLi2EEEvNS_4cuda6detail10TensorInfoIT_T1_EESB_SB_SB_SB_SB_SB_SA_SA_,@function
_ZN2at6native12_GLOBAL__N_16kernel16gru_cell_forwardIN3c108BFloat16EfiLi2EEEvNS_4cuda6detail10TensorInfoIT_T1_EESB_SB_SB_SB_SB_SB_SA_SA_: ; @_ZN2at6native12_GLOBAL__N_16kernel16gru_cell_forwardIN3c108BFloat16EfiLi2EEEvNS_4cuda6detail10TensorInfoIT_T1_EESB_SB_SB_SB_SB_SB_SA_SA_
; %bb.0:
	s_clause 0x1
	s_load_b32 s2, s[0:1], 0x5fc
	s_load_b64 s[4:5], s[0:1], 0x5e8
	s_mov_b32 s3, exec_lo
	s_wait_kmcnt 0x0
	s_and_b32 s2, s2, 0xffff
	s_delay_alu instid0(SALU_CYCLE_1) | instskip(NEXT) | instid1(VALU_DEP_1)
	v_mad_co_u64_u32 v[0:1], null, ttmp9, s2, v[0:1]
	v_cmpx_gt_i32_e64 s5, v0
	s_cbranch_execz .LBB45_9
; %bb.1:
	s_clause 0x1
	s_load_b64 s[6:7], s[0:1], 0x1b0
	s_load_b32 s3, s[0:1], 0xc
	s_add_nc_u64 s[16:17], s[0:1], 0x5f0
	s_clause 0x5
	s_load_b32 s30, s[0:1], 0xe4
	s_load_b64 s[8:9], s[0:1], 0x0
	s_load_b64 s[10:11], s[0:1], 0x6c
	;; [unrolled: 1-line block ×4, first 2 shown]
	s_load_b32 s31, s[0:1], 0x21c
	s_load_b32 s40, s[16:17], 0x0
	s_clause 0x7
	s_load_b64 s[16:17], s[0:1], 0x288
	s_load_b32 s33, s[0:1], 0x2f4
	s_load_b64 s[18:19], s[0:1], 0x360
	s_load_b32 s59, s[0:1], 0x36c
	s_load_b32 s60, s[0:1], 0x444
	s_load_b64 s[20:21], s[0:1], 0x3cc
	s_load_b64 s[22:23], s[0:1], 0x438
	;; [unrolled: 1-line block ×3, first 2 shown]
	s_mov_b32 s39, 0
	s_mov_b32 s61, 0xbbbac73d
	s_wait_kmcnt 0x0
	s_mul_i32 s40, s40, s2
	s_cmp_lg_u64 s[6:7], 0
	s_cselect_b32 s34, -1, 0
	s_abs_i32 s35, s4
	s_abs_i32 s36, s3
	s_cvt_f32_u32 s26, s35
	s_cvt_f32_u32 s27, s36
	s_abs_i32 s37, s30
	s_abs_i32 s43, s59
	v_rcp_iflag_f32_e32 v1, s26
	v_rcp_iflag_f32_e32 v2, s27
	s_clause 0x2
	s_load_b64 s[26:27], s[0:1], 0x510
	s_load_b32 s38, s[0:1], 0x51c
	s_load_b64 s[28:29], s[0:1], 0x57c
	s_cvt_f32_u32 s0, s37
	s_cvt_f32_u32 s45, s43
	s_sub_co_i32 s2, 0, s35
	s_sub_co_i32 s47, 0, s36
	s_wait_alu 0xfffe
	v_rcp_iflag_f32_e32 v3, s0
	s_abs_i32 s44, s60
	s_sub_co_i32 s50, 0, s43
	v_readfirstlane_b32 s0, v1
	v_readfirstlane_b32 s1, v2
	v_rcp_iflag_f32_e32 v1, s45
	s_ashr_i32 s41, s4, 31
	s_ashr_i32 s42, s3, 31
	s_mul_f32 s0, s0, 0x4f7ffffe
	s_mul_f32 s1, s1, 0x4f7ffffe
	v_readfirstlane_b32 s46, v3
	s_lshl_b32 s56, s4, 1
	s_wait_alu 0xfffe
	s_cvt_u32_f32 s0, s0
	s_cvt_u32_f32 s1, s1
	s_lshl_b32 s57, s4, 2
	s_mul_f32 s48, s46, 0x4f7ffffe
	s_wait_alu 0xfffe
	s_mul_i32 s2, s2, s0
	s_mul_i32 s47, s47, s1
	s_wait_alu 0xfffe
	s_mul_hi_u32 s2, s0, s2
	s_mul_hi_u32 s46, s1, s47
	s_wait_alu 0xfffe
	s_add_co_i32 s45, s0, s2
	s_cvt_f32_u32 s0, s44
	s_wait_kmcnt 0x0
	s_abs_i32 s47, s38
	s_add_co_i32 s46, s1, s46
	s_cvt_f32_u32 s2, s47
	v_readfirstlane_b32 s1, v1
	s_wait_alu 0xfffe
	v_rcp_iflag_f32_e32 v1, s0
	s_cvt_u32_f32 s0, s48
	v_rcp_iflag_f32_e32 v2, s2
	s_sub_co_i32 s48, 0, s37
	s_mul_f32 s1, s1, 0x4f7ffffe
	s_wait_alu 0xfffe
	s_mul_i32 s2, s48, s0
	s_sub_co_i32 s53, 0, s47
	s_wait_alu 0xfffe
	s_mul_hi_u32 s2, s0, s2
	s_cvt_u32_f32 s1, s1
	s_wait_alu 0xfffe
	s_add_co_i32 s49, s0, s2
	v_readfirstlane_b32 s51, v1
	s_ashr_i32 s48, s30, 31
	v_readfirstlane_b32 s0, v2
	s_mul_i32 s50, s50, s1
	s_sub_co_i32 s58, 0, s4
	s_mul_f32 s52, s51, 0x4f7ffffe
	s_mul_hi_u32 s2, s1, s50
	s_mul_f32 s0, s0, 0x4f7ffffe
	s_wait_alu 0xfffe
	s_add_co_i32 s51, s1, s2
	s_cvt_u32_f32 s1, s52
	s_sub_co_i32 s2, 0, s44
	s_cvt_u32_f32 s0, s0
	s_ashr_i32 s50, s59, 31
	s_wait_alu 0xfffe
	s_mul_i32 s2, s2, s1
	s_ashr_i32 s52, s60, 31
	s_wait_alu 0xfffe
	s_mul_hi_u32 s2, s1, s2
	s_mul_i32 s54, s53, s0
	s_wait_alu 0xfffe
	s_add_co_i32 s53, s1, s2
	s_mul_hi_u32 s1, s0, s54
	s_ashr_i32 s54, s38, 31
	s_wait_alu 0xfffe
	s_add_co_i32 s55, s0, s1
	s_sub_co_i32 s59, 0, s59
	s_sub_co_i32 s60, 0, s60
	s_branch .LBB45_3
.LBB45_2:                               ;   in Loop: Header=BB45_3 Depth=1
	s_wait_alu 0xfffe
	s_or_b32 exec_lo, exec_lo, s0
	v_lshlrev_b32_e32 v10, 16, v10
	v_lshlrev_b32_e32 v11, 16, v11
	v_bfi_b32 v13, 0x7fffffff, v14, v13
	v_bfe_u32 v15, v8, 16, 1
	v_mul_lo_u32 v7, s57, v7
	s_delay_alu instid0(VALU_DEP_4) | instskip(SKIP_3) | instid1(VALU_DEP_4)
	v_dual_add_f32 v10, v10, v11 :: v_dual_lshlrev_b32 v5, 2, v5
	v_mul_hi_u32 v11, v1, s53
	v_cmp_o_f32_e32 vcc_lo, v8, v8
	v_xor_b32_e32 v2, s52, v2
	v_add_f32_e32 v10, v10, v12
	s_wait_loadcnt 0x0
	s_delay_alu instid0(VALU_DEP_1) | instskip(SKIP_1) | instid1(VALU_DEP_2)
	v_dual_add_f32 v9, v9, v10 :: v_dual_lshlrev_b32 v14, 16, v3
	v_add3_u32 v10, v8, v15, 0x7fff
	v_sub_f32_e32 v12, v14, v13
	v_mul_lo_u32 v14, v11, s44
	s_delay_alu instid0(VALU_DEP_4) | instskip(NEXT) | instid1(VALU_DEP_4)
	v_mul_f32_e32 v15, 0xbfb8aa3b, v9
	v_lshrrev_b32_e32 v10, 16, v10
	s_delay_alu instid0(VALU_DEP_2)
	v_fma_f32 v19, 0xbfb8aa3b, v9, -v15
	v_lshlrev_b32_e32 v4, 2, v4
	v_rndne_f32_e32 v20, v15
	v_add_nc_u32_e32 v16, 1, v11
	v_sub_nc_u32_e32 v1, v1, v14
	v_fmac_f32_e32 v19, 0xb2a5705f, v9
	v_sub_nc_u32_e32 v4, v5, v4
	v_sub_f32_e32 v15, v15, v20
	s_wait_alu 0xfffd
	v_dual_cndmask_b32 v8, 0x7fc0, v10 :: v_dual_add_nc_u32 v5, v0, v7
	v_cmp_le_u32_e32 vcc_lo, s44, v1
	v_or_b32_e32 v17, 1, v4
	v_or_b32_e32 v18, 2, v4
	;; [unrolled: 1-line block ×3, first 2 shown]
	v_dual_add_f32 v15, v15, v19 :: v_dual_add_nc_u32 v4, 4, v4
	v_ashrrev_i32_e32 v5, 31, v5
	v_mul_lo_u32 v10, s4, v17
	v_mul_lo_u32 v17, s4, v18
	s_delay_alu instid0(VALU_DEP_4)
	v_mul_lo_u32 v14, s4, v4
	v_exp_f32_e32 v15, v15
	v_mul_lo_u32 v18, s4, v21
	s_wait_alu 0xfffd
	v_cndmask_b32_e32 v11, v11, v16, vcc_lo
	v_subrev_nc_u32_e32 v16, s44, v1
	v_cvt_i32_f32_e32 v20, v20
	v_add3_u32 v19, v5, v7, v0
	v_xor_b32_e32 v4, s54, v5
	v_add_nc_u32_e32 v21, v0, v17
	v_cndmask_b32_e32 v1, v1, v16, vcc_lo
	v_cmp_nlt_f32_e32 vcc_lo, 0x42ce8ed0, v9
	v_ldexp_f32 v15, v15, v20
	v_add_nc_u32_e32 v20, v0, v14
	v_xor_b32_e32 v5, v19, v5
	v_add_nc_u32_e32 v22, v0, v18
	v_add_nc_u32_e32 v19, v0, v10
	s_wait_alu 0xfffd
	v_cndmask_b32_e32 v15, 0, v15, vcc_lo
	v_cmp_ngt_f32_e32 vcc_lo, 0xc2b17218, v9
	v_mul_hi_u32 v23, v5, s55
	v_ashrrev_i32_e32 v21, 31, v21
	v_ashrrev_i32_e32 v19, 31, v19
	v_ashrrev_i32_e32 v20, 31, v20
	s_wait_alu 0xfffd
	v_cndmask_b32_e32 v9, 0x7f800000, v15, vcc_lo
	v_add_nc_u32_e32 v16, 1, v11
	v_cmp_le_u32_e32 vcc_lo, s44, v1
	v_ashrrev_i32_e32 v15, 31, v22
	v_add3_u32 v22, v19, v10, v0
	v_add_f32_e32 v9, 1.0, v9
	v_add3_u32 v25, v21, v17, v0
	s_wait_alu 0xfffd
	v_dual_cndmask_b32 v1, v11, v16 :: v_dual_add_nc_u32 v28, 1, v23
	v_mul_lo_u32 v11, v23, s47
	v_div_scale_f32 v24, null, v9, v9, 1.0
	v_xor_b32_e32 v16, s54, v19
	v_xor_b32_e32 v19, v22, v19
	;; [unrolled: 1-line block ×4, first 2 shown]
	v_add3_u32 v26, v15, v18, v0
	v_sub_nc_u32_e32 v5, v5, v11
	v_rcp_f32_e32 v11, v24
	v_mul_hi_u32 v31, v22, s55
	v_add3_u32 v27, v20, v14, v0
	v_xor_b32_e32 v26, v26, v15
	v_subrev_nc_u32_e32 v25, s47, v5
	v_cmp_le_u32_e32 vcc_lo, s47, v5
	v_xor_b32_e32 v21, s54, v21
	v_xor_b32_e32 v27, v27, v20
	v_mul_hi_u32 v32, v26, s55
	v_xor_b32_e32 v15, s54, v15
	s_wait_alu 0xfffd
	v_cndmask_b32_e32 v23, v23, v28, vcc_lo
	v_fma_f32 v29, -v24, v11, 1.0
	v_cndmask_b32_e32 v5, v5, v25, vcc_lo
	v_div_scale_f32 v30, vcc_lo, 1.0, v9, 1.0
	s_delay_alu instid0(VALU_DEP_4) | instskip(NEXT) | instid1(VALU_DEP_4)
	v_add_nc_u32_e32 v25, 1, v23
	v_fmac_f32_e32 v11, v29, v11
	s_delay_alu instid0(VALU_DEP_4)
	v_cmp_le_u32_e64 s0, s47, v5
	v_mul_hi_u32 v28, v19, s55
	v_sub_nc_u32_e32 v29, v1, v2
	v_mul_hi_u32 v33, v27, s55
	s_wait_alu 0xf1ff
	v_cndmask_b32_e64 v5, v23, v25, s0
	v_mul_f32_e32 v23, v30, v11
	v_mad_co_u64_u32 v[1:2], null, s60, v29, v[0:1]
	v_mul_lo_u32 v2, v28, s47
	s_delay_alu instid0(VALU_DEP_4) | instskip(NEXT) | instid1(VALU_DEP_4)
	v_xor_b32_e32 v5, v5, v4
	v_fma_f32 v25, -v24, v23, v30
	s_delay_alu instid0(VALU_DEP_2) | instskip(NEXT) | instid1(VALU_DEP_2)
	v_sub_nc_u32_e32 v5, v5, v4
	v_fmac_f32_e32 v23, v25, v11
	v_sub_nc_u32_e32 v4, v19, v2
	v_mul_lo_u32 v1, v1, s25
	v_add_nc_u32_e32 v2, 1, v28
	v_mul_lo_u32 v19, v5, s38
	v_fma_f32 v24, -v24, v23, v30
	v_cmp_le_u32_e64 s0, s47, v4
	s_wait_alu 0xfffd
	s_delay_alu instid0(VALU_DEP_2)
	v_div_fmas_f32 v11, v24, v11, v23
	v_subrev_nc_u32_e32 v23, s47, v4
	s_wait_alu 0xf1ff
	v_cndmask_b32_e64 v25, v28, v2, s0
	v_mad_co_u64_u32 v[1:2], null, v29, s24, v[1:2]
	v_sub_nc_u32_e32 v2, v7, v19
	v_div_fixup_f32 v7, v11, v9, 1.0
	v_mul_lo_u32 v11, v31, s47
	v_cndmask_b32_e64 v4, v4, v23, s0
	v_add_nc_u32_e32 v23, 1, v31
	v_add_nc_u32_e32 v19, v0, v2
	v_fma_f32 v12, v7, v12, v13
	v_ashrrev_i32_e32 v2, 31, v1
	v_cmp_le_u32_e32 vcc_lo, s47, v4
	v_sub_nc_u32_e32 v11, v22, v11
	v_add_nc_u32_e32 v9, 1, v25
	v_bfe_u32 v24, v12, 16, 1
	v_mul_lo_u32 v4, v19, s29
	v_lshlrev_b64_e32 v[1:2], 1, v[1:2]
	v_mul_lo_u32 v19, v32, s47
	s_wait_alu 0xfffd
	v_cndmask_b32_e32 v9, v25, v9, vcc_lo
	v_add3_u32 v22, v12, v24, 0x7fff
	s_delay_alu instid0(VALU_DEP_4) | instskip(NEXT) | instid1(VALU_DEP_3)
	v_add_co_u32 v1, vcc_lo, s22, v1
	v_xor_b32_e32 v9, v9, v16
	v_mad_co_u64_u32 v[4:5], null, v5, s28, v[4:5]
	s_delay_alu instid0(VALU_DEP_4)
	v_lshrrev_b32_e32 v5, 16, v22
	s_wait_alu 0xfffd
	v_add_co_ci_u32_e64 v2, null, s23, v2, vcc_lo
	v_cmp_o_f32_e32 vcc_lo, v12, v12
	v_sub_nc_u32_e32 v9, v9, v16
	s_wait_alu 0xfffd
	v_cndmask_b32_e32 v12, 0x7fc0, v5, vcc_lo
	v_cmp_le_u32_e32 vcc_lo, s47, v11
	s_delay_alu instid0(VALU_DEP_3)
	v_mul_lo_u32 v16, v9, s38
	v_ashrrev_i32_e32 v5, 31, v4
	global_store_b16 v[1:2], v12, off
	s_wait_alu 0xfffd
	v_cndmask_b32_e32 v22, v31, v23, vcc_lo
	v_subrev_nc_u32_e32 v23, s47, v11
	v_sub_nc_u32_e32 v1, v26, v19
	v_mul_lo_u32 v19, v33, s47
	v_sub_nc_u32_e32 v2, v10, v16
	v_add_nc_u32_e32 v12, 1, v22
	v_cndmask_b32_e32 v10, v11, v23, vcc_lo
	v_subrev_nc_u32_e32 v16, s47, v1
	v_cmp_le_u32_e32 vcc_lo, s47, v1
	s_delay_alu instid0(VALU_DEP_3) | instskip(SKIP_1) | instid1(VALU_DEP_3)
	v_cmp_le_u32_e64 s0, s47, v10
	s_wait_alu 0xfffd
	v_cndmask_b32_e32 v1, v1, v16, vcc_lo
	v_sub_nc_u32_e32 v16, v27, v19
	v_add_nc_u32_e32 v19, 1, v33
	v_add_nc_u32_e32 v11, 1, v32
	s_wait_alu 0xf1ff
	v_cndmask_b32_e64 v10, v22, v12, s0
	s_delay_alu instid0(VALU_DEP_2) | instskip(SKIP_1) | instid1(VALU_DEP_3)
	v_cndmask_b32_e32 v11, v32, v11, vcc_lo
	v_cmp_le_u32_e32 vcc_lo, s47, v1
	v_xor_b32_e32 v10, v10, v21
	s_delay_alu instid0(VALU_DEP_3) | instskip(NEXT) | instid1(VALU_DEP_2)
	v_add_nc_u32_e32 v12, 1, v11
	v_sub_nc_u32_e32 v10, v10, v21
	s_wait_alu 0xfffd
	s_delay_alu instid0(VALU_DEP_2) | instskip(SKIP_2) | instid1(VALU_DEP_3)
	v_cndmask_b32_e32 v1, v11, v12, vcc_lo
	v_subrev_nc_u32_e32 v11, s47, v16
	v_cmp_le_u32_e32 vcc_lo, s47, v16
	v_xor_b32_e32 v1, v1, v15
	s_wait_alu 0xfffd
	v_dual_cndmask_b32 v12, v33, v19 :: v_dual_add_nc_u32 v19, v0, v2
	v_cndmask_b32_e32 v2, v16, v11, vcc_lo
	s_delay_alu instid0(VALU_DEP_3) | instskip(SKIP_1) | instid1(VALU_DEP_4)
	v_sub_nc_u32_e32 v15, v1, v15
	v_xor_b32_e32 v16, s54, v20
	v_add_nc_u32_e32 v11, 1, v12
	v_bfe_u32 v20, v7, 16, 1
	v_cmp_le_u32_e32 vcc_lo, s47, v2
	v_lshlrev_b64_e32 v[1:2], 1, v[4:5]
	v_mul_lo_u32 v4, v19, s29
	v_mul_lo_u32 v19, v15, s38
	s_wait_alu 0xfffd
	v_cndmask_b32_e32 v11, v12, v11, vcc_lo
	v_mul_lo_u32 v12, v10, s38
	v_add_co_u32 v1, vcc_lo, s26, v1
	s_wait_alu 0xfffd
	v_add_co_ci_u32_e64 v2, null, s27, v2, vcc_lo
	v_xor_b32_e32 v11, v11, v16
	v_mad_co_u64_u32 v[4:5], null, v9, s28, v[4:5]
	v_sub_nc_u32_e32 v5, v17, v12
	global_store_b16 v[1:2], v8, off
	v_sub_nc_u32_e32 v9, v11, v16
	v_sub_nc_u32_e32 v11, v18, v19
	v_add3_u32 v12, v7, v20, 0x7fff
	v_add_nc_u32_e32 v1, v0, v5
	v_cmp_o_f32_e32 vcc_lo, v7, v7
	v_mul_lo_u32 v8, v9, s38
	v_add_nc_u32_e32 v2, v0, v11
	v_ashrrev_i32_e32 v5, 31, v4
	v_mul_lo_u32 v1, v1, s29
	v_lshrrev_b32_e32 v11, 16, v12
	v_bfe_u32 v12, v13, 16, 1
	v_mul_lo_u32 v2, v2, s29
	v_lshlrev_b64_e32 v[4:5], 1, v[4:5]
	v_sub_nc_u32_e32 v8, v14, v8
	s_wait_alu 0xfffd
	v_cndmask_b32_e32 v11, 0x7fc0, v11, vcc_lo
	v_add3_u32 v12, v13, v12, 0x7fff
	s_delay_alu instid0(VALU_DEP_3) | instskip(SKIP_2) | instid1(VALU_DEP_3)
	v_add_nc_u32_e32 v14, v0, v8
	v_mad_co_u64_u32 v[7:8], null, v10, s28, v[1:2]
	v_mad_co_u64_u32 v[1:2], null, v15, s28, v[2:3]
	v_mul_lo_u32 v2, v14, s29
	v_add_co_u32 v4, vcc_lo, s26, v4
	s_wait_alu 0xfffd
	v_add_co_ci_u32_e64 v5, null, s27, v5, vcc_lo
	v_ashrrev_i32_e32 v8, 31, v7
	v_lshrrev_b32_e32 v12, 16, v12
	v_cmp_o_f32_e32 vcc_lo, v13, v13
	v_mad_co_u64_u32 v[9:10], null, v9, s28, v[2:3]
	v_ashrrev_i32_e32 v2, 31, v1
	v_bfe_u32 v10, v6, 16, 1
	v_lshlrev_b64_e32 v[7:8], 1, v[7:8]
	s_wait_alu 0xfffd
	v_cndmask_b32_e32 v12, 0x7fc0, v12, vcc_lo
	v_add_nc_u32_e32 v0, s40, v0
	v_lshlrev_b64_e32 v[1:2], 1, v[1:2]
	v_add3_u32 v13, v6, v10, 0x7fff
	v_ashrrev_i32_e32 v10, 31, v9
	v_add_co_u32 v7, vcc_lo, s26, v7
	s_wait_alu 0xfffd
	v_add_co_ci_u32_e64 v8, null, s27, v8, vcc_lo
	v_add_co_u32 v1, vcc_lo, s26, v1
	v_lshrrev_b32_e32 v13, 16, v13
	v_lshlrev_b64_e32 v[9:10], 1, v[9:10]
	s_wait_alu 0xfffd
	v_add_co_ci_u32_e64 v2, null, s27, v2, vcc_lo
	v_cmp_o_f32_e32 vcc_lo, v6, v6
	s_clause 0x1
	global_store_b16 v[4:5], v11, off
	global_store_b16 v[7:8], v12, off
	v_add_co_u32 v9, s0, s26, v9
	s_wait_alu 0xfffd
	v_cndmask_b32_e32 v6, 0x7fc0, v13, vcc_lo
	v_cmp_le_i32_e32 vcc_lo, s5, v0
	s_wait_alu 0xf1ff
	v_add_co_ci_u32_e64 v10, null, s27, v10, s0
	s_clause 0x1
	global_store_b16 v[1:2], v3, off
	global_store_b16 v[9:10], v6, off
	s_or_b32 s39, vcc_lo, s39
	s_wait_alu 0xfffe
	s_and_not1_b32 exec_lo, exec_lo, s39
	s_cbranch_execz .LBB45_9
.LBB45_3:                               ; =>This Inner Loop Header: Depth=1
	v_sub_nc_u32_e32 v1, 0, v0
	s_delay_alu instid0(VALU_DEP_1) | instskip(NEXT) | instid1(VALU_DEP_1)
	v_max_i32_e32 v1, v0, v1
	v_mul_hi_u32 v2, v1, s45
	v_mul_hi_u32 v8, v1, s51
	s_delay_alu instid0(VALU_DEP_2) | instskip(NEXT) | instid1(VALU_DEP_2)
	v_mul_lo_u32 v3, v2, s35
	v_add_nc_u32_e32 v10, 1, v8
	s_delay_alu instid0(VALU_DEP_2) | instskip(NEXT) | instid1(VALU_DEP_1)
	v_sub_nc_u32_e32 v3, v1, v3
	v_subrev_nc_u32_e32 v5, s35, v3
	v_cmp_le_u32_e32 vcc_lo, s35, v3
	s_wait_alu 0xfffd
	s_delay_alu instid0(VALU_DEP_2) | instskip(NEXT) | instid1(VALU_DEP_1)
	v_dual_cndmask_b32 v3, v3, v5 :: v_dual_add_nc_u32 v4, 1, v2
	v_cndmask_b32_e32 v6, v2, v4, vcc_lo
	v_ashrrev_i32_e32 v2, 31, v0
	s_delay_alu instid0(VALU_DEP_3) | instskip(NEXT) | instid1(VALU_DEP_3)
	v_cmp_le_u32_e32 vcc_lo, s35, v3
	v_add_nc_u32_e32 v5, 1, v6
	s_delay_alu instid0(VALU_DEP_3) | instskip(SKIP_2) | instid1(VALU_DEP_3)
	v_xor_b32_e32 v4, s41, v2
	v_xor_b32_e32 v13, s50, v2
	s_wait_alu 0xfffd
	v_cndmask_b32_e32 v3, v6, v5, vcc_lo
	v_mul_lo_u32 v6, v8, s43
	s_delay_alu instid0(VALU_DEP_2) | instskip(NEXT) | instid1(VALU_DEP_2)
	v_xor_b32_e32 v5, v3, v4
	v_sub_nc_u32_e32 v6, v1, v6
	s_delay_alu instid0(VALU_DEP_2) | instskip(SKIP_1) | instid1(VALU_DEP_3)
	v_sub_nc_u32_e32 v7, v5, v4
	v_lshlrev_b32_e32 v9, 1, v5
	v_cmp_le_u32_e32 vcc_lo, s43, v6
	s_delay_alu instid0(VALU_DEP_3) | instskip(SKIP_4) | instid1(VALU_DEP_3)
	v_mul_lo_u32 v12, s56, v7
	v_lshlrev_b32_e32 v3, 1, v4
	v_subrev_nc_u32_e32 v11, s43, v6
	s_wait_alu 0xfffd
	v_cndmask_b32_e32 v8, v8, v10, vcc_lo
	v_sub_nc_u32_e32 v3, v9, v3
	s_delay_alu instid0(VALU_DEP_3) | instskip(SKIP_1) | instid1(VALU_DEP_4)
	v_cndmask_b32_e32 v6, v6, v11, vcc_lo
	v_add_nc_u32_e32 v10, v0, v12
	v_add_nc_u32_e32 v11, 1, v8
	s_delay_alu instid0(VALU_DEP_4) | instskip(NEXT) | instid1(VALU_DEP_4)
	v_or_b32_e32 v9, 1, v3
	v_cmp_le_u32_e32 vcc_lo, s43, v6
	s_delay_alu instid0(VALU_DEP_4) | instskip(NEXT) | instid1(VALU_DEP_3)
	v_ashrrev_i32_e32 v10, 31, v10
	v_mul_lo_u32 v9, s4, v9
	s_delay_alu instid0(VALU_DEP_2) | instskip(SKIP_1) | instid1(VALU_DEP_2)
	v_add3_u32 v6, v10, v12, v0
	v_xor_b32_e32 v15, s42, v10
	v_xor_b32_e32 v6, v6, v10
	;; [unrolled: 1-line block ×3, first 2 shown]
	s_delay_alu instid0(VALU_DEP_2) | instskip(SKIP_1) | instid1(VALU_DEP_2)
	v_mul_hi_u32 v16, v6, s46
	v_mul_hi_u32 v19, v6, s49
	v_add_nc_u32_e32 v25, 1, v16
	v_add_nc_u32_e32 v3, 2, v3
	s_delay_alu instid0(VALU_DEP_3) | instskip(NEXT) | instid1(VALU_DEP_2)
	v_mul_lo_u32 v23, v19, s37
	v_mul_lo_u32 v14, s4, v3
	s_wait_alu 0xfffd
	v_cndmask_b32_e32 v3, v8, v11, vcc_lo
	v_add_nc_u32_e32 v8, v0, v9
	s_delay_alu instid0(VALU_DEP_1) | instskip(NEXT) | instid1(VALU_DEP_4)
	v_ashrrev_i32_e32 v8, 31, v8
	v_add_nc_u32_e32 v11, v0, v14
	s_delay_alu instid0(VALU_DEP_2) | instskip(NEXT) | instid1(VALU_DEP_2)
	v_add3_u32 v18, v8, v9, v0
	v_ashrrev_i32_e32 v11, 31, v11
	v_xor_b32_e32 v17, s42, v8
	v_xor_b32_e32 v22, s48, v8
	s_delay_alu instid0(VALU_DEP_4) | instskip(NEXT) | instid1(VALU_DEP_4)
	v_xor_b32_e32 v8, v18, v8
	v_add3_u32 v20, v11, v14, v0
	v_xor_b32_e32 v21, s42, v11
	v_xor_b32_e32 v18, s48, v11
	s_delay_alu instid0(VALU_DEP_4) | instskip(NEXT) | instid1(VALU_DEP_4)
	v_mul_hi_u32 v24, v8, s46
	v_xor_b32_e32 v11, v20, v11
	v_mul_lo_u32 v20, v16, s36
	v_mul_hi_u32 v28, v8, s49
	s_delay_alu instid0(VALU_DEP_3)
	v_mul_hi_u32 v26, v11, s46
	v_mul_hi_u32 v29, v11, s49
	v_add_nc_u32_e32 v30, 1, v24
	v_add_nc_u32_e32 v27, 1, v19
	v_sub_nc_u32_e32 v20, v6, v20
	v_sub_nc_u32_e32 v6, v6, v23
	v_mul_lo_u32 v23, v24, s36
	v_mul_lo_u32 v33, v28, s37
	;; [unrolled: 1-line block ×3, first 2 shown]
	v_cmp_le_u32_e32 vcc_lo, s36, v20
	v_subrev_nc_u32_e32 v37, s36, v20
	v_cmp_le_u32_e64 s0, s37, v6
	v_add_nc_u32_e32 v32, 1, v26
	v_mul_lo_u32 v35, v29, s37
	s_wait_alu 0xfffd
	v_cndmask_b32_e32 v16, v16, v25, vcc_lo
	v_subrev_nc_u32_e32 v25, s37, v6
	v_sub_nc_u32_e32 v31, v11, v31
	s_wait_alu 0xf1ff
	v_cndmask_b32_e64 v19, v19, v27, s0
	v_cndmask_b32_e32 v20, v20, v37, vcc_lo
	v_sub_nc_u32_e32 v23, v8, v23
	v_cndmask_b32_e64 v6, v6, v25, s0
	v_cmp_le_u32_e64 s0, s36, v31
	v_sub_nc_u32_e32 v8, v8, v33
	v_cmp_le_u32_e32 vcc_lo, s36, v20
	v_sub_nc_u32_e32 v11, v11, v35
	v_cmp_le_u32_e64 s1, s37, v6
	s_wait_alu 0xf1ff
	v_cndmask_b32_e64 v26, v26, v32, s0
	v_add_nc_u32_e32 v27, 1, v16
	v_add_nc_u32_e32 v34, 1, v28
	;; [unrolled: 1-line block ×3, first 2 shown]
	v_cmp_le_u32_e64 s2, s37, v11
	v_xor_b32_e32 v3, v3, v13
	s_wait_alu 0xfffd
	v_cndmask_b32_e32 v16, v16, v27, vcc_lo
	v_cmp_le_u32_e32 vcc_lo, s36, v23
	v_subrev_nc_u32_e32 v27, s36, v31
	s_delay_alu instid0(VALU_DEP_3)
	v_xor_b32_e32 v16, v16, v15
	s_wait_alu 0xfffd
	v_cndmask_b32_e32 v20, v24, v30, vcc_lo
	v_subrev_nc_u32_e32 v24, s36, v23
	v_cndmask_b32_e64 v27, v31, v27, s0
	v_add_nc_u32_e32 v30, 1, v26
	v_sub_nc_u32_e32 v15, v16, v15
	s_delay_alu instid0(VALU_DEP_4) | instskip(SKIP_1) | instid1(VALU_DEP_2)
	v_cndmask_b32_e32 v23, v23, v24, vcc_lo
	v_add_nc_u32_e32 v24, 1, v20
	v_cmp_le_u32_e32 vcc_lo, s36, v23
	s_wait_alu 0xfffd
	s_delay_alu instid0(VALU_DEP_2) | instskip(NEXT) | instid1(VALU_DEP_1)
	v_dual_cndmask_b32 v16, v20, v24 :: v_dual_add_nc_u32 v25, 1, v19
	v_cndmask_b32_e64 v6, v19, v25, s1
	v_cmp_le_u32_e64 s1, s37, v8
	v_subrev_nc_u32_e32 v25, s37, v8
	v_cmp_le_u32_e32 vcc_lo, s36, v27
	v_sub_nc_u32_e32 v24, v3, v13
	v_xor_b32_e32 v6, v6, v10
	s_wait_alu 0xf1ff
	v_cndmask_b32_e64 v19, v28, v34, s1
	v_cndmask_b32_e64 v28, v29, v36, s2
	v_subrev_nc_u32_e32 v29, s37, v11
	v_cndmask_b32_e64 v8, v8, v25, s1
	s_wait_alu 0xfffd
	v_cndmask_b32_e32 v20, v26, v30, vcc_lo
	v_sub_nc_u32_e32 v23, v6, v10
	v_xor_b32_e32 v10, v16, v17
	v_cndmask_b32_e64 v11, v11, v29, s2
	v_add_nc_u32_e32 v29, 1, v28
	v_add_nc_u32_e32 v25, 1, v19
	v_cmp_le_u32_e32 vcc_lo, s37, v8
	v_sub_nc_u32_e32 v17, v10, v17
	v_xor_b32_e32 v16, v20, v21
	s_wait_alu 0xfffd
	v_cndmask_b32_e32 v6, v19, v25, vcc_lo
	v_cmp_le_u32_e32 vcc_lo, s37, v11
	v_mul_lo_u32 v11, v15, s3
	v_mul_lo_u32 v19, v23, s30
	;; [unrolled: 1-line block ×3, first 2 shown]
	v_xor_b32_e32 v6, v6, v22
	s_wait_alu 0xfffd
	v_cndmask_b32_e32 v8, v28, v29, vcc_lo
	v_sub_nc_u32_e32 v16, v16, v21
	s_delay_alu instid0(VALU_DEP_3) | instskip(NEXT) | instid1(VALU_DEP_3)
	v_sub_nc_u32_e32 v20, v6, v22
	v_xor_b32_e32 v8, v8, v18
	v_sub_nc_u32_e32 v6, v12, v11
	s_delay_alu instid0(VALU_DEP_4) | instskip(SKIP_1) | instid1(VALU_DEP_4)
	v_mul_lo_u32 v11, v16, s3
	v_sub_nc_u32_e32 v10, v9, v10
	v_sub_nc_u32_e32 v22, v8, v18
	v_sub_nc_u32_e32 v8, v12, v19
	v_mul_lo_u32 v12, v20, s30
	v_add_nc_u32_e32 v6, v0, v6
	v_add_nc_u32_e32 v10, v0, v10
	v_mul_lo_u32 v13, v22, s30
	v_add_nc_u32_e32 v8, v0, v8
	v_sub_nc_u32_e32 v11, v14, v11
	v_mul_lo_u32 v3, v6, s11
	v_sub_nc_u32_e32 v9, v9, v12
	s_delay_alu instid0(VALU_DEP_4)
	v_mul_lo_u32 v6, v8, s15
	v_mul_lo_u32 v8, v10, s11
	v_sub_nc_u32_e32 v12, v14, v13
	v_add_nc_u32_e32 v11, v0, v11
	v_add_nc_u32_e32 v13, v0, v9
	v_mad_co_u64_u32 v[9:10], null, v15, s10, v[3:4]
	s_delay_alu instid0(VALU_DEP_4) | instskip(NEXT) | instid1(VALU_DEP_4)
	v_add_nc_u32_e32 v19, v0, v12
	v_mul_lo_u32 v3, v11, s11
	v_mad_co_u64_u32 v[11:12], null, v23, s14, v[6:7]
	v_mul_lo_u32 v6, v13, s15
	v_mad_co_u64_u32 v[13:14], null, v17, s10, v[8:9]
	v_ashrrev_i32_e32 v10, 31, v9
	v_mad_co_u64_u32 v[17:18], null, s59, v24, v[0:1]
	v_mad_co_u64_u32 v[15:16], null, v16, s10, v[3:4]
	s_delay_alu instid0(VALU_DEP_3) | instskip(SKIP_4) | instid1(VALU_DEP_4)
	v_lshlrev_b64_e32 v[8:9], 1, v[9:10]
	v_ashrrev_i32_e32 v14, 31, v13
	v_mul_lo_u32 v3, v19, s15
	v_mad_co_u64_u32 v[18:19], null, v20, s14, v[6:7]
	v_mul_lo_u32 v6, v17, s21
	v_lshlrev_b64_e32 v[13:14], 1, v[13:14]
	v_add_co_u32 v8, vcc_lo, s8, v8
	v_ashrrev_i32_e32 v16, 31, v15
	s_wait_alu 0xfffd
	v_add_co_ci_u32_e64 v9, null, s9, v9, vcc_lo
	s_delay_alu instid0(VALU_DEP_4)
	v_add_co_u32 v20, vcc_lo, s8, v13
	v_ashrrev_i32_e32 v12, 31, v11
	s_wait_alu 0xfffd
	v_add_co_ci_u32_e64 v21, null, s9, v14, vcc_lo
	v_mad_co_u64_u32 v[13:14], null, v22, s14, v[3:4]
	v_mad_co_u64_u32 v[22:23], null, v24, s20, v[6:7]
	v_lshlrev_b64_e32 v[15:16], 1, v[15:16]
	v_lshlrev_b64_e32 v[10:11], 1, v[11:12]
	v_ashrrev_i32_e32 v19, 31, v18
	v_ashrrev_i32_e32 v14, 31, v13
	s_delay_alu instid0(VALU_DEP_4)
	v_add_co_u32 v15, vcc_lo, s8, v15
	v_ashrrev_i32_e32 v23, 31, v22
	s_wait_alu 0xfffd
	v_add_co_ci_u32_e64 v16, null, s9, v16, vcc_lo
	v_lshlrev_b64_e32 v[17:18], 1, v[18:19]
	v_add_co_u32 v24, vcc_lo, s12, v10
	s_wait_alu 0xfffd
	v_add_co_ci_u32_e64 v25, null, s13, v11, vcc_lo
	v_lshlrev_b64_e32 v[10:11], 1, v[13:14]
	v_lshlrev_b64_e32 v[12:13], 1, v[22:23]
	v_add_co_u32 v17, vcc_lo, s12, v17
	s_wait_alu 0xfffd
	v_add_co_ci_u32_e64 v18, null, s13, v18, vcc_lo
	s_delay_alu instid0(VALU_DEP_4)
	v_add_co_u32 v22, vcc_lo, s12, v10
	s_wait_alu 0xfffd
	v_add_co_ci_u32_e64 v23, null, s13, v11, vcc_lo
	v_add_co_u32 v26, vcc_lo, s18, v12
	s_wait_alu 0xfffd
	v_add_co_ci_u32_e64 v27, null, s19, v13, vcc_lo
	s_clause 0x2
	global_load_u16 v13, v[8:9], off
	global_load_u16 v10, v[20:21], off
	;; [unrolled: 1-line block ×3, first 2 shown]
	s_clause 0x2
	global_load_u16 v14, v[24:25], off
	global_load_u16 v11, v[17:18], off
	global_load_u16 v6, v[22:23], off
	global_load_u16 v3, v[26:27], off
	v_mov_b32_e32 v15, 0
	v_mov_b32_e32 v9, 0
	v_dual_mov_b32 v17, 0 :: v_dual_mov_b32 v16, 0
	v_mov_b32_e32 v12, 0
	v_mov_b32_e32 v18, 0
	s_and_not1_b32 vcc_lo, exec_lo, s34
	s_wait_alu 0xfffe
	s_cbranch_vccnz .LBB45_5
; %bb.4:                                ;   in Loop: Header=BB45_3 Depth=1
	v_sub_nc_u32_e32 v9, v4, v5
	v_mad_co_u64_u32 v[15:16], null, s58, v7, v[0:1]
	s_delay_alu instid0(VALU_DEP_2) | instskip(SKIP_1) | instid1(VALU_DEP_3)
	v_mul_lo_u32 v12, s4, v9
	v_add_nc_u32_e32 v9, 2, v9
	v_mul_lo_u32 v16, v15, s31
	v_mul_lo_u32 v18, v15, s33
	s_delay_alu instid0(VALU_DEP_3) | instskip(SKIP_1) | instid1(VALU_DEP_4)
	v_mad_co_u64_u32 v[20:21], null, s4, v9, v[0:1]
	v_add3_u32 v9, v12, s4, v0
	v_ashrrev_i32_e32 v17, 31, v16
	s_delay_alu instid0(VALU_DEP_2) | instskip(NEXT) | instid1(VALU_DEP_4)
	v_mul_lo_u32 v15, v9, s31
	v_mul_lo_u32 v21, v20, s31
	;; [unrolled: 1-line block ×4, first 2 shown]
	v_lshlrev_b64_e32 v[27:28], 1, v[16:17]
	v_ashrrev_i32_e32 v19, 31, v18
	v_ashrrev_i32_e32 v16, 31, v15
	;; [unrolled: 1-line block ×5, first 2 shown]
	v_lshlrev_b64_e32 v[17:18], 1, v[18:19]
	v_lshlrev_b64_e32 v[15:16], 1, v[15:16]
	;; [unrolled: 1-line block ×3, first 2 shown]
	v_add_co_u32 v19, vcc_lo, s6, v27
	s_wait_alu 0xfffd
	v_add_co_ci_u32_e64 v20, null, s7, v28, vcc_lo
	v_lshlrev_b64_e32 v[23:24], 1, v[23:24]
	v_add_co_u32 v15, vcc_lo, s6, v15
	s_wait_alu 0xfffd
	v_add_co_ci_u32_e64 v16, null, s7, v16, vcc_lo
	v_add_co_u32 v21, vcc_lo, s6, v21
	v_lshlrev_b64_e32 v[25:26], 1, v[25:26]
	s_wait_alu 0xfffd
	v_add_co_ci_u32_e64 v22, null, s7, v22, vcc_lo
	v_add_co_u32 v17, vcc_lo, s16, v17
	s_wait_alu 0xfffd
	v_add_co_ci_u32_e64 v18, null, s17, v18, vcc_lo
	v_add_co_u32 v23, vcc_lo, s16, v23
	;; [unrolled: 3-line block ×3, first 2 shown]
	s_wait_alu 0xfffd
	v_add_co_ci_u32_e64 v26, null, s17, v26, vcc_lo
	global_load_u16 v9, v[19:20], off
	global_load_u16 v12, v[17:18], off
	s_clause 0x1
	global_load_u16 v15, v[15:16], off
	global_load_u16 v16, v[21:22], off
	s_clause 0x1
	global_load_u16 v19, v[25:26], off
	global_load_u16 v20, v[23:24], off
	s_wait_loadcnt 0x5
	v_lshlrev_b32_e32 v18, 16, v9
	s_wait_loadcnt 0x4
	v_lshlrev_b32_e32 v17, 16, v12
	;; [unrolled: 2-line block ×6, first 2 shown]
.LBB45_5:                               ;   in Loop: Header=BB45_3 Depth=1
	s_wait_loadcnt 0x6
	v_lshlrev_b32_e32 v13, 16, v13
	s_wait_loadcnt 0x3
	v_lshlrev_b32_e32 v14, 16, v14
	v_lshlrev_b32_e32 v8, 16, v8
	s_wait_loadcnt 0x1
	v_lshlrev_b32_e32 v6, 16, v6
	s_delay_alu instid0(VALU_DEP_3) | instskip(NEXT) | instid1(VALU_DEP_2)
	v_add_f32_e32 v13, v13, v14
	v_add_f32_e32 v6, v15, v6
	s_delay_alu instid0(VALU_DEP_2) | instskip(NEXT) | instid1(VALU_DEP_1)
	v_add_f32_e32 v13, v13, v18
	v_add_f32_e32 v13, v17, v13
	s_delay_alu instid0(VALU_DEP_1) | instskip(SKIP_1) | instid1(VALU_DEP_2)
	v_mul_f32_e32 v14, 0xbfb8aa3b, v13
	v_cmp_nlt_f32_e32 vcc_lo, 0x42ce8ed0, v13
	v_fma_f32 v17, 0xbfb8aa3b, v13, -v14
	v_rndne_f32_e32 v18, v14
	s_delay_alu instid0(VALU_DEP_1) | instskip(NEXT) | instid1(VALU_DEP_1)
	v_dual_fmac_f32 v17, 0xb2a5705f, v13 :: v_dual_sub_f32 v14, v14, v18
	v_add_f32_e32 v14, v14, v17
	v_cvt_i32_f32_e32 v17, v18
	s_delay_alu instid0(VALU_DEP_2) | instskip(NEXT) | instid1(TRANS32_DEP_1)
	v_exp_f32_e32 v14, v14
	v_ldexp_f32 v14, v14, v17
	s_wait_alu 0xfffd
	s_delay_alu instid0(VALU_DEP_1) | instskip(SKIP_2) | instid1(VALU_DEP_2)
	v_cndmask_b32_e32 v14, 0, v14, vcc_lo
	v_cmp_ngt_f32_e32 vcc_lo, 0xc2b17218, v13
	s_wait_alu 0xfffd
	v_cndmask_b32_e32 v13, 0x7f800000, v14, vcc_lo
	s_delay_alu instid0(VALU_DEP_1) | instskip(NEXT) | instid1(VALU_DEP_1)
	v_add_f32_e32 v14, 1.0, v13
	v_div_scale_f32 v13, null, v14, v14, 1.0
	v_div_scale_f32 v19, vcc_lo, 1.0, v14, 1.0
	s_delay_alu instid0(VALU_DEP_2) | instskip(NEXT) | instid1(TRANS32_DEP_1)
	v_rcp_f32_e32 v17, v13
	v_fma_f32 v18, -v13, v17, 1.0
	s_delay_alu instid0(VALU_DEP_1) | instskip(NEXT) | instid1(VALU_DEP_1)
	v_fmac_f32_e32 v17, v18, v17
	v_mul_f32_e32 v18, v19, v17
	s_delay_alu instid0(VALU_DEP_1) | instskip(NEXT) | instid1(VALU_DEP_1)
	v_fma_f32 v20, -v13, v18, v19
	v_fmac_f32_e32 v18, v20, v17
	s_delay_alu instid0(VALU_DEP_1) | instskip(SKIP_1) | instid1(VALU_DEP_1)
	v_fma_f32 v13, -v13, v18, v19
	s_wait_alu 0xfffd
	v_div_fmas_f32 v17, v13, v17, v18
	v_add_f32_e32 v13, v16, v8
	s_delay_alu instid0(VALU_DEP_2) | instskip(NEXT) | instid1(VALU_DEP_1)
	v_div_fixup_f32 v8, v17, v14, 1.0
                                        ; implicit-def: $vgpr14
	v_fmac_f32_e32 v13, v6, v8
	s_delay_alu instid0(VALU_DEP_1)
	v_cmp_ngt_f32_e64 s0, 0x3f200000, |v13|
	s_and_saveexec_b32 s1, s0
	s_wait_alu 0xfffe
	s_xor_b32 s0, exec_lo, s1
	s_cbranch_execz .LBB45_7
; %bb.6:                                ;   in Loop: Header=BB45_3 Depth=1
	v_add_f32_e64 v14, |v13|, |v13|
	s_delay_alu instid0(VALU_DEP_1) | instskip(SKIP_1) | instid1(VALU_DEP_2)
	v_mul_f32_e32 v15, 0x3fb8aa3b, v14
	v_cmp_ngt_f32_e32 vcc_lo, 0xc2ce8ed0, v14
	v_rndne_f32_e32 v16, v15
	v_fma_f32 v17, 0x3fb8aa3b, v14, -v15
	s_delay_alu instid0(VALU_DEP_2) | instskip(NEXT) | instid1(VALU_DEP_2)
	v_sub_f32_e32 v15, v15, v16
	v_fmac_f32_e32 v17, 0x32a5705f, v14
	v_cvt_i32_f32_e32 v16, v16
	s_delay_alu instid0(VALU_DEP_2) | instskip(NEXT) | instid1(VALU_DEP_1)
	v_add_f32_e32 v15, v15, v17
	v_exp_f32_e32 v15, v15
	s_delay_alu instid0(TRANS32_DEP_1) | instskip(SKIP_1) | instid1(VALU_DEP_1)
	v_ldexp_f32 v15, v15, v16
	s_wait_alu 0xfffd
	v_cndmask_b32_e32 v15, 0, v15, vcc_lo
	v_cmp_nlt_f32_e32 vcc_lo, 0x42b17218, v14
	s_wait_alu 0xfffd
	s_delay_alu instid0(VALU_DEP_2) | instskip(NEXT) | instid1(VALU_DEP_1)
	v_cndmask_b32_e32 v14, 0x7f800000, v15, vcc_lo
	v_add_f32_e32 v14, 1.0, v14
	s_delay_alu instid0(VALU_DEP_1) | instskip(NEXT) | instid1(TRANS32_DEP_1)
	v_rcp_f32_e32 v14, v14
	v_fma_f32 v14, v14, -2.0, 1.0
.LBB45_7:                               ;   in Loop: Header=BB45_3 Depth=1
	s_wait_alu 0xfffe
	s_and_not1_saveexec_b32 s0, s0
	s_cbranch_execz .LBB45_2
; %bb.8:                                ;   in Loop: Header=BB45_3 Depth=1
	v_mul_f32_e32 v14, v13, v13
	s_delay_alu instid0(VALU_DEP_1) | instskip(NEXT) | instid1(VALU_DEP_1)
	v_fmaak_f32 v15, s61, v14, 0x3ca908c9
	v_fmaak_f32 v15, v14, v15, 0xbd5c1c4e
	s_delay_alu instid0(VALU_DEP_1) | instskip(NEXT) | instid1(VALU_DEP_1)
	v_fmaak_f32 v15, v14, v15, 0x3e088382
	v_fmaak_f32 v15, v14, v15, 0xbeaaaa99
	s_delay_alu instid0(VALU_DEP_1) | instskip(NEXT) | instid1(VALU_DEP_1)
	v_mul_f32_e64 v15, |v13|, v15
	v_fma_f32 v14, v14, v15, |v13|
	s_branch .LBB45_2
.LBB45_9:
	s_endpgm
	.section	.rodata,"a",@progbits
	.p2align	6, 0x0
	.amdhsa_kernel _ZN2at6native12_GLOBAL__N_16kernel16gru_cell_forwardIN3c108BFloat16EfiLi2EEEvNS_4cuda6detail10TensorInfoIT_T1_EESB_SB_SB_SB_SB_SB_SA_SA_
		.amdhsa_group_segment_fixed_size 0
		.amdhsa_private_segment_fixed_size 0
		.amdhsa_kernarg_size 1776
		.amdhsa_user_sgpr_count 2
		.amdhsa_user_sgpr_dispatch_ptr 0
		.amdhsa_user_sgpr_queue_ptr 0
		.amdhsa_user_sgpr_kernarg_segment_ptr 1
		.amdhsa_user_sgpr_dispatch_id 0
		.amdhsa_user_sgpr_private_segment_size 0
		.amdhsa_wavefront_size32 1
		.amdhsa_uses_dynamic_stack 0
		.amdhsa_enable_private_segment 0
		.amdhsa_system_sgpr_workgroup_id_x 1
		.amdhsa_system_sgpr_workgroup_id_y 0
		.amdhsa_system_sgpr_workgroup_id_z 0
		.amdhsa_system_sgpr_workgroup_info 0
		.amdhsa_system_vgpr_workitem_id 0
		.amdhsa_next_free_vgpr 38
		.amdhsa_next_free_sgpr 62
		.amdhsa_reserve_vcc 1
		.amdhsa_float_round_mode_32 0
		.amdhsa_float_round_mode_16_64 0
		.amdhsa_float_denorm_mode_32 3
		.amdhsa_float_denorm_mode_16_64 3
		.amdhsa_fp16_overflow 0
		.amdhsa_workgroup_processor_mode 1
		.amdhsa_memory_ordered 1
		.amdhsa_forward_progress 1
		.amdhsa_inst_pref_size 36
		.amdhsa_round_robin_scheduling 0
		.amdhsa_exception_fp_ieee_invalid_op 0
		.amdhsa_exception_fp_denorm_src 0
		.amdhsa_exception_fp_ieee_div_zero 0
		.amdhsa_exception_fp_ieee_overflow 0
		.amdhsa_exception_fp_ieee_underflow 0
		.amdhsa_exception_fp_ieee_inexact 0
		.amdhsa_exception_int_div_zero 0
	.end_amdhsa_kernel
	.section	.text._ZN2at6native12_GLOBAL__N_16kernel16gru_cell_forwardIN3c108BFloat16EfiLi2EEEvNS_4cuda6detail10TensorInfoIT_T1_EESB_SB_SB_SB_SB_SB_SA_SA_,"axG",@progbits,_ZN2at6native12_GLOBAL__N_16kernel16gru_cell_forwardIN3c108BFloat16EfiLi2EEEvNS_4cuda6detail10TensorInfoIT_T1_EESB_SB_SB_SB_SB_SB_SA_SA_,comdat
.Lfunc_end45:
	.size	_ZN2at6native12_GLOBAL__N_16kernel16gru_cell_forwardIN3c108BFloat16EfiLi2EEEvNS_4cuda6detail10TensorInfoIT_T1_EESB_SB_SB_SB_SB_SB_SA_SA_, .Lfunc_end45-_ZN2at6native12_GLOBAL__N_16kernel16gru_cell_forwardIN3c108BFloat16EfiLi2EEEvNS_4cuda6detail10TensorInfoIT_T1_EESB_SB_SB_SB_SB_SB_SA_SA_
                                        ; -- End function
	.set _ZN2at6native12_GLOBAL__N_16kernel16gru_cell_forwardIN3c108BFloat16EfiLi2EEEvNS_4cuda6detail10TensorInfoIT_T1_EESB_SB_SB_SB_SB_SB_SA_SA_.num_vgpr, 38
	.set _ZN2at6native12_GLOBAL__N_16kernel16gru_cell_forwardIN3c108BFloat16EfiLi2EEEvNS_4cuda6detail10TensorInfoIT_T1_EESB_SB_SB_SB_SB_SB_SA_SA_.num_agpr, 0
	.set _ZN2at6native12_GLOBAL__N_16kernel16gru_cell_forwardIN3c108BFloat16EfiLi2EEEvNS_4cuda6detail10TensorInfoIT_T1_EESB_SB_SB_SB_SB_SB_SA_SA_.numbered_sgpr, 62
	.set _ZN2at6native12_GLOBAL__N_16kernel16gru_cell_forwardIN3c108BFloat16EfiLi2EEEvNS_4cuda6detail10TensorInfoIT_T1_EESB_SB_SB_SB_SB_SB_SA_SA_.num_named_barrier, 0
	.set _ZN2at6native12_GLOBAL__N_16kernel16gru_cell_forwardIN3c108BFloat16EfiLi2EEEvNS_4cuda6detail10TensorInfoIT_T1_EESB_SB_SB_SB_SB_SB_SA_SA_.private_seg_size, 0
	.set _ZN2at6native12_GLOBAL__N_16kernel16gru_cell_forwardIN3c108BFloat16EfiLi2EEEvNS_4cuda6detail10TensorInfoIT_T1_EESB_SB_SB_SB_SB_SB_SA_SA_.uses_vcc, 1
	.set _ZN2at6native12_GLOBAL__N_16kernel16gru_cell_forwardIN3c108BFloat16EfiLi2EEEvNS_4cuda6detail10TensorInfoIT_T1_EESB_SB_SB_SB_SB_SB_SA_SA_.uses_flat_scratch, 0
	.set _ZN2at6native12_GLOBAL__N_16kernel16gru_cell_forwardIN3c108BFloat16EfiLi2EEEvNS_4cuda6detail10TensorInfoIT_T1_EESB_SB_SB_SB_SB_SB_SA_SA_.has_dyn_sized_stack, 0
	.set _ZN2at6native12_GLOBAL__N_16kernel16gru_cell_forwardIN3c108BFloat16EfiLi2EEEvNS_4cuda6detail10TensorInfoIT_T1_EESB_SB_SB_SB_SB_SB_SA_SA_.has_recursion, 0
	.set _ZN2at6native12_GLOBAL__N_16kernel16gru_cell_forwardIN3c108BFloat16EfiLi2EEEvNS_4cuda6detail10TensorInfoIT_T1_EESB_SB_SB_SB_SB_SB_SA_SA_.has_indirect_call, 0
	.section	.AMDGPU.csdata,"",@progbits
; Kernel info:
; codeLenInByte = 4564
; TotalNumSgprs: 64
; NumVgprs: 38
; ScratchSize: 0
; MemoryBound: 0
; FloatMode: 240
; IeeeMode: 1
; LDSByteSize: 0 bytes/workgroup (compile time only)
; SGPRBlocks: 0
; VGPRBlocks: 4
; NumSGPRsForWavesPerEU: 64
; NumVGPRsForWavesPerEU: 38
; Occupancy: 16
; WaveLimiterHint : 1
; COMPUTE_PGM_RSRC2:SCRATCH_EN: 0
; COMPUTE_PGM_RSRC2:USER_SGPR: 2
; COMPUTE_PGM_RSRC2:TRAP_HANDLER: 0
; COMPUTE_PGM_RSRC2:TGID_X_EN: 1
; COMPUTE_PGM_RSRC2:TGID_Y_EN: 0
; COMPUTE_PGM_RSRC2:TGID_Z_EN: 0
; COMPUTE_PGM_RSRC2:TIDIG_COMP_CNT: 0
	.section	.text._ZN2at6native12_GLOBAL__N_16kernel16gru_cell_forwardIN3c108BFloat16EflLi1EEEvNS_4cuda6detail10TensorInfoIT_T1_EESB_SB_SB_SB_SB_SB_SA_SA_,"axG",@progbits,_ZN2at6native12_GLOBAL__N_16kernel16gru_cell_forwardIN3c108BFloat16EflLi1EEEvNS_4cuda6detail10TensorInfoIT_T1_EESB_SB_SB_SB_SB_SB_SA_SA_,comdat
	.globl	_ZN2at6native12_GLOBAL__N_16kernel16gru_cell_forwardIN3c108BFloat16EflLi1EEEvNS_4cuda6detail10TensorInfoIT_T1_EESB_SB_SB_SB_SB_SB_SA_SA_ ; -- Begin function _ZN2at6native12_GLOBAL__N_16kernel16gru_cell_forwardIN3c108BFloat16EflLi1EEEvNS_4cuda6detail10TensorInfoIT_T1_EESB_SB_SB_SB_SB_SB_SA_SA_
	.p2align	8
	.type	_ZN2at6native12_GLOBAL__N_16kernel16gru_cell_forwardIN3c108BFloat16EflLi1EEEvNS_4cuda6detail10TensorInfoIT_T1_EESB_SB_SB_SB_SB_SB_SA_SA_,@function
_ZN2at6native12_GLOBAL__N_16kernel16gru_cell_forwardIN3c108BFloat16EflLi1EEEvNS_4cuda6detail10TensorInfoIT_T1_EESB_SB_SB_SB_SB_SB_SA_SA_: ; @_ZN2at6native12_GLOBAL__N_16kernel16gru_cell_forwardIN3c108BFloat16EflLi1EEEvNS_4cuda6detail10TensorInfoIT_T1_EESB_SB_SB_SB_SB_SB_SA_SA_
; %bb.0:
	s_clause 0x1
	s_load_b32 s2, s[0:1], 0xb7c
	s_load_b128 s[4:7], s[0:1], 0xb60
	v_mov_b32_e32 v1, 0
	s_wait_kmcnt 0x0
	s_and_b32 s26, s2, 0xffff
	s_mov_b32 s2, exec_lo
	s_delay_alu instid0(VALU_DEP_1) | instskip(SKIP_1) | instid1(VALU_DEP_1)
	v_mad_co_u64_u32 v[3:4], null, ttmp9, s26, v[0:1]
	v_mov_b32_e32 v4, v1
	v_cmpx_gt_i64_e64 s[6:7], v[3:4]
	s_cbranch_execz .LBB46_14
; %bb.1:
	s_clause 0x2
	s_load_b64 s[2:3], s[0:1], 0x340
	s_load_b64 s[36:37], s[0:1], 0x750
	;; [unrolled: 1-line block ×3, first 2 shown]
	s_add_nc_u64 s[8:9], s[0:1], 0xb70
	s_clause 0x1
	s_load_b64 s[40:41], s[0:1], 0x680
	s_load_b64 s[42:43], s[0:1], 0x820
	s_load_b32 s27, s[8:9], 0x0
	s_clause 0x8
	s_load_b64 s[8:9], s[0:1], 0x0
	s_load_b64 s[10:11], s[0:1], 0xd0
	;; [unrolled: 1-line block ×9, first 2 shown]
	s_mov_b32 s1, 0
	s_sub_nc_u64 s[34:35], 0, s[4:5]
	s_mov_b32 s44, 0
	s_wait_kmcnt 0x0
	s_mul_i32 s26, s27, s26
	s_wait_alu 0xfffe
	s_mov_b32 s27, s1
	s_cmp_lg_u64 s[2:3], 0
	v_mul_lo_u32 v0, 0, s36
	v_mul_lo_u32 v2, v3, s37
	v_mad_co_u64_u32 v[5:6], null, v3, s36, 0
	v_mul_lo_u32 v9, 0, s38
	v_mul_lo_u32 v10, v3, s39
	v_mad_co_u64_u32 v[7:8], null, v3, s38, 0
	s_wait_alu 0xfffe
	s_mul_u64 s[36:37], s[26:27], s[36:37]
	s_mul_u64 s[38:39], s[26:27], s[38:39]
	s_delay_alu instid0(VALU_DEP_4)
	v_add3_u32 v6, v6, v2, v0
	v_cvt_f32_u32_e32 v0, s4
	s_cselect_b32 s33, -1, 0
	s_lshl_b64 s[28:29], s[4:5], 1
	v_add3_u32 v8, v8, v10, v9
	v_lshlrev_b64_e32 v[5:6], 1, v[5:6]
	v_rcp_iflag_f32_e32 v0, v0
	s_lshl_b64 s[30:31], s[4:5], 2
	s_wait_alu 0xfffe
	s_lshl_b64 s[36:37], s[36:37], 1
	v_lshlrev_b64_e32 v[7:8], 1, v[7:8]
	s_lshl_b64 s[38:39], s[38:39], 1
	v_add_co_u32 v5, vcc_lo, s40, v5
	s_delay_alu instid0(VALU_DEP_1) | instskip(NEXT) | instid1(VALU_DEP_3)
	v_add_co_ci_u32_e64 v6, null, s41, v6, vcc_lo
	v_add_co_u32 v7, vcc_lo, s42, v7
	s_delay_alu instid0(TRANS32_DEP_1)
	v_mul_f32_e32 v0, 0x4f7ffffe, v0
	s_wait_alu 0xfffd
	v_add_co_ci_u32_e64 v8, null, s43, v8, vcc_lo
	s_ashr_i32 s40, s5, 31
	s_mov_b32 s27, 0xbbbac73d
	v_cvt_u32_f32_e32 v0, v0
	s_branch .LBB46_3
.LBB46_2:                               ;   in Loop: Header=BB46_3 Depth=1
	s_wait_alu 0xfffe
	s_or_b32 exec_lo, exec_lo, s0
	v_lshlrev_b32_e32 v11, 16, v11
	v_lshlrev_b32_e32 v12, 16, v12
	v_bfi_b32 v21, 0x7fffffff, v16, v15
	v_mul_lo_u32 v19, s30, v10
	v_mul_lo_u32 v20, s31, v9
	v_bfe_u32 v23, v14, 16, 1
	v_add_f32_e32 v11, v11, v12
	v_bfe_u32 v24, v13, 16, 1
	v_cmp_o_f32_e64 s0, v21, v21
	s_delay_alu instid0(VALU_DEP_3) | instskip(NEXT) | instid1(VALU_DEP_3)
	v_add_f32_e32 v11, v11, v18
	v_add3_u32 v24, v13, v24, 0x7fff
	s_delay_alu instid0(VALU_DEP_2) | instskip(SKIP_2) | instid1(VALU_DEP_4)
	v_add_f32_e32 v17, v17, v11
	v_mad_co_u64_u32 v[11:12], null, s30, v9, v[3:4]
	v_lshlrev_b64_e32 v[9:10], 2, v[9:10]
	v_lshrrev_b32_e32 v24, 16, v24
	s_delay_alu instid0(VALU_DEP_4) | instskip(NEXT) | instid1(VALU_DEP_3)
	v_mul_f32_e32 v18, 0xbfb8aa3b, v17
	v_add_co_u32 v29, vcc_lo, v9, 4
	s_delay_alu instid0(VALU_DEP_2)
	v_fma_f32 v16, 0xbfb8aa3b, v17, -v18
	v_rndne_f32_e32 v22, v18
	s_wait_alu 0xfffd
	v_add_co_ci_u32_e64 v30, null, 0, v10, vcc_lo
	v_add3_u32 v31, v20, v12, v19
	v_mul_lo_u32 v26, s4, v10
	v_sub_f32_e32 v18, v18, v22
	s_wait_loadcnt 0x0
	v_dual_fmac_f32 v16, 0xb2a5705f, v17 :: v_dual_lshlrev_b32 v15, 16, v2
	v_cvt_i32_f32_e32 v12, v22
	v_cmp_nlt_f32_e32 vcc_lo, 0x42ce8ed0, v17
	v_or_b32_e32 v27, 2, v9
	s_delay_alu instid0(VALU_DEP_4) | instskip(SKIP_3) | instid1(VALU_DEP_4)
	v_dual_add_f32 v16, v18, v16 :: v_dual_sub_f32 v25, v15, v21
	v_add3_u32 v15, v14, v23, 0x7fff
	v_or_b32_e32 v18, 1, v9
	v_or_b32_e32 v28, 3, v9
	v_exp_f32_e32 v16, v16
	v_mul_lo_u32 v32, v11, s25
	v_lshrrev_b32_e32 v22, 16, v15
	v_mad_co_u64_u32 v[9:10], null, v11, s24, 0
	v_mul_lo_u32 v33, s5, v18
	v_mul_lo_u32 v34, s5, v27
	;; [unrolled: 1-line block ×3, first 2 shown]
	v_bfe_u32 v23, v21, 16, 1
	v_mul_lo_u32 v31, v31, s24
	s_delay_alu instid0(TRANS32_DEP_1) | instskip(SKIP_1) | instid1(VALU_DEP_4)
	v_ldexp_f32 v15, v16, v12
	v_mad_co_u64_u32 v[11:12], null, s4, v18, v[3:4]
	v_add3_u32 v23, v21, v23, 0x7fff
	s_wait_alu 0xfffd
	s_delay_alu instid0(VALU_DEP_3)
	v_cndmask_b32_e32 v18, 0, v15, vcc_lo
	v_cmp_ngt_f32_e32 vcc_lo, 0xc2b17218, v17
	v_mad_co_u64_u32 v[15:16], null, s4, v27, v[3:4]
	v_mul_lo_u32 v27, s5, v28
	v_lshrrev_b32_e32 v23, 16, v23
	s_wait_alu 0xfffd
	v_cndmask_b32_e32 v19, 0x7f800000, v18, vcc_lo
	v_mad_co_u64_u32 v[17:18], null, s4, v28, v[3:4]
	v_mul_lo_u32 v28, s4, v30
	v_add3_u32 v33, v33, v12, v26
	s_delay_alu instid0(VALU_DEP_4) | instskip(SKIP_2) | instid1(VALU_DEP_3)
	v_add_f32_e32 v30, 1.0, v19
	v_mad_co_u64_u32 v[19:20], null, s4, v29, v[3:4]
	v_add_co_u32 v3, vcc_lo, v3, s26
	v_div_scale_f32 v29, null, v30, v30, 1.0
	s_wait_alu 0xfffd
	v_add_co_ci_u32_e64 v4, null, 0, v4, vcc_lo
	v_cmp_o_f32_e32 vcc_lo, v14, v14
	s_delay_alu instid0(VALU_DEP_3)
	v_rcp_f32_e32 v36, v29
	v_add3_u32 v20, v35, v20, v28
	v_add3_u32 v34, v34, v16, v26
	;; [unrolled: 1-line block ×3, first 2 shown]
	s_wait_alu 0xfffd
	v_cndmask_b32_e32 v22, 0x7fc0, v22, vcc_lo
	v_cmp_o_f32_e32 vcc_lo, v13, v13
	v_mul_lo_u32 v37, v11, s25
	v_mad_co_u64_u32 v[11:12], null, v11, s24, 0
	v_mul_lo_u32 v38, v15, s25
	v_fma_f32 v13, -v29, v36, 1.0
	s_wait_alu 0xfffd
	v_cndmask_b32_e32 v24, 0x7fc0, v24, vcc_lo
	v_div_scale_f32 v39, vcc_lo, 1.0, v30, 1.0
	v_mul_lo_u32 v27, v17, s25
	v_fmac_f32_e32 v36, v13, v36
	v_mad_co_u64_u32 v[13:14], null, v15, s24, 0
	v_mad_co_u64_u32 v[15:16], null, v17, s24, 0
	s_delay_alu instid0(VALU_DEP_3)
	v_mul_f32_e32 v40, v39, v36
	v_mul_lo_u32 v28, v19, s25
	v_mad_co_u64_u32 v[17:18], null, v19, s24, 0
	s_wait_alu 0xf1ff
	v_cndmask_b32_e64 v19, 0x7fc0, v23, s0
	v_fma_f32 v35, -v29, v40, v39
	v_mul_lo_u32 v23, v33, s24
	v_add3_u32 v10, v10, v32, v31
	v_mul_lo_u32 v31, v34, s24
	v_mul_lo_u32 v26, v26, s24
	v_fmac_f32_e32 v40, v35, v36
	v_mul_lo_u32 v20, v20, s24
	v_lshlrev_b64_e32 v[9:10], 1, v[9:10]
	v_add3_u32 v12, v12, v37, v23
	s_delay_alu instid0(VALU_DEP_4) | instskip(SKIP_2) | instid1(VALU_DEP_4)
	v_fma_f32 v29, -v29, v40, v39
	v_add3_u32 v14, v14, v38, v31
	v_add3_u32 v16, v16, v27, v26
	v_lshlrev_b64_e32 v[11:12], 1, v[11:12]
	s_wait_alu 0xfffd
	v_div_fmas_f32 v29, v29, v36, v40
	v_add3_u32 v18, v18, v28, v20
	v_lshlrev_b64_e32 v[13:14], 1, v[13:14]
	v_add_co_u32 v9, vcc_lo, s22, v9
	s_delay_alu instid0(VALU_DEP_4)
	v_div_fixup_f32 v23, v29, v30, 1.0
	v_lshlrev_b64_e32 v[15:16], 1, v[15:16]
	s_wait_alu 0xfffd
	v_add_co_ci_u32_e64 v10, null, s23, v10, vcc_lo
	v_add_co_u32 v11, vcc_lo, s22, v11
	v_fma_f32 v20, v23, v25, v21
	v_bfe_u32 v21, v23, 16, 1
	s_wait_alu 0xfffd
	v_add_co_ci_u32_e64 v12, null, s23, v12, vcc_lo
	v_add_co_u32 v13, vcc_lo, s22, v13
	v_bfe_u32 v25, v20, 16, 1
	v_add3_u32 v21, v23, v21, 0x7fff
	s_wait_alu 0xfffd
	v_add_co_ci_u32_e64 v14, null, s23, v14, vcc_lo
	v_add_co_u32 v15, vcc_lo, s22, v15
	v_add3_u32 v25, v20, v25, 0x7fff
	v_lshrrev_b32_e32 v21, 16, v21
	s_wait_alu 0xfffd
	v_add_co_ci_u32_e64 v16, null, s23, v16, vcc_lo
	v_cmp_o_f32_e32 vcc_lo, v23, v23
	v_lshlrev_b64_e32 v[17:18], 1, v[17:18]
	v_lshrrev_b32_e32 v25, 16, v25
	s_wait_alu 0xfffd
	v_cndmask_b32_e32 v21, 0x7fc0, v21, vcc_lo
	v_cmp_o_f32_e32 vcc_lo, v20, v20
	s_wait_alu 0xfffd
	v_cndmask_b32_e32 v20, 0x7fc0, v25, vcc_lo
	v_add_co_u32 v17, vcc_lo, s22, v17
	s_wait_alu 0xfffd
	v_add_co_ci_u32_e64 v18, null, s23, v18, vcc_lo
	v_add_co_u32 v5, vcc_lo, v5, s36
	s_wait_alu 0xfffd
	v_add_co_ci_u32_e64 v6, null, s37, v6, vcc_lo
	v_cmp_le_i64_e32 vcc_lo, s[6:7], v[3:4]
	global_store_b16 v[7:8], v20, off
	s_clause 0x1
	global_store_b16 v[9:10], v22, off
	global_store_b16 v[11:12], v21, off
	v_add_co_u32 v7, s0, v7, s38
	s_wait_alu 0xf1ff
	v_add_co_ci_u32_e64 v8, null, s39, v8, s0
	s_or_b32 s44, vcc_lo, s44
	s_clause 0x2
	global_store_b16 v[13:14], v19, off
	global_store_b16 v[15:16], v2, off
	;; [unrolled: 1-line block ×3, first 2 shown]
	s_and_not1_b32 exec_lo, exec_lo, s44
	s_cbranch_execz .LBB46_14
.LBB46_3:                               ; =>This Inner Loop Header: Depth=1
	v_or_b32_e32 v2, s5, v4
                                        ; implicit-def: $vgpr9_vgpr10
	s_mov_b32 s0, exec_lo
	s_delay_alu instid0(VALU_DEP_1)
	v_cmpx_ne_u64_e32 0, v[1:2]
	s_wait_alu 0xfffe
	s_xor_b32 s45, exec_lo, s0
	s_cbranch_execz .LBB46_5
; %bb.4:                                ;   in Loop: Header=BB46_3 Depth=1
	s_mov_b32 s41, s40
	v_ashrrev_i32_e32 v2, 31, v4
	s_wait_alu 0xfffe
	s_add_nc_u64 s[42:43], s[4:5], s[40:41]
	s_wait_alu 0xfffe
	s_xor_b64 s[42:43], s[42:43], s[40:41]
	v_add_co_u32 v9, vcc_lo, v3, v2
	s_wait_alu 0xfffe
	s_cvt_f32_u32 s0, s42
	s_cvt_f32_u32 s41, s43
	s_sub_nc_u64 s[48:49], 0, s[42:43]
	s_wait_alu 0xfffd
	v_add_co_ci_u32_e64 v10, null, v4, v2, vcc_lo
	s_wait_alu 0xfffe
	s_fmamk_f32 s0, s41, 0x4f800000, s0
	v_xor_b32_e32 v15, v9, v2
	s_delay_alu instid0(VALU_DEP_2) | instskip(SKIP_3) | instid1(TRANS32_DEP_1)
	v_xor_b32_e32 v16, v10, v2
	s_wait_alu 0xfffe
	v_s_rcp_f32 s0, s0
	v_xor_b32_e32 v2, s40, v2
	s_mul_f32 s0, s0, 0x5f7ffffc
	s_wait_alu 0xfffe
	s_delay_alu instid0(SALU_CYCLE_2) | instskip(SKIP_1) | instid1(SALU_CYCLE_2)
	s_mul_f32 s41, s0, 0x2f800000
	s_wait_alu 0xfffe
	s_trunc_f32 s41, s41
	s_wait_alu 0xfffe
	s_delay_alu instid0(SALU_CYCLE_2) | instskip(SKIP_2) | instid1(SALU_CYCLE_1)
	s_fmamk_f32 s0, s41, 0xcf800000, s0
	s_cvt_u32_f32 s47, s41
	s_wait_alu 0xfffe
	s_cvt_u32_f32 s46, s0
	s_delay_alu instid0(SALU_CYCLE_3) | instskip(NEXT) | instid1(SALU_CYCLE_1)
	s_mul_u64 s[50:51], s[48:49], s[46:47]
	s_mul_hi_u32 s53, s46, s51
	s_mul_i32 s52, s46, s51
	s_mul_hi_u32 s0, s46, s50
	s_mul_i32 s54, s47, s50
	s_wait_alu 0xfffe
	s_add_nc_u64 s[52:53], s[0:1], s[52:53]
	s_mul_hi_u32 s41, s47, s50
	s_mul_hi_u32 s55, s47, s51
	s_add_co_u32 s0, s52, s54
	s_wait_alu 0xfffe
	s_add_co_ci_u32 s0, s53, s41
	s_mul_i32 s50, s47, s51
	s_add_co_ci_u32 s51, s55, 0
	s_wait_alu 0xfffe
	s_add_nc_u64 s[50:51], s[0:1], s[50:51]
	s_delay_alu instid0(SALU_CYCLE_1) | instskip(SKIP_4) | instid1(SALU_CYCLE_1)
	s_add_co_u32 s46, s46, s50
	s_cselect_b32 s0, -1, 0
	s_wait_alu 0xfffe
	s_cmp_lg_u32 s0, 0
	s_add_co_ci_u32 s47, s47, s51
	s_mul_u64 s[48:49], s[48:49], s[46:47]
	s_delay_alu instid0(SALU_CYCLE_1)
	s_mul_hi_u32 s51, s46, s49
	s_mul_i32 s50, s46, s49
	s_mul_hi_u32 s0, s46, s48
	s_mul_i32 s52, s47, s48
	s_wait_alu 0xfffe
	s_add_nc_u64 s[50:51], s[0:1], s[50:51]
	s_mul_hi_u32 s41, s47, s48
	s_mul_hi_u32 s53, s47, s49
	s_add_co_u32 s0, s50, s52
	s_wait_alu 0xfffe
	s_add_co_ci_u32 s0, s51, s41
	s_mul_i32 s48, s47, s49
	s_add_co_ci_u32 s49, s53, 0
	s_wait_alu 0xfffe
	s_add_nc_u64 s[48:49], s[0:1], s[48:49]
	s_delay_alu instid0(SALU_CYCLE_1)
	s_add_co_u32 s0, s46, s48
	s_cselect_b32 s41, -1, 0
	s_wait_alu 0xfffe
	v_mul_hi_u32 v17, v15, s0
	s_cmp_lg_u32 s41, 0
	v_mad_co_u64_u32 v[11:12], null, v16, s0, 0
	s_add_co_ci_u32 s41, s47, s49
	s_wait_alu 0xfffe
	v_mad_co_u64_u32 v[9:10], null, v15, s41, 0
	v_mad_co_u64_u32 v[13:14], null, v16, s41, 0
	s_delay_alu instid0(VALU_DEP_2) | instskip(SKIP_1) | instid1(VALU_DEP_3)
	v_add_co_u32 v9, vcc_lo, v17, v9
	s_wait_alu 0xfffd
	v_add_co_ci_u32_e64 v10, null, 0, v10, vcc_lo
	s_delay_alu instid0(VALU_DEP_2) | instskip(SKIP_1) | instid1(VALU_DEP_2)
	v_add_co_u32 v9, vcc_lo, v9, v11
	s_wait_alu 0xfffd
	v_add_co_ci_u32_e32 v9, vcc_lo, v10, v12, vcc_lo
	s_wait_alu 0xfffd
	v_add_co_ci_u32_e32 v10, vcc_lo, 0, v14, vcc_lo
	s_delay_alu instid0(VALU_DEP_2) | instskip(SKIP_1) | instid1(VALU_DEP_2)
	v_add_co_u32 v11, vcc_lo, v9, v13
	s_wait_alu 0xfffd
	v_add_co_ci_u32_e64 v12, null, 0, v10, vcc_lo
	s_delay_alu instid0(VALU_DEP_2) | instskip(SKIP_1) | instid1(VALU_DEP_3)
	v_mul_lo_u32 v13, s43, v11
	v_mad_co_u64_u32 v[9:10], null, s42, v11, 0
	v_mul_lo_u32 v14, s42, v12
	s_delay_alu instid0(VALU_DEP_2) | instskip(NEXT) | instid1(VALU_DEP_2)
	v_sub_co_u32 v9, vcc_lo, v15, v9
	v_add3_u32 v10, v10, v14, v13
	v_add_co_u32 v14, s0, v11, 2
	s_wait_alu 0xf1ff
	v_add_co_ci_u32_e64 v15, null, 0, v12, s0
	s_delay_alu instid0(VALU_DEP_3) | instskip(SKIP_3) | instid1(VALU_DEP_3)
	v_sub_nc_u32_e32 v13, v16, v10
	v_sub_co_u32 v17, s0, v9, s42
	s_wait_alu 0xfffd
	v_sub_co_ci_u32_e64 v10, null, v16, v10, vcc_lo
	v_subrev_co_ci_u32_e64 v13, null, s43, v13, vcc_lo
	s_delay_alu instid0(VALU_DEP_3) | instskip(SKIP_1) | instid1(VALU_DEP_2)
	v_cmp_le_u32_e32 vcc_lo, s42, v17
	s_wait_alu 0xf1ff
	v_subrev_co_ci_u32_e64 v13, null, 0, v13, s0
	s_wait_alu 0xfffd
	v_cndmask_b32_e64 v16, 0, -1, vcc_lo
	s_delay_alu instid0(VALU_DEP_2)
	v_cmp_le_u32_e32 vcc_lo, s43, v13
	s_wait_alu 0xfffd
	v_cndmask_b32_e64 v17, 0, -1, vcc_lo
	v_cmp_le_u32_e32 vcc_lo, s42, v9
	s_wait_alu 0xfffd
	v_cndmask_b32_e64 v9, 0, -1, vcc_lo
	;; [unrolled: 3-line block ×3, first 2 shown]
	v_cmp_eq_u32_e32 vcc_lo, s43, v13
	s_wait_alu 0xfffd
	v_cndmask_b32_e32 v13, v17, v16, vcc_lo
	v_add_co_u32 v16, vcc_lo, v11, 1
	s_wait_alu 0xfffd
	v_add_co_ci_u32_e64 v17, null, 0, v12, vcc_lo
	v_cmp_eq_u32_e32 vcc_lo, s43, v10
	s_wait_alu 0xfffd
	v_cndmask_b32_e32 v9, v18, v9, vcc_lo
	v_cmp_ne_u32_e32 vcc_lo, 0, v13
	s_wait_alu 0xfffd
	v_cndmask_b32_e32 v10, v17, v15, vcc_lo
	s_delay_alu instid0(VALU_DEP_3) | instskip(SKIP_2) | instid1(VALU_DEP_2)
	v_cmp_ne_u32_e64 s0, 0, v9
	v_cndmask_b32_e32 v9, v16, v14, vcc_lo
	s_wait_alu 0xf1ff
	v_cndmask_b32_e64 v10, v12, v10, s0
	s_delay_alu instid0(VALU_DEP_2) | instskip(NEXT) | instid1(VALU_DEP_2)
	v_cndmask_b32_e64 v9, v11, v9, s0
	v_xor_b32_e32 v10, v10, v2
	s_delay_alu instid0(VALU_DEP_2) | instskip(NEXT) | instid1(VALU_DEP_1)
	v_xor_b32_e32 v9, v9, v2
	v_sub_co_u32 v9, vcc_lo, v9, v2
	s_wait_alu 0xfffd
	s_delay_alu instid0(VALU_DEP_3)
	v_sub_co_ci_u32_e64 v10, null, v10, v2, vcc_lo
.LBB46_5:                               ;   in Loop: Header=BB46_3 Depth=1
	s_and_not1_saveexec_b32 s0, s45
	s_cbranch_execz .LBB46_7
; %bb.6:                                ;   in Loop: Header=BB46_3 Depth=1
	s_sub_co_i32 s41, 0, s4
	s_wait_alu 0xfffe
	v_mul_lo_u32 v2, s41, v0
	s_delay_alu instid0(VALU_DEP_1) | instskip(NEXT) | instid1(VALU_DEP_1)
	v_mul_hi_u32 v2, v0, v2
	v_add_nc_u32_e32 v2, v0, v2
	s_delay_alu instid0(VALU_DEP_1) | instskip(NEXT) | instid1(VALU_DEP_1)
	v_mul_hi_u32 v2, v3, v2
	v_mul_lo_u32 v9, v2, s4
	v_add_nc_u32_e32 v10, 1, v2
	s_delay_alu instid0(VALU_DEP_2) | instskip(NEXT) | instid1(VALU_DEP_1)
	v_sub_nc_u32_e32 v9, v3, v9
	v_subrev_nc_u32_e32 v11, s4, v9
	v_cmp_le_u32_e32 vcc_lo, s4, v9
	s_wait_alu 0xfffd
	s_delay_alu instid0(VALU_DEP_2) | instskip(NEXT) | instid1(VALU_DEP_1)
	v_dual_cndmask_b32 v9, v9, v11 :: v_dual_cndmask_b32 v2, v2, v10
	v_cmp_le_u32_e32 vcc_lo, s4, v9
	s_delay_alu instid0(VALU_DEP_2) | instskip(SKIP_1) | instid1(VALU_DEP_1)
	v_add_nc_u32_e32 v10, 1, v2
	s_wait_alu 0xfffd
	v_dual_cndmask_b32 v9, v2, v10 :: v_dual_mov_b32 v10, v1
.LBB46_7:                               ;   in Loop: Header=BB46_3 Depth=1
	s_wait_alu 0xfffe
	s_or_b32 exec_lo, exec_lo, s0
	s_delay_alu instid0(VALU_DEP_1) | instskip(SKIP_3) | instid1(VALU_DEP_4)
	v_lshlrev_b64_e32 v[13:14], 1, v[9:10]
	v_mad_co_u64_u32 v[11:12], null, s28, v9, v[3:4]
	v_mul_lo_u32 v2, s28, v10
	v_mul_lo_u32 v15, s29, v9
	v_or_b32_e32 v16, 1, v13
	v_mul_lo_u32 v17, s4, v14
	v_add_co_u32 v20, vcc_lo, v13, 2
	v_mul_lo_u32 v18, v11, s11
	s_delay_alu instid0(VALU_DEP_4) | instskip(SKIP_3) | instid1(VALU_DEP_3)
	v_mul_lo_u32 v19, s5, v16
	v_add3_u32 v2, v15, v12, v2
	v_mad_co_u64_u32 v[15:16], null, s4, v16, v[3:4]
	v_mad_co_u64_u32 v[12:13], null, v11, s10, 0
	v_mul_lo_u32 v21, v2, s10
	s_wait_alu 0xfffd
	v_add_co_ci_u32_e64 v14, null, 0, v14, vcc_lo
	v_mul_lo_u32 v22, s5, v20
	v_add3_u32 v23, v19, v16, v17
	v_mad_co_u64_u32 v[16:17], null, s4, v20, v[3:4]
	s_delay_alu instid0(VALU_DEP_4) | instskip(SKIP_1) | instid1(VALU_DEP_4)
	v_mul_lo_u32 v14, s4, v14
	v_add3_u32 v13, v13, v18, v21
	v_mul_lo_u32 v20, v23, s10
	v_mul_lo_u32 v21, v15, s11
	v_mad_co_u64_u32 v[18:19], null, v15, s10, 0
	v_mul_lo_u32 v25, v16, s11
	v_mul_lo_u32 v26, v11, s15
	v_add3_u32 v24, v22, v17, v14
	v_mul_lo_u32 v2, v2, s14
	v_lshlrev_b64_e32 v[12:13], 1, v[12:13]
	v_add3_u32 v19, v19, v21, v20
	s_delay_alu instid0(VALU_DEP_4) | instskip(SKIP_2) | instid1(VALU_DEP_4)
	v_mul_lo_u32 v14, v24, s10
	v_mad_co_u64_u32 v[21:22], null, v11, s14, 0
	v_mul_lo_u32 v11, v23, s14
	v_lshlrev_b64_e32 v[17:18], 1, v[18:19]
	v_mad_co_u64_u32 v[19:20], null, v16, s10, 0
	v_add_co_u32 v12, vcc_lo, s8, v12
	v_add3_u32 v22, v22, v26, v2
	v_mul_lo_u32 v2, v24, s14
	v_mul_lo_u32 v26, v16, s15
	v_mad_co_u64_u32 v[23:24], null, v16, s14, 0
	v_add3_u32 v20, v20, v25, v14
	v_mul_lo_u32 v25, v15, s15
	v_mad_co_u64_u32 v[14:15], null, v15, s14, 0
	v_lshlrev_b64_e32 v[21:22], 1, v[21:22]
	s_delay_alu instid0(VALU_DEP_4)
	v_lshlrev_b64_e32 v[19:20], 1, v[19:20]
	v_add3_u32 v24, v24, v26, v2
	s_wait_alu 0xfffd
	v_add_co_ci_u32_e64 v13, null, s9, v13, vcc_lo
	v_add_co_u32 v17, vcc_lo, s8, v17
	v_add3_u32 v15, v15, v25, v11
	s_wait_alu 0xfffd
	v_add_co_ci_u32_e64 v18, null, s9, v18, vcc_lo
	v_add_co_u32 v19, vcc_lo, s8, v19
	s_delay_alu instid0(VALU_DEP_3)
	v_lshlrev_b64_e32 v[14:15], 1, v[14:15]
	v_lshlrev_b64_e32 v[23:24], 1, v[23:24]
	s_wait_alu 0xfffd
	v_add_co_ci_u32_e64 v20, null, s9, v20, vcc_lo
	v_add_co_u32 v21, vcc_lo, s12, v21
	s_wait_alu 0xfffd
	v_add_co_ci_u32_e64 v22, null, s13, v22, vcc_lo
	v_add_co_u32 v25, vcc_lo, s12, v14
	s_wait_alu 0xfffd
	v_add_co_ci_u32_e64 v26, null, s13, v15, vcc_lo
	v_add_co_u32 v23, vcc_lo, s12, v23
	s_wait_alu 0xfffd
	v_add_co_ci_u32_e64 v24, null, s13, v24, vcc_lo
	s_clause 0x2
	global_load_u16 v15, v[12:13], off
	global_load_u16 v11, v[17:18], off
	;; [unrolled: 1-line block ×3, first 2 shown]
	s_clause 0x2
	global_load_u16 v16, v[21:22], off
	global_load_u16 v12, v[25:26], off
	;; [unrolled: 1-line block ×4, first 2 shown]
	s_and_not1_b32 vcc_lo, exec_lo, s33
	s_wait_alu 0xfffe
	s_cbranch_vccnz .LBB46_9
; %bb.8:                                ;   in Loop: Header=BB46_3 Depth=1
	v_mad_co_u64_u32 v[17:18], null, s34, v9, v[3:4]
	v_mul_lo_u32 v19, s34, v10
	v_mul_lo_u32 v20, s35, v9
	v_sub_co_u32 v21, vcc_lo, 1, v9
	s_wait_alu 0xfffd
	v_sub_co_ci_u32_e64 v22, null, 0, v10, vcc_lo
	v_mul_lo_u32 v23, v17, s17
	s_delay_alu instid0(VALU_DEP_3)
	v_mul_lo_u32 v24, s5, v21
	v_mul_lo_u32 v32, v17, s21
	v_add3_u32 v26, v20, v18, v19
	v_mad_co_u64_u32 v[18:19], null, v17, s16, 0
	v_mul_lo_u32 v22, s4, v22
	v_mad_co_u64_u32 v[20:21], null, s4, v21, v[3:4]
	s_delay_alu instid0(VALU_DEP_4) | instskip(SKIP_1) | instid1(VALU_DEP_3)
	v_mul_lo_u32 v25, v26, s16
	v_mul_lo_u32 v33, v26, s20
	v_add3_u32 v28, v24, v21, v22
	s_delay_alu instid0(VALU_DEP_4) | instskip(NEXT) | instid1(VALU_DEP_4)
	v_mul_lo_u32 v27, v20, s17
	v_add3_u32 v19, v19, v23, v25
	v_sub_co_u32 v23, vcc_lo, 2, v9
	s_wait_alu 0xfffd
	v_sub_co_ci_u32_e64 v24, null, 0, v10, vcc_lo
	v_mul_lo_u32 v25, v28, s16
	s_delay_alu instid0(VALU_DEP_3) | instskip(SKIP_1) | instid1(VALU_DEP_4)
	v_mul_lo_u32 v30, s5, v23
	v_mad_co_u64_u32 v[21:22], null, v20, s16, 0
	v_mul_lo_u32 v29, s4, v24
	v_mad_co_u64_u32 v[23:24], null, s4, v23, v[3:4]
	v_mul_lo_u32 v34, v20, s21
	v_lshlrev_b64_e32 v[18:19], 1, v[18:19]
	v_add3_u32 v22, v22, v27, v25
	v_mad_co_u64_u32 v[26:27], null, v17, s20, 0
	v_add3_u32 v30, v30, v24, v29
	v_mul_lo_u32 v31, v23, s17
	v_mad_co_u64_u32 v[24:25], null, v23, s16, 0
	v_mul_lo_u32 v17, v28, s20
	s_delay_alu instid0(VALU_DEP_4) | instskip(SKIP_4) | instid1(VALU_DEP_4)
	v_mul_lo_u32 v29, v30, s16
	v_add3_u32 v27, v27, v32, v33
	v_mul_lo_u32 v32, v23, s21
	v_lshlrev_b64_e32 v[21:22], 1, v[21:22]
	v_add_co_u32 v18, vcc_lo, s2, v18
	v_lshlrev_b64_e32 v[26:27], 1, v[26:27]
	s_wait_alu 0xfffd
	v_add_co_ci_u32_e64 v19, null, s3, v19, vcc_lo
	v_add3_u32 v25, v25, v31, v29
	v_mad_co_u64_u32 v[28:29], null, v20, s20, 0
	v_mul_lo_u32 v20, v30, s20
	v_mad_co_u64_u32 v[30:31], null, v23, s20, 0
	s_delay_alu instid0(VALU_DEP_4)
	v_lshlrev_b64_e32 v[24:25], 1, v[24:25]
	v_add_co_u32 v21, vcc_lo, s2, v21
	v_add3_u32 v29, v29, v34, v17
	s_wait_alu 0xfffd
	v_add_co_ci_u32_e64 v22, null, s3, v22, vcc_lo
	v_add3_u32 v31, v31, v32, v20
	v_add_co_u32 v23, vcc_lo, s2, v24
	v_lshlrev_b64_e32 v[28:29], 1, v[28:29]
	s_wait_alu 0xfffd
	v_add_co_ci_u32_e64 v24, null, s3, v25, vcc_lo
	v_lshlrev_b64_e32 v[30:31], 1, v[30:31]
	v_add_co_u32 v25, vcc_lo, s18, v26
	s_wait_alu 0xfffd
	v_add_co_ci_u32_e64 v26, null, s19, v27, vcc_lo
	v_add_co_u32 v27, vcc_lo, s18, v28
	s_wait_alu 0xfffd
	v_add_co_ci_u32_e64 v28, null, s19, v29, vcc_lo
	;; [unrolled: 3-line block ×3, first 2 shown]
	global_load_u16 v17, v[18:19], off
	global_load_u16 v18, v[25:26], off
	s_clause 0x1
	global_load_u16 v19, v[21:22], off
	global_load_u16 v20, v[23:24], off
	s_clause 0x1
	global_load_u16 v23, v[29:30], off
	global_load_u16 v24, v[27:28], off
	s_wait_loadcnt 0x5
	v_lshlrev_b32_e32 v22, 16, v17
	s_wait_loadcnt 0x4
	v_lshlrev_b32_e32 v21, 16, v18
	s_wait_loadcnt 0x3
	v_lshlrev_b32_e32 v18, 16, v19
	s_wait_loadcnt 0x2
	v_lshlrev_b32_e32 v20, 16, v20
	s_wait_loadcnt 0x1
	v_lshlrev_b32_e32 v19, 16, v23
	s_wait_loadcnt 0x0
	v_lshlrev_b32_e32 v17, 16, v24
	s_branch .LBB46_10
.LBB46_9:                               ;   in Loop: Header=BB46_3 Depth=1
	v_dual_mov_b32 v19, 0 :: v_dual_mov_b32 v20, 0
	v_dual_mov_b32 v17, 0 :: v_dual_mov_b32 v18, 0
	;; [unrolled: 1-line block ×3, first 2 shown]
.LBB46_10:                              ;   in Loop: Header=BB46_3 Depth=1
	s_wait_loadcnt 0x6
	v_lshlrev_b32_e32 v15, 16, v15
	s_wait_loadcnt 0x3
	v_lshlrev_b32_e32 v16, 16, v16
	v_lshlrev_b32_e32 v13, 16, v13
	s_delay_alu instid0(VALU_DEP_2) | instskip(NEXT) | instid1(VALU_DEP_1)
	v_add_f32_e32 v15, v15, v16
	v_add_f32_e32 v15, v15, v22
	s_delay_alu instid0(VALU_DEP_1) | instskip(NEXT) | instid1(VALU_DEP_1)
	v_add_f32_e32 v15, v21, v15
	v_mul_f32_e32 v16, 0xbfb8aa3b, v15
	v_cmp_nlt_f32_e32 vcc_lo, 0x42ce8ed0, v15
	s_delay_alu instid0(VALU_DEP_2) | instskip(SKIP_1) | instid1(VALU_DEP_1)
	v_fma_f32 v21, 0xbfb8aa3b, v15, -v16
	v_rndne_f32_e32 v22, v16
	v_dual_fmac_f32 v21, 0xb2a5705f, v15 :: v_dual_sub_f32 v16, v16, v22
	s_delay_alu instid0(VALU_DEP_1) | instskip(SKIP_1) | instid1(VALU_DEP_2)
	v_add_f32_e32 v16, v16, v21
	v_cvt_i32_f32_e32 v21, v22
	v_exp_f32_e32 v16, v16
	s_delay_alu instid0(TRANS32_DEP_1) | instskip(SKIP_1) | instid1(VALU_DEP_1)
	v_ldexp_f32 v16, v16, v21
	s_wait_alu 0xfffd
	v_cndmask_b32_e32 v16, 0, v16, vcc_lo
	v_cmp_ngt_f32_e32 vcc_lo, 0xc2b17218, v15
	s_wait_alu 0xfffd
	s_delay_alu instid0(VALU_DEP_2) | instskip(NEXT) | instid1(VALU_DEP_1)
	v_cndmask_b32_e32 v15, 0x7f800000, v16, vcc_lo
	v_add_f32_e32 v16, 1.0, v15
	s_delay_alu instid0(VALU_DEP_1) | instskip(SKIP_1) | instid1(VALU_DEP_2)
	v_div_scale_f32 v15, null, v16, v16, 1.0
	v_div_scale_f32 v23, vcc_lo, 1.0, v16, 1.0
	v_rcp_f32_e32 v21, v15
	s_delay_alu instid0(TRANS32_DEP_1) | instskip(NEXT) | instid1(VALU_DEP_1)
	v_fma_f32 v22, -v15, v21, 1.0
	v_fmac_f32_e32 v21, v22, v21
	s_delay_alu instid0(VALU_DEP_1) | instskip(NEXT) | instid1(VALU_DEP_1)
	v_mul_f32_e32 v22, v23, v21
	v_fma_f32 v24, -v15, v22, v23
	s_delay_alu instid0(VALU_DEP_1) | instskip(NEXT) | instid1(VALU_DEP_1)
	v_fmac_f32_e32 v22, v24, v21
	v_fma_f32 v15, -v15, v22, v23
	s_wait_alu 0xfffd
	s_delay_alu instid0(VALU_DEP_1) | instskip(SKIP_2) | instid1(VALU_DEP_2)
	v_div_fmas_f32 v21, v15, v21, v22
	s_wait_loadcnt 0x1
	v_dual_add_f32 v15, v20, v13 :: v_dual_lshlrev_b32 v22, 16, v14
	v_div_fixup_f32 v14, v21, v16, 1.0
	s_delay_alu instid0(VALU_DEP_2) | instskip(NEXT) | instid1(VALU_DEP_1)
	v_add_f32_e32 v13, v19, v22
                                        ; implicit-def: $vgpr16
	v_fmac_f32_e32 v15, v13, v14
	s_delay_alu instid0(VALU_DEP_1)
	v_cmp_ngt_f32_e64 s0, 0x3f200000, |v15|
	s_and_saveexec_b32 s41, s0
	s_wait_alu 0xfffe
	s_xor_b32 s0, exec_lo, s41
	s_cbranch_execz .LBB46_12
; %bb.11:                               ;   in Loop: Header=BB46_3 Depth=1
	v_add_f32_e64 v16, |v15|, |v15|
	s_delay_alu instid0(VALU_DEP_1) | instskip(SKIP_1) | instid1(VALU_DEP_2)
	v_mul_f32_e32 v19, 0x3fb8aa3b, v16
	v_cmp_ngt_f32_e32 vcc_lo, 0xc2ce8ed0, v16
	v_rndne_f32_e32 v20, v19
	v_fma_f32 v21, 0x3fb8aa3b, v16, -v19
	s_delay_alu instid0(VALU_DEP_2) | instskip(NEXT) | instid1(VALU_DEP_2)
	v_sub_f32_e32 v19, v19, v20
	v_fmac_f32_e32 v21, 0x32a5705f, v16
	v_cvt_i32_f32_e32 v20, v20
	s_delay_alu instid0(VALU_DEP_2) | instskip(NEXT) | instid1(VALU_DEP_1)
	v_add_f32_e32 v19, v19, v21
	v_exp_f32_e32 v19, v19
	s_delay_alu instid0(TRANS32_DEP_1) | instskip(SKIP_1) | instid1(VALU_DEP_1)
	v_ldexp_f32 v19, v19, v20
	s_wait_alu 0xfffd
	v_cndmask_b32_e32 v19, 0, v19, vcc_lo
	v_cmp_nlt_f32_e32 vcc_lo, 0x42b17218, v16
	s_wait_alu 0xfffd
	s_delay_alu instid0(VALU_DEP_2) | instskip(NEXT) | instid1(VALU_DEP_1)
	v_cndmask_b32_e32 v16, 0x7f800000, v19, vcc_lo
	v_add_f32_e32 v16, 1.0, v16
	s_delay_alu instid0(VALU_DEP_1) | instskip(NEXT) | instid1(TRANS32_DEP_1)
	v_rcp_f32_e32 v16, v16
	v_fma_f32 v16, v16, -2.0, 1.0
.LBB46_12:                              ;   in Loop: Header=BB46_3 Depth=1
	s_wait_alu 0xfffe
	s_and_not1_saveexec_b32 s0, s0
	s_cbranch_execz .LBB46_2
; %bb.13:                               ;   in Loop: Header=BB46_3 Depth=1
	v_mul_f32_e32 v16, v15, v15
	s_delay_alu instid0(VALU_DEP_1) | instskip(NEXT) | instid1(VALU_DEP_1)
	v_fmaak_f32 v19, s27, v16, 0x3ca908c9
	v_fmaak_f32 v19, v16, v19, 0xbd5c1c4e
	s_delay_alu instid0(VALU_DEP_1) | instskip(NEXT) | instid1(VALU_DEP_1)
	v_fmaak_f32 v19, v16, v19, 0x3e088382
	v_fmaak_f32 v19, v16, v19, 0xbeaaaa99
	s_delay_alu instid0(VALU_DEP_1) | instskip(NEXT) | instid1(VALU_DEP_1)
	v_mul_f32_e64 v19, |v15|, v19
	v_fma_f32 v16, v16, v19, |v15|
	s_branch .LBB46_2
.LBB46_14:
	s_endpgm
	.section	.rodata,"a",@progbits
	.p2align	6, 0x0
	.amdhsa_kernel _ZN2at6native12_GLOBAL__N_16kernel16gru_cell_forwardIN3c108BFloat16EflLi1EEEvNS_4cuda6detail10TensorInfoIT_T1_EESB_SB_SB_SB_SB_SB_SA_SA_
		.amdhsa_group_segment_fixed_size 0
		.amdhsa_private_segment_fixed_size 0
		.amdhsa_kernarg_size 3184
		.amdhsa_user_sgpr_count 2
		.amdhsa_user_sgpr_dispatch_ptr 0
		.amdhsa_user_sgpr_queue_ptr 0
		.amdhsa_user_sgpr_kernarg_segment_ptr 1
		.amdhsa_user_sgpr_dispatch_id 0
		.amdhsa_user_sgpr_private_segment_size 0
		.amdhsa_wavefront_size32 1
		.amdhsa_uses_dynamic_stack 0
		.amdhsa_enable_private_segment 0
		.amdhsa_system_sgpr_workgroup_id_x 1
		.amdhsa_system_sgpr_workgroup_id_y 0
		.amdhsa_system_sgpr_workgroup_id_z 0
		.amdhsa_system_sgpr_workgroup_info 0
		.amdhsa_system_vgpr_workitem_id 0
		.amdhsa_next_free_vgpr 41
		.amdhsa_next_free_sgpr 56
		.amdhsa_reserve_vcc 1
		.amdhsa_float_round_mode_32 0
		.amdhsa_float_round_mode_16_64 0
		.amdhsa_float_denorm_mode_32 3
		.amdhsa_float_denorm_mode_16_64 3
		.amdhsa_fp16_overflow 0
		.amdhsa_workgroup_processor_mode 1
		.amdhsa_memory_ordered 1
		.amdhsa_forward_progress 1
		.amdhsa_inst_pref_size 34
		.amdhsa_round_robin_scheduling 0
		.amdhsa_exception_fp_ieee_invalid_op 0
		.amdhsa_exception_fp_denorm_src 0
		.amdhsa_exception_fp_ieee_div_zero 0
		.amdhsa_exception_fp_ieee_overflow 0
		.amdhsa_exception_fp_ieee_underflow 0
		.amdhsa_exception_fp_ieee_inexact 0
		.amdhsa_exception_int_div_zero 0
	.end_amdhsa_kernel
	.section	.text._ZN2at6native12_GLOBAL__N_16kernel16gru_cell_forwardIN3c108BFloat16EflLi1EEEvNS_4cuda6detail10TensorInfoIT_T1_EESB_SB_SB_SB_SB_SB_SA_SA_,"axG",@progbits,_ZN2at6native12_GLOBAL__N_16kernel16gru_cell_forwardIN3c108BFloat16EflLi1EEEvNS_4cuda6detail10TensorInfoIT_T1_EESB_SB_SB_SB_SB_SB_SA_SA_,comdat
.Lfunc_end46:
	.size	_ZN2at6native12_GLOBAL__N_16kernel16gru_cell_forwardIN3c108BFloat16EflLi1EEEvNS_4cuda6detail10TensorInfoIT_T1_EESB_SB_SB_SB_SB_SB_SA_SA_, .Lfunc_end46-_ZN2at6native12_GLOBAL__N_16kernel16gru_cell_forwardIN3c108BFloat16EflLi1EEEvNS_4cuda6detail10TensorInfoIT_T1_EESB_SB_SB_SB_SB_SB_SA_SA_
                                        ; -- End function
	.set _ZN2at6native12_GLOBAL__N_16kernel16gru_cell_forwardIN3c108BFloat16EflLi1EEEvNS_4cuda6detail10TensorInfoIT_T1_EESB_SB_SB_SB_SB_SB_SA_SA_.num_vgpr, 41
	.set _ZN2at6native12_GLOBAL__N_16kernel16gru_cell_forwardIN3c108BFloat16EflLi1EEEvNS_4cuda6detail10TensorInfoIT_T1_EESB_SB_SB_SB_SB_SB_SA_SA_.num_agpr, 0
	.set _ZN2at6native12_GLOBAL__N_16kernel16gru_cell_forwardIN3c108BFloat16EflLi1EEEvNS_4cuda6detail10TensorInfoIT_T1_EESB_SB_SB_SB_SB_SB_SA_SA_.numbered_sgpr, 56
	.set _ZN2at6native12_GLOBAL__N_16kernel16gru_cell_forwardIN3c108BFloat16EflLi1EEEvNS_4cuda6detail10TensorInfoIT_T1_EESB_SB_SB_SB_SB_SB_SA_SA_.num_named_barrier, 0
	.set _ZN2at6native12_GLOBAL__N_16kernel16gru_cell_forwardIN3c108BFloat16EflLi1EEEvNS_4cuda6detail10TensorInfoIT_T1_EESB_SB_SB_SB_SB_SB_SA_SA_.private_seg_size, 0
	.set _ZN2at6native12_GLOBAL__N_16kernel16gru_cell_forwardIN3c108BFloat16EflLi1EEEvNS_4cuda6detail10TensorInfoIT_T1_EESB_SB_SB_SB_SB_SB_SA_SA_.uses_vcc, 1
	.set _ZN2at6native12_GLOBAL__N_16kernel16gru_cell_forwardIN3c108BFloat16EflLi1EEEvNS_4cuda6detail10TensorInfoIT_T1_EESB_SB_SB_SB_SB_SB_SA_SA_.uses_flat_scratch, 0
	.set _ZN2at6native12_GLOBAL__N_16kernel16gru_cell_forwardIN3c108BFloat16EflLi1EEEvNS_4cuda6detail10TensorInfoIT_T1_EESB_SB_SB_SB_SB_SB_SA_SA_.has_dyn_sized_stack, 0
	.set _ZN2at6native12_GLOBAL__N_16kernel16gru_cell_forwardIN3c108BFloat16EflLi1EEEvNS_4cuda6detail10TensorInfoIT_T1_EESB_SB_SB_SB_SB_SB_SA_SA_.has_recursion, 0
	.set _ZN2at6native12_GLOBAL__N_16kernel16gru_cell_forwardIN3c108BFloat16EflLi1EEEvNS_4cuda6detail10TensorInfoIT_T1_EESB_SB_SB_SB_SB_SB_SA_SA_.has_indirect_call, 0
	.section	.AMDGPU.csdata,"",@progbits
; Kernel info:
; codeLenInByte = 4236
; TotalNumSgprs: 58
; NumVgprs: 41
; ScratchSize: 0
; MemoryBound: 0
; FloatMode: 240
; IeeeMode: 1
; LDSByteSize: 0 bytes/workgroup (compile time only)
; SGPRBlocks: 0
; VGPRBlocks: 5
; NumSGPRsForWavesPerEU: 58
; NumVGPRsForWavesPerEU: 41
; Occupancy: 16
; WaveLimiterHint : 1
; COMPUTE_PGM_RSRC2:SCRATCH_EN: 0
; COMPUTE_PGM_RSRC2:USER_SGPR: 2
; COMPUTE_PGM_RSRC2:TRAP_HANDLER: 0
; COMPUTE_PGM_RSRC2:TGID_X_EN: 1
; COMPUTE_PGM_RSRC2:TGID_Y_EN: 0
; COMPUTE_PGM_RSRC2:TGID_Z_EN: 0
; COMPUTE_PGM_RSRC2:TIDIG_COMP_CNT: 0
	.section	.text._ZN2at6native12_GLOBAL__N_16kernel16gru_cell_forwardIN3c108BFloat16EflLi2EEEvNS_4cuda6detail10TensorInfoIT_T1_EESB_SB_SB_SB_SB_SB_SA_SA_,"axG",@progbits,_ZN2at6native12_GLOBAL__N_16kernel16gru_cell_forwardIN3c108BFloat16EflLi2EEEvNS_4cuda6detail10TensorInfoIT_T1_EESB_SB_SB_SB_SB_SB_SA_SA_,comdat
	.globl	_ZN2at6native12_GLOBAL__N_16kernel16gru_cell_forwardIN3c108BFloat16EflLi2EEEvNS_4cuda6detail10TensorInfoIT_T1_EESB_SB_SB_SB_SB_SB_SA_SA_ ; -- Begin function _ZN2at6native12_GLOBAL__N_16kernel16gru_cell_forwardIN3c108BFloat16EflLi2EEEvNS_4cuda6detail10TensorInfoIT_T1_EESB_SB_SB_SB_SB_SB_SA_SA_
	.p2align	8
	.type	_ZN2at6native12_GLOBAL__N_16kernel16gru_cell_forwardIN3c108BFloat16EflLi2EEEvNS_4cuda6detail10TensorInfoIT_T1_EESB_SB_SB_SB_SB_SB_SA_SA_,@function
_ZN2at6native12_GLOBAL__N_16kernel16gru_cell_forwardIN3c108BFloat16EflLi2EEEvNS_4cuda6detail10TensorInfoIT_T1_EESB_SB_SB_SB_SB_SB_SA_SA_: ; @_ZN2at6native12_GLOBAL__N_16kernel16gru_cell_forwardIN3c108BFloat16EflLi2EEEvNS_4cuda6detail10TensorInfoIT_T1_EESB_SB_SB_SB_SB_SB_SA_SA_
; %bb.0:
	s_clause 0x1
	s_load_b32 s2, s[0:1], 0xb7c
	s_load_b128 s[4:7], s[0:1], 0xb60
	v_mov_b32_e32 v1, 0
	s_wait_kmcnt 0x0
	s_and_b32 s56, s2, 0xffff
	s_mov_b32 s2, exec_lo
	s_delay_alu instid0(VALU_DEP_1) | instskip(SKIP_1) | instid1(VALU_DEP_1)
	v_mad_co_u64_u32 v[3:4], null, ttmp9, s56, v[0:1]
	v_mov_b32_e32 v4, v1
	v_cmpx_gt_i64_e64 s[6:7], v[3:4]
	s_cbranch_execz .LBB47_66
; %bb.1:
	s_clause 0x1
	s_load_b64 s[2:3], s[0:1], 0x10
	s_load_b64 s[28:29], s[0:1], 0x0
	v_cvt_f32_u32_e32 v0, s4
	s_add_nc_u64 s[16:17], s[0:1], 0xb70
	s_clause 0x4
	s_load_b128 s[8:11], s[0:1], 0xd0
	s_load_b64 s[30:31], s[0:1], 0x1a0
	s_load_b64 s[34:35], s[0:1], 0x340
	;; [unrolled: 1-line block ×3, first 2 shown]
	s_load_b128 s[12:15], s[0:1], 0x270
	s_load_b32 s57, s[16:17], 0x0
	s_clause 0xb
	s_load_b64 s[38:39], s[0:1], 0x410
	s_load_b64 s[40:41], s[0:1], 0x4e0
	;; [unrolled: 1-line block ×5, first 2 shown]
	s_load_b128 s[16:19], s[0:1], 0x750
	s_load_b64 s[48:49], s[0:1], 0x820
	s_load_b64 s[50:51], s[0:1], 0x830
	s_load_b128 s[20:23], s[0:1], 0x8f0
	s_load_b64 s[52:53], s[0:1], 0x9c0
	s_load_b64 s[54:55], s[0:1], 0x9d0
	s_load_b128 s[24:27], s[0:1], 0xa90
	s_mov_b32 s1, 0
	v_rcp_iflag_f32_e32 v0, v0
	s_sub_nc_u64 s[60:61], 0, s[4:5]
	s_mov_b32 s73, 0xbbbac73d
	s_mov_b32 s74, 0
	s_wait_kmcnt 0x0
	s_cmp_lg_u64 s[34:35], 0
	s_cselect_b32 s33, -1, 0
	s_mul_i32 s72, s57, s56
	s_lshl_b64 s[56:57], s[4:5], 1
	s_delay_alu instid0(TRANS32_DEP_1)
	v_mul_f32_e32 v0, 0x4f7ffffe, v0
	s_lshl_b64 s[58:59], s[4:5], 2
	s_ashr_i32 s66, s5, 31
	v_cvt_f32_u32_e32 v2, s2
	s_sub_nc_u64 s[62:63], 0, s[46:47]
	v_cvt_u32_f32_e32 v0, v0
	s_sub_nc_u64 s[64:65], 0, s[50:51]
	s_delay_alu instid0(VALU_DEP_2) | instskip(NEXT) | instid1(TRANS32_DEP_1)
	v_rcp_iflag_f32_e32 v2, v2
	v_mul_f32_e32 v2, 0x4f7ffffe, v2
	s_delay_alu instid0(VALU_DEP_1)
	v_cvt_u32_f32_e32 v15, v2
	s_branch .LBB47_3
.LBB47_2:                               ;   in Loop: Header=BB47_3 Depth=1
	s_wait_alu 0xfffe
	s_or_b32 exec_lo, exec_lo, s0
	s_delay_alu instid0(VALU_DEP_1)
	v_mul_lo_u32 v2, v8, s54
	v_mul_lo_u32 v11, v7, s55
	v_mad_co_u64_u32 v[9:10], null, v7, s54, 0
	v_mul_lo_u32 v14, v8, s24
	v_mul_lo_u32 v16, v7, s25
	v_mad_co_u64_u32 v[7:8], null, v7, s24, 0
	v_bfe_u32 v13, v12, 16, 1
	v_add3_u32 v2, v10, v11, v2
	v_sub_co_u32 v5, vcc_lo, v5, v9
	s_delay_alu instid0(VALU_DEP_3)
	v_add3_u32 v9, v12, v13, 0x7fff
	v_add3_u32 v8, v8, v16, v14
	s_wait_alu 0xfffd
	v_sub_co_ci_u32_e64 v2, null, v6, v2, vcc_lo
	v_add_co_u32 v5, vcc_lo, v3, v5
	v_lshrrev_b32_e32 v9, 16, v9
	s_wait_alu 0xfffd
	s_delay_alu instid0(VALU_DEP_3) | instskip(NEXT) | instid1(VALU_DEP_3)
	v_add_co_ci_u32_e64 v2, null, v4, v2, vcc_lo
	v_mul_lo_u32 v10, v5, s27
	v_mad_co_u64_u32 v[5:6], null, v5, s26, 0
	s_delay_alu instid0(VALU_DEP_3)
	v_mul_lo_u32 v2, v2, s26
	v_cmp_o_f32_e32 vcc_lo, v12, v12
	v_lshlrev_b64_e32 v[7:8], 1, v[7:8]
	s_wait_alu 0xfffd
	v_cndmask_b32_e32 v9, 0x7fc0, v9, vcc_lo
	v_add_co_u32 v3, vcc_lo, v3, s72
	v_add3_u32 v6, v6, v10, v2
	s_wait_alu 0xfffd
	v_add_co_ci_u32_e64 v4, null, 0, v4, vcc_lo
	v_add_co_u32 v2, vcc_lo, s52, v7
	s_delay_alu instid0(VALU_DEP_3) | instskip(SKIP_3) | instid1(VALU_DEP_3)
	v_lshlrev_b64_e32 v[5:6], 1, v[5:6]
	s_wait_alu 0xfffd
	v_add_co_ci_u32_e64 v7, null, s53, v8, vcc_lo
	v_cmp_le_i64_e32 vcc_lo, s[6:7], v[3:4]
	v_add_co_u32 v5, s0, v2, v5
	s_wait_alu 0xf1ff
	s_delay_alu instid0(VALU_DEP_3)
	v_add_co_ci_u32_e64 v6, null, v7, v6, s0
	s_or_b32 s74, vcc_lo, s74
	global_store_b16 v[5:6], v9, off
	s_and_not1_b32 exec_lo, exec_lo, s74
	s_cbranch_execz .LBB47_66
.LBB47_3:                               ; =>This Inner Loop Header: Depth=1
	v_or_b32_e32 v2, s5, v4
	v_ashrrev_i32_e32 v16, 31, v4
                                        ; implicit-def: $vgpr5_vgpr6
	s_mov_b32 s0, exec_lo
	s_delay_alu instid0(VALU_DEP_2)
	v_cmpx_ne_u64_e32 0, v[1:2]
	s_wait_alu 0xfffe
	s_xor_b32 s70, exec_lo, s0
	s_cbranch_execz .LBB47_5
; %bb.4:                                ;   in Loop: Header=BB47_3 Depth=1
	s_mov_b32 s67, s66
	v_add_co_u32 v2, vcc_lo, v3, v16
	s_wait_alu 0xfffe
	s_add_nc_u64 s[68:69], s[4:5], s[66:67]
	s_wait_alu 0xfffd
	v_add_co_ci_u32_e64 v5, null, v4, v16, vcc_lo
	s_wait_alu 0xfffe
	s_xor_b64 s[68:69], s[68:69], s[66:67]
	v_xor_b32_e32 v2, v2, v16
	s_wait_alu 0xfffe
	s_cvt_f32_u32 s0, s68
	s_cvt_f32_u32 s67, s69
	s_sub_nc_u64 s[78:79], 0, s[68:69]
	v_xor_b32_e32 v11, v5, v16
	s_wait_alu 0xfffe
	s_fmamk_f32 s0, s67, 0x4f800000, s0
	s_wait_alu 0xfffe
	s_delay_alu instid0(SALU_CYCLE_2) | instskip(NEXT) | instid1(TRANS32_DEP_1)
	v_s_rcp_f32 s0, s0
	s_mul_f32 s0, s0, 0x5f7ffffc
	s_wait_alu 0xfffe
	s_delay_alu instid0(SALU_CYCLE_2) | instskip(SKIP_1) | instid1(SALU_CYCLE_2)
	s_mul_f32 s67, s0, 0x2f800000
	s_wait_alu 0xfffe
	s_trunc_f32 s67, s67
	s_wait_alu 0xfffe
	s_delay_alu instid0(SALU_CYCLE_2) | instskip(SKIP_2) | instid1(SALU_CYCLE_1)
	s_fmamk_f32 s0, s67, 0xcf800000, s0
	s_cvt_u32_f32 s77, s67
	s_wait_alu 0xfffe
	s_cvt_u32_f32 s76, s0
	s_delay_alu instid0(SALU_CYCLE_3) | instskip(NEXT) | instid1(SALU_CYCLE_1)
	s_mul_u64 s[80:81], s[78:79], s[76:77]
	s_mul_hi_u32 s83, s76, s81
	s_mul_i32 s82, s76, s81
	s_mul_hi_u32 s0, s76, s80
	s_mul_i32 s71, s77, s80
	s_wait_alu 0xfffe
	s_add_nc_u64 s[82:83], s[0:1], s[82:83]
	s_mul_hi_u32 s67, s77, s80
	s_mul_hi_u32 s75, s77, s81
	s_add_co_u32 s0, s82, s71
	s_wait_alu 0xfffe
	s_add_co_ci_u32 s0, s83, s67
	s_mul_i32 s80, s77, s81
	s_add_co_ci_u32 s81, s75, 0
	s_wait_alu 0xfffe
	s_add_nc_u64 s[80:81], s[0:1], s[80:81]
	s_delay_alu instid0(SALU_CYCLE_1) | instskip(SKIP_4) | instid1(SALU_CYCLE_1)
	s_add_co_u32 s76, s76, s80
	s_cselect_b32 s0, -1, 0
	s_wait_alu 0xfffe
	s_cmp_lg_u32 s0, 0
	s_add_co_ci_u32 s77, s77, s81
	s_mul_u64 s[78:79], s[78:79], s[76:77]
	s_delay_alu instid0(SALU_CYCLE_1)
	s_mul_hi_u32 s81, s76, s79
	s_mul_i32 s80, s76, s79
	s_mul_hi_u32 s0, s76, s78
	s_mul_i32 s71, s77, s78
	s_wait_alu 0xfffe
	s_add_nc_u64 s[80:81], s[0:1], s[80:81]
	s_mul_hi_u32 s67, s77, s78
	s_mul_hi_u32 s75, s77, s79
	s_add_co_u32 s0, s80, s71
	s_wait_alu 0xfffe
	s_add_co_ci_u32 s0, s81, s67
	s_mul_i32 s78, s77, s79
	s_add_co_ci_u32 s79, s75, 0
	s_wait_alu 0xfffe
	s_add_nc_u64 s[78:79], s[0:1], s[78:79]
	s_delay_alu instid0(SALU_CYCLE_1)
	s_add_co_u32 s0, s76, s78
	s_cselect_b32 s67, -1, 0
	s_wait_alu 0xfffe
	v_mul_hi_u32 v12, v2, s0
	s_cmp_lg_u32 s67, 0
	v_mad_co_u64_u32 v[7:8], null, v11, s0, 0
	s_add_co_ci_u32 s67, s77, s79
	s_wait_alu 0xfffe
	v_mad_co_u64_u32 v[5:6], null, v2, s67, 0
	v_mad_co_u64_u32 v[9:10], null, v11, s67, 0
	s_delay_alu instid0(VALU_DEP_2) | instskip(SKIP_1) | instid1(VALU_DEP_3)
	v_add_co_u32 v5, vcc_lo, v12, v5
	s_wait_alu 0xfffd
	v_add_co_ci_u32_e64 v6, null, 0, v6, vcc_lo
	s_delay_alu instid0(VALU_DEP_2) | instskip(SKIP_1) | instid1(VALU_DEP_2)
	v_add_co_u32 v5, vcc_lo, v5, v7
	s_wait_alu 0xfffd
	v_add_co_ci_u32_e32 v5, vcc_lo, v6, v8, vcc_lo
	s_wait_alu 0xfffd
	v_add_co_ci_u32_e32 v6, vcc_lo, 0, v10, vcc_lo
	s_delay_alu instid0(VALU_DEP_2) | instskip(SKIP_1) | instid1(VALU_DEP_2)
	v_add_co_u32 v7, vcc_lo, v5, v9
	s_wait_alu 0xfffd
	v_add_co_ci_u32_e64 v8, null, 0, v6, vcc_lo
	s_delay_alu instid0(VALU_DEP_2) | instskip(SKIP_1) | instid1(VALU_DEP_3)
	v_mul_lo_u32 v9, s69, v7
	v_mad_co_u64_u32 v[5:6], null, s68, v7, 0
	v_mul_lo_u32 v10, s68, v8
	s_delay_alu instid0(VALU_DEP_2) | instskip(NEXT) | instid1(VALU_DEP_2)
	v_sub_co_u32 v2, vcc_lo, v2, v5
	v_add3_u32 v6, v6, v10, v9
	s_delay_alu instid0(VALU_DEP_1) | instskip(SKIP_2) | instid1(VALU_DEP_2)
	v_sub_nc_u32_e32 v9, v11, v6
	s_wait_alu 0xfffd
	v_sub_co_ci_u32_e64 v6, null, v11, v6, vcc_lo
	v_subrev_co_ci_u32_e64 v5, null, s69, v9, vcc_lo
	v_add_co_u32 v9, s0, v7, 2
	s_wait_alu 0xf1ff
	v_add_co_ci_u32_e64 v10, null, 0, v8, s0
	v_sub_co_u32 v12, s0, v2, s68
	s_wait_alu 0xf1ff
	v_subrev_co_ci_u32_e64 v5, null, 0, v5, s0
	s_delay_alu instid0(VALU_DEP_2) | instskip(SKIP_2) | instid1(VALU_DEP_3)
	v_cmp_le_u32_e32 vcc_lo, s68, v12
	s_wait_alu 0xfffd
	v_cndmask_b32_e64 v11, 0, -1, vcc_lo
	v_cmp_le_u32_e32 vcc_lo, s69, v5
	s_wait_alu 0xfffd
	v_cndmask_b32_e64 v12, 0, -1, vcc_lo
	;; [unrolled: 3-line block ×4, first 2 shown]
	v_cmp_eq_u32_e32 vcc_lo, s69, v5
	s_wait_alu 0xfffd
	v_cndmask_b32_e32 v5, v12, v11, vcc_lo
	v_add_co_u32 v11, vcc_lo, v7, 1
	s_wait_alu 0xfffd
	v_add_co_ci_u32_e64 v12, null, 0, v8, vcc_lo
	v_cmp_eq_u32_e32 vcc_lo, s69, v6
	v_xor_b32_e32 v6, s66, v16
	s_wait_alu 0xfffd
	v_cndmask_b32_e32 v2, v13, v2, vcc_lo
	v_cmp_ne_u32_e32 vcc_lo, 0, v5
	s_delay_alu instid0(VALU_DEP_2) | instskip(SKIP_3) | instid1(VALU_DEP_1)
	v_cmp_ne_u32_e64 s0, 0, v2
	s_wait_alu 0xfffd
	v_dual_cndmask_b32 v5, v12, v10 :: v_dual_cndmask_b32 v2, v11, v9
	s_wait_alu 0xf1ff
	v_cndmask_b32_e64 v5, v8, v5, s0
	s_delay_alu instid0(VALU_DEP_2) | instskip(NEXT) | instid1(VALU_DEP_2)
	v_cndmask_b32_e64 v2, v7, v2, s0
	v_xor_b32_e32 v7, v5, v6
	s_delay_alu instid0(VALU_DEP_2) | instskip(NEXT) | instid1(VALU_DEP_1)
	v_xor_b32_e32 v2, v2, v6
	v_sub_co_u32 v5, vcc_lo, v2, v6
	s_wait_alu 0xfffd
	s_delay_alu instid0(VALU_DEP_3)
	v_sub_co_ci_u32_e64 v6, null, v7, v6, vcc_lo
.LBB47_5:                               ;   in Loop: Header=BB47_3 Depth=1
	s_wait_alu 0xfffe
	s_and_not1_saveexec_b32 s0, s70
	s_cbranch_execz .LBB47_7
; %bb.6:                                ;   in Loop: Header=BB47_3 Depth=1
	s_sub_co_i32 s67, 0, s4
	s_wait_alu 0xfffe
	v_mul_lo_u32 v2, s67, v0
	s_delay_alu instid0(VALU_DEP_1) | instskip(NEXT) | instid1(VALU_DEP_1)
	v_mul_hi_u32 v2, v0, v2
	v_add_nc_u32_e32 v2, v0, v2
	s_delay_alu instid0(VALU_DEP_1) | instskip(NEXT) | instid1(VALU_DEP_1)
	v_mul_hi_u32 v2, v3, v2
	v_mul_lo_u32 v5, v2, s4
	v_add_nc_u32_e32 v6, 1, v2
	s_delay_alu instid0(VALU_DEP_2) | instskip(NEXT) | instid1(VALU_DEP_1)
	v_sub_nc_u32_e32 v5, v3, v5
	v_subrev_nc_u32_e32 v7, s4, v5
	v_cmp_le_u32_e32 vcc_lo, s4, v5
	s_wait_alu 0xfffd
	s_delay_alu instid0(VALU_DEP_2) | instskip(NEXT) | instid1(VALU_DEP_1)
	v_dual_cndmask_b32 v5, v5, v7 :: v_dual_cndmask_b32 v2, v2, v6
	v_cmp_le_u32_e32 vcc_lo, s4, v5
	s_delay_alu instid0(VALU_DEP_2) | instskip(SKIP_1) | instid1(VALU_DEP_1)
	v_add_nc_u32_e32 v6, 1, v2
	s_wait_alu 0xfffd
	v_dual_cndmask_b32 v5, v2, v6 :: v_dual_mov_b32 v6, v1
.LBB47_7:                               ;   in Loop: Header=BB47_3 Depth=1
	s_wait_alu 0xfffe
	s_or_b32 exec_lo, exec_lo, s0
	s_delay_alu instid0(VALU_DEP_1) | instskip(NEXT) | instid1(VALU_DEP_2)
	v_mul_lo_u32 v2, s57, v5
	v_mul_lo_u32 v9, s56, v6
	v_mad_co_u64_u32 v[7:8], null, s56, v5, 0
	s_mov_b32 s0, exec_lo
	v_add3_u32 v8, v8, v9, v2
	v_add_co_u32 v23, vcc_lo, v3, v7
                                        ; implicit-def: $vgpr9_vgpr10
	s_wait_alu 0xfffd
	s_delay_alu instid0(VALU_DEP_2) | instskip(NEXT) | instid1(VALU_DEP_1)
	v_add_co_ci_u32_e64 v26, null, v4, v8, vcc_lo
	v_or_b32_e32 v2, s3, v26
	v_ashrrev_i32_e32 v20, 31, v26
	s_delay_alu instid0(VALU_DEP_2)
	v_cmpx_ne_u64_e32 0, v[1:2]
	s_wait_alu 0xfffe
	s_xor_b32 s67, exec_lo, s0
	s_cbranch_execz .LBB47_9
; %bb.8:                                ;   in Loop: Header=BB47_3 Depth=1
	s_ashr_i32 s68, s3, 31
	v_add_co_u32 v2, vcc_lo, v23, v20
	s_wait_alu 0xfffe
	s_mov_b32 s69, s68
	s_wait_alu 0xfffd
	v_add_co_ci_u32_e64 v9, null, v26, v20, vcc_lo
	s_wait_alu 0xfffe
	s_add_nc_u64 s[70:71], s[2:3], s[68:69]
	v_xor_b32_e32 v2, v2, v20
	s_wait_alu 0xfffe
	s_xor_b64 s[70:71], s[70:71], s[68:69]
	v_xor_b32_e32 v17, v9, v20
	s_wait_alu 0xfffe
	s_cvt_f32_u32 s0, s70
	s_cvt_f32_u32 s69, s71
	s_sub_nc_u64 s[78:79], 0, s[70:71]
	s_wait_alu 0xfffe
	s_delay_alu instid0(SALU_CYCLE_1) | instskip(SKIP_1) | instid1(SALU_CYCLE_2)
	s_fmamk_f32 s0, s69, 0x4f800000, s0
	s_wait_alu 0xfffe
	v_s_rcp_f32 s0, s0
	s_delay_alu instid0(TRANS32_DEP_1) | instskip(SKIP_1) | instid1(SALU_CYCLE_2)
	s_mul_f32 s0, s0, 0x5f7ffffc
	s_wait_alu 0xfffe
	s_mul_f32 s69, s0, 0x2f800000
	s_wait_alu 0xfffe
	s_delay_alu instid0(SALU_CYCLE_2) | instskip(SKIP_1) | instid1(SALU_CYCLE_2)
	s_trunc_f32 s69, s69
	s_wait_alu 0xfffe
	s_fmamk_f32 s0, s69, 0xcf800000, s0
	s_cvt_u32_f32 s77, s69
	s_wait_alu 0xfffe
	s_delay_alu instid0(SALU_CYCLE_1) | instskip(NEXT) | instid1(SALU_CYCLE_3)
	s_cvt_u32_f32 s76, s0
	s_mul_u64 s[80:81], s[78:79], s[76:77]
	s_delay_alu instid0(SALU_CYCLE_1)
	s_mul_hi_u32 s83, s76, s81
	s_mul_i32 s82, s76, s81
	s_mul_hi_u32 s0, s76, s80
	s_mul_i32 s75, s77, s80
	s_wait_alu 0xfffe
	s_add_nc_u64 s[82:83], s[0:1], s[82:83]
	s_mul_hi_u32 s69, s77, s80
	s_mul_hi_u32 s84, s77, s81
	s_add_co_u32 s0, s82, s75
	s_wait_alu 0xfffe
	s_add_co_ci_u32 s0, s83, s69
	s_mul_i32 s80, s77, s81
	s_add_co_ci_u32 s81, s84, 0
	s_wait_alu 0xfffe
	s_add_nc_u64 s[80:81], s[0:1], s[80:81]
	s_delay_alu instid0(SALU_CYCLE_1) | instskip(SKIP_4) | instid1(SALU_CYCLE_1)
	s_add_co_u32 s76, s76, s80
	s_cselect_b32 s0, -1, 0
	s_wait_alu 0xfffe
	s_cmp_lg_u32 s0, 0
	s_add_co_ci_u32 s77, s77, s81
	s_mul_u64 s[78:79], s[78:79], s[76:77]
	s_delay_alu instid0(SALU_CYCLE_1)
	s_mul_hi_u32 s81, s76, s79
	s_mul_i32 s80, s76, s79
	s_mul_hi_u32 s0, s76, s78
	s_mul_i32 s75, s77, s78
	s_wait_alu 0xfffe
	s_add_nc_u64 s[80:81], s[0:1], s[80:81]
	s_mul_hi_u32 s69, s77, s78
	s_mul_hi_u32 s82, s77, s79
	s_add_co_u32 s0, s80, s75
	s_wait_alu 0xfffe
	s_add_co_ci_u32 s0, s81, s69
	s_mul_i32 s78, s77, s79
	s_add_co_ci_u32 s79, s82, 0
	s_wait_alu 0xfffe
	s_add_nc_u64 s[78:79], s[0:1], s[78:79]
	s_delay_alu instid0(SALU_CYCLE_1)
	s_add_co_u32 s0, s76, s78
	s_cselect_b32 s69, -1, 0
	s_wait_alu 0xfffe
	v_mul_hi_u32 v18, v2, s0
	s_cmp_lg_u32 s69, 0
	v_mad_co_u64_u32 v[11:12], null, v17, s0, 0
	s_add_co_ci_u32 s69, s77, s79
	s_wait_alu 0xfffe
	v_mad_co_u64_u32 v[9:10], null, v2, s69, 0
	v_mad_co_u64_u32 v[13:14], null, v17, s69, 0
	s_delay_alu instid0(VALU_DEP_2) | instskip(SKIP_1) | instid1(VALU_DEP_3)
	v_add_co_u32 v9, vcc_lo, v18, v9
	s_wait_alu 0xfffd
	v_add_co_ci_u32_e64 v10, null, 0, v10, vcc_lo
	s_delay_alu instid0(VALU_DEP_2) | instskip(SKIP_1) | instid1(VALU_DEP_2)
	v_add_co_u32 v9, vcc_lo, v9, v11
	s_wait_alu 0xfffd
	v_add_co_ci_u32_e32 v9, vcc_lo, v10, v12, vcc_lo
	s_wait_alu 0xfffd
	v_add_co_ci_u32_e32 v10, vcc_lo, 0, v14, vcc_lo
	s_delay_alu instid0(VALU_DEP_2) | instskip(SKIP_1) | instid1(VALU_DEP_2)
	v_add_co_u32 v11, vcc_lo, v9, v13
	s_wait_alu 0xfffd
	v_add_co_ci_u32_e64 v12, null, 0, v10, vcc_lo
	s_delay_alu instid0(VALU_DEP_2) | instskip(SKIP_1) | instid1(VALU_DEP_3)
	v_mul_lo_u32 v13, s71, v11
	v_mad_co_u64_u32 v[9:10], null, s70, v11, 0
	v_mul_lo_u32 v14, s70, v12
	s_delay_alu instid0(VALU_DEP_2) | instskip(NEXT) | instid1(VALU_DEP_2)
	v_sub_co_u32 v2, vcc_lo, v2, v9
	v_add3_u32 v10, v10, v14, v13
	s_delay_alu instid0(VALU_DEP_1) | instskip(SKIP_2) | instid1(VALU_DEP_2)
	v_sub_nc_u32_e32 v13, v17, v10
	s_wait_alu 0xfffd
	v_sub_co_ci_u32_e64 v10, null, v17, v10, vcc_lo
	v_subrev_co_ci_u32_e64 v9, null, s71, v13, vcc_lo
	v_add_co_u32 v13, s0, v11, 2
	s_wait_alu 0xf1ff
	v_add_co_ci_u32_e64 v14, null, 0, v12, s0
	v_sub_co_u32 v18, s0, v2, s70
	s_wait_alu 0xf1ff
	v_subrev_co_ci_u32_e64 v9, null, 0, v9, s0
	s_delay_alu instid0(VALU_DEP_2) | instskip(SKIP_2) | instid1(VALU_DEP_3)
	v_cmp_le_u32_e32 vcc_lo, s70, v18
	s_wait_alu 0xfffd
	v_cndmask_b32_e64 v17, 0, -1, vcc_lo
	v_cmp_le_u32_e32 vcc_lo, s71, v9
	s_wait_alu 0xfffd
	v_cndmask_b32_e64 v18, 0, -1, vcc_lo
	;; [unrolled: 3-line block ×4, first 2 shown]
	v_cmp_eq_u32_e32 vcc_lo, s71, v9
	s_wait_alu 0xfffd
	v_cndmask_b32_e32 v9, v18, v17, vcc_lo
	v_add_co_u32 v17, vcc_lo, v11, 1
	s_wait_alu 0xfffd
	v_add_co_ci_u32_e64 v18, null, 0, v12, vcc_lo
	v_cmp_eq_u32_e32 vcc_lo, s71, v10
	v_xor_b32_e32 v10, s68, v20
	s_wait_alu 0xfffd
	v_cndmask_b32_e32 v2, v19, v2, vcc_lo
	v_cmp_ne_u32_e32 vcc_lo, 0, v9
	s_delay_alu instid0(VALU_DEP_2) | instskip(SKIP_3) | instid1(VALU_DEP_1)
	v_cmp_ne_u32_e64 s0, 0, v2
	s_wait_alu 0xfffd
	v_dual_cndmask_b32 v9, v18, v14 :: v_dual_cndmask_b32 v2, v17, v13
	s_wait_alu 0xf1ff
	v_cndmask_b32_e64 v9, v12, v9, s0
	s_delay_alu instid0(VALU_DEP_2) | instskip(NEXT) | instid1(VALU_DEP_2)
	v_cndmask_b32_e64 v2, v11, v2, s0
	v_xor_b32_e32 v11, v9, v10
	s_delay_alu instid0(VALU_DEP_2) | instskip(NEXT) | instid1(VALU_DEP_1)
	v_xor_b32_e32 v2, v2, v10
	v_sub_co_u32 v9, vcc_lo, v2, v10
	s_wait_alu 0xfffd
	s_delay_alu instid0(VALU_DEP_3)
	v_sub_co_ci_u32_e64 v10, null, v11, v10, vcc_lo
.LBB47_9:                               ;   in Loop: Header=BB47_3 Depth=1
	s_wait_alu 0xfffe
	s_and_not1_saveexec_b32 s0, s67
	s_cbranch_execz .LBB47_11
; %bb.10:                               ;   in Loop: Header=BB47_3 Depth=1
	s_sub_co_i32 s67, 0, s2
	s_wait_alu 0xfffe
	v_mul_lo_u32 v2, s67, v15
	s_delay_alu instid0(VALU_DEP_1) | instskip(NEXT) | instid1(VALU_DEP_1)
	v_mul_hi_u32 v2, v15, v2
	v_add_nc_u32_e32 v2, v15, v2
	s_delay_alu instid0(VALU_DEP_1) | instskip(NEXT) | instid1(VALU_DEP_1)
	v_mul_hi_u32 v2, v23, v2
	v_mul_lo_u32 v9, v2, s2
	v_add_nc_u32_e32 v10, 1, v2
	s_delay_alu instid0(VALU_DEP_2) | instskip(NEXT) | instid1(VALU_DEP_1)
	v_sub_nc_u32_e32 v9, v23, v9
	v_subrev_nc_u32_e32 v11, s2, v9
	v_cmp_le_u32_e32 vcc_lo, s2, v9
	s_wait_alu 0xfffd
	s_delay_alu instid0(VALU_DEP_2) | instskip(NEXT) | instid1(VALU_DEP_1)
	v_dual_cndmask_b32 v9, v9, v11 :: v_dual_cndmask_b32 v2, v2, v10
	v_cmp_le_u32_e32 vcc_lo, s2, v9
	s_delay_alu instid0(VALU_DEP_2) | instskip(SKIP_1) | instid1(VALU_DEP_1)
	v_add_nc_u32_e32 v10, 1, v2
	s_wait_alu 0xfffd
	v_dual_cndmask_b32 v9, v2, v10 :: v_dual_mov_b32 v10, v1
.LBB47_11:                              ;   in Loop: Header=BB47_3 Depth=1
	s_wait_alu 0xfffe
	s_or_b32 exec_lo, exec_lo, s0
	s_delay_alu instid0(VALU_DEP_1) | instskip(NEXT) | instid1(VALU_DEP_2)
	v_mul_lo_u32 v2, v10, s2
	v_mul_lo_u32 v13, v9, s3
	v_mad_co_u64_u32 v[11:12], null, v9, s2, 0
	v_mul_lo_u32 v14, v9, s9
	s_mov_b32 s0, exec_lo
	s_delay_alu instid0(VALU_DEP_2) | instskip(SKIP_1) | instid1(VALU_DEP_4)
	v_add3_u32 v2, v12, v13, v2
	v_mul_lo_u32 v13, v10, s8
	v_sub_co_u32 v10, vcc_lo, v7, v11
	s_wait_alu 0xfffd
	s_delay_alu instid0(VALU_DEP_3) | instskip(NEXT) | instid1(VALU_DEP_2)
	v_sub_co_ci_u32_e64 v2, null, v8, v2, vcc_lo
	v_add_co_u32 v11, vcc_lo, v3, v10
	v_mad_co_u64_u32 v[9:10], null, v9, s8, 0
	s_wait_alu 0xfffd
	s_delay_alu instid0(VALU_DEP_3) | instskip(NEXT) | instid1(VALU_DEP_3)
	v_add_co_ci_u32_e64 v2, null, v4, v2, vcc_lo
	v_mul_lo_u32 v17, v11, s11
	v_mad_co_u64_u32 v[11:12], null, v11, s10, 0
	s_delay_alu instid0(VALU_DEP_3) | instskip(SKIP_1) | instid1(VALU_DEP_1)
	v_mul_lo_u32 v2, v2, s10
	v_add3_u32 v10, v10, v14, v13
	v_lshlrev_b64_e32 v[9:10], 1, v[9:10]
	s_delay_alu instid0(VALU_DEP_3) | instskip(NEXT) | instid1(VALU_DEP_2)
	v_add3_u32 v12, v12, v17, v2
	v_add_co_u32 v2, vcc_lo, s28, v9
	s_delay_alu instid0(VALU_DEP_2) | instskip(SKIP_1) | instid1(VALU_DEP_4)
	v_lshlrev_b64_e32 v[11:12], 1, v[11:12]
	s_wait_alu 0xfffd
	v_add_co_ci_u32_e64 v10, null, s29, v10, vcc_lo
	s_delay_alu instid0(VALU_DEP_2) | instskip(SKIP_1) | instid1(VALU_DEP_2)
	v_add_co_u32 v9, vcc_lo, v2, v11
	s_wait_alu 0xfffd
	v_add_co_ci_u32_e64 v10, null, v10, v12, vcc_lo
	v_lshlrev_b64_e32 v[11:12], 1, v[5:6]
	v_alignbit_b32 v2, v6, v5, 31
	global_load_u16 v17, v[9:10], off
	v_mul_lo_u32 v2, s4, v2
	v_mul_lo_u32 v13, s5, v11
	v_mad_co_u64_u32 v[9:10], null, s4, v11, s[4:5]
	s_delay_alu instid0(VALU_DEP_1) | instskip(NEXT) | instid1(VALU_DEP_2)
	v_add3_u32 v10, v13, v10, v2
	v_add_co_u32 v24, vcc_lo, v3, v9
                                        ; implicit-def: $vgpr13_vgpr14
	s_wait_alu 0xfffd
	s_delay_alu instid0(VALU_DEP_2) | instskip(NEXT) | instid1(VALU_DEP_1)
	v_add_co_ci_u32_e64 v27, null, v4, v10, vcc_lo
	v_or_b32_e32 v2, s3, v27
	v_ashrrev_i32_e32 v21, 31, v27
	s_delay_alu instid0(VALU_DEP_2)
	v_cmpx_ne_u64_e32 0, v[1:2]
	s_wait_alu 0xfffe
	s_xor_b32 s67, exec_lo, s0
	s_cbranch_execz .LBB47_13
; %bb.12:                               ;   in Loop: Header=BB47_3 Depth=1
	s_ashr_i32 s68, s3, 31
	v_add_co_u32 v2, vcc_lo, v24, v21
	s_wait_alu 0xfffe
	s_mov_b32 s69, s68
	s_wait_alu 0xfffd
	v_add_co_ci_u32_e64 v13, null, v27, v21, vcc_lo
	s_wait_alu 0xfffe
	s_add_nc_u64 s[70:71], s[2:3], s[68:69]
	v_xor_b32_e32 v2, v2, v21
	s_wait_alu 0xfffe
	s_xor_b64 s[70:71], s[70:71], s[68:69]
	v_xor_b32_e32 v22, v13, v21
	s_wait_alu 0xfffe
	s_cvt_f32_u32 s0, s70
	s_cvt_f32_u32 s69, s71
	s_sub_nc_u64 s[78:79], 0, s[70:71]
	s_wait_alu 0xfffe
	s_delay_alu instid0(SALU_CYCLE_1) | instskip(SKIP_1) | instid1(SALU_CYCLE_2)
	s_fmamk_f32 s0, s69, 0x4f800000, s0
	s_wait_alu 0xfffe
	v_s_rcp_f32 s0, s0
	s_delay_alu instid0(TRANS32_DEP_1) | instskip(SKIP_1) | instid1(SALU_CYCLE_2)
	s_mul_f32 s0, s0, 0x5f7ffffc
	s_wait_alu 0xfffe
	s_mul_f32 s69, s0, 0x2f800000
	s_wait_alu 0xfffe
	s_delay_alu instid0(SALU_CYCLE_2) | instskip(SKIP_1) | instid1(SALU_CYCLE_2)
	s_trunc_f32 s69, s69
	s_wait_alu 0xfffe
	s_fmamk_f32 s0, s69, 0xcf800000, s0
	s_cvt_u32_f32 s77, s69
	s_wait_alu 0xfffe
	s_delay_alu instid0(SALU_CYCLE_1) | instskip(NEXT) | instid1(SALU_CYCLE_3)
	s_cvt_u32_f32 s76, s0
	s_mul_u64 s[80:81], s[78:79], s[76:77]
	s_delay_alu instid0(SALU_CYCLE_1)
	s_mul_hi_u32 s83, s76, s81
	s_mul_i32 s82, s76, s81
	s_mul_hi_u32 s0, s76, s80
	s_mul_i32 s75, s77, s80
	s_wait_alu 0xfffe
	s_add_nc_u64 s[82:83], s[0:1], s[82:83]
	s_mul_hi_u32 s69, s77, s80
	s_mul_hi_u32 s84, s77, s81
	s_add_co_u32 s0, s82, s75
	s_wait_alu 0xfffe
	s_add_co_ci_u32 s0, s83, s69
	s_mul_i32 s80, s77, s81
	s_add_co_ci_u32 s81, s84, 0
	s_wait_alu 0xfffe
	s_add_nc_u64 s[80:81], s[0:1], s[80:81]
	s_delay_alu instid0(SALU_CYCLE_1) | instskip(SKIP_4) | instid1(SALU_CYCLE_1)
	s_add_co_u32 s76, s76, s80
	s_cselect_b32 s0, -1, 0
	s_wait_alu 0xfffe
	s_cmp_lg_u32 s0, 0
	s_add_co_ci_u32 s77, s77, s81
	s_mul_u64 s[78:79], s[78:79], s[76:77]
	s_delay_alu instid0(SALU_CYCLE_1)
	s_mul_hi_u32 s81, s76, s79
	s_mul_i32 s80, s76, s79
	s_mul_hi_u32 s0, s76, s78
	s_mul_i32 s75, s77, s78
	s_wait_alu 0xfffe
	s_add_nc_u64 s[80:81], s[0:1], s[80:81]
	s_mul_hi_u32 s69, s77, s78
	s_mul_hi_u32 s82, s77, s79
	s_add_co_u32 s0, s80, s75
	s_wait_alu 0xfffe
	s_add_co_ci_u32 s0, s81, s69
	s_mul_i32 s78, s77, s79
	s_add_co_ci_u32 s79, s82, 0
	s_wait_alu 0xfffe
	s_add_nc_u64 s[78:79], s[0:1], s[78:79]
	s_delay_alu instid0(SALU_CYCLE_1)
	s_add_co_u32 s0, s76, s78
	s_cselect_b32 s69, -1, 0
	s_wait_alu 0xfffe
	v_mul_hi_u32 v25, v2, s0
	s_cmp_lg_u32 s69, 0
	v_mad_co_u64_u32 v[18:19], null, v22, s0, 0
	s_add_co_ci_u32 s69, s77, s79
	s_wait_alu 0xfffe
	v_mad_co_u64_u32 v[13:14], null, v2, s69, 0
	v_mad_co_u64_u32 v[28:29], null, v22, s69, 0
	s_delay_alu instid0(VALU_DEP_2) | instskip(SKIP_1) | instid1(VALU_DEP_3)
	v_add_co_u32 v13, vcc_lo, v25, v13
	s_wait_alu 0xfffd
	v_add_co_ci_u32_e64 v14, null, 0, v14, vcc_lo
	s_delay_alu instid0(VALU_DEP_2) | instskip(SKIP_1) | instid1(VALU_DEP_2)
	v_add_co_u32 v13, vcc_lo, v13, v18
	s_wait_alu 0xfffd
	v_add_co_ci_u32_e32 v13, vcc_lo, v14, v19, vcc_lo
	s_wait_alu 0xfffd
	v_add_co_ci_u32_e32 v14, vcc_lo, 0, v29, vcc_lo
	s_delay_alu instid0(VALU_DEP_2) | instskip(SKIP_1) | instid1(VALU_DEP_2)
	v_add_co_u32 v18, vcc_lo, v13, v28
	s_wait_alu 0xfffd
	v_add_co_ci_u32_e64 v19, null, 0, v14, vcc_lo
	s_delay_alu instid0(VALU_DEP_2) | instskip(SKIP_1) | instid1(VALU_DEP_3)
	v_mul_lo_u32 v25, s71, v18
	v_mad_co_u64_u32 v[13:14], null, s70, v18, 0
	v_mul_lo_u32 v28, s70, v19
	s_delay_alu instid0(VALU_DEP_2) | instskip(NEXT) | instid1(VALU_DEP_2)
	v_sub_co_u32 v2, vcc_lo, v2, v13
	v_add3_u32 v14, v14, v28, v25
	s_delay_alu instid0(VALU_DEP_1) | instskip(SKIP_2) | instid1(VALU_DEP_2)
	v_sub_nc_u32_e32 v25, v22, v14
	s_wait_alu 0xfffd
	v_sub_co_ci_u32_e64 v14, null, v22, v14, vcc_lo
	v_subrev_co_ci_u32_e64 v13, null, s71, v25, vcc_lo
	v_add_co_u32 v25, s0, v18, 2
	s_wait_alu 0xf1ff
	v_add_co_ci_u32_e64 v28, null, 0, v19, s0
	v_sub_co_u32 v29, s0, v2, s70
	s_wait_alu 0xf1ff
	v_subrev_co_ci_u32_e64 v13, null, 0, v13, s0
	s_delay_alu instid0(VALU_DEP_2) | instskip(SKIP_2) | instid1(VALU_DEP_3)
	v_cmp_le_u32_e32 vcc_lo, s70, v29
	s_wait_alu 0xfffd
	v_cndmask_b32_e64 v22, 0, -1, vcc_lo
	v_cmp_le_u32_e32 vcc_lo, s71, v13
	s_wait_alu 0xfffd
	v_cndmask_b32_e64 v29, 0, -1, vcc_lo
	;; [unrolled: 3-line block ×4, first 2 shown]
	v_cmp_eq_u32_e32 vcc_lo, s71, v13
	s_wait_alu 0xfffd
	v_cndmask_b32_e32 v13, v29, v22, vcc_lo
	v_add_co_u32 v22, vcc_lo, v18, 1
	s_wait_alu 0xfffd
	v_add_co_ci_u32_e64 v29, null, 0, v19, vcc_lo
	v_cmp_eq_u32_e32 vcc_lo, s71, v14
	v_xor_b32_e32 v14, s68, v21
	s_wait_alu 0xfffd
	v_cndmask_b32_e32 v2, v30, v2, vcc_lo
	v_cmp_ne_u32_e32 vcc_lo, 0, v13
	s_wait_alu 0xfffd
	v_cndmask_b32_e32 v13, v29, v28, vcc_lo
	s_delay_alu instid0(VALU_DEP_3) | instskip(SKIP_2) | instid1(VALU_DEP_2)
	v_cmp_ne_u32_e64 s0, 0, v2
	v_cndmask_b32_e32 v2, v22, v25, vcc_lo
	s_wait_alu 0xf1ff
	v_cndmask_b32_e64 v13, v19, v13, s0
	s_delay_alu instid0(VALU_DEP_2) | instskip(NEXT) | instid1(VALU_DEP_2)
	v_cndmask_b32_e64 v2, v18, v2, s0
	v_xor_b32_e32 v18, v13, v14
	s_delay_alu instid0(VALU_DEP_2) | instskip(NEXT) | instid1(VALU_DEP_1)
	v_xor_b32_e32 v2, v2, v14
	v_sub_co_u32 v13, vcc_lo, v2, v14
	s_wait_alu 0xfffd
	s_delay_alu instid0(VALU_DEP_3)
	v_sub_co_ci_u32_e64 v14, null, v18, v14, vcc_lo
.LBB47_13:                              ;   in Loop: Header=BB47_3 Depth=1
	s_wait_alu 0xfffe
	s_and_not1_saveexec_b32 s0, s67
	s_cbranch_execz .LBB47_15
; %bb.14:                               ;   in Loop: Header=BB47_3 Depth=1
	s_sub_co_i32 s67, 0, s2
	s_wait_alu 0xfffe
	v_mul_lo_u32 v2, s67, v15
	s_delay_alu instid0(VALU_DEP_1) | instskip(NEXT) | instid1(VALU_DEP_1)
	v_mul_hi_u32 v2, v15, v2
	v_add_nc_u32_e32 v2, v15, v2
	s_delay_alu instid0(VALU_DEP_1) | instskip(NEXT) | instid1(VALU_DEP_1)
	v_mul_hi_u32 v2, v24, v2
	v_mul_lo_u32 v13, v2, s2
	v_add_nc_u32_e32 v14, 1, v2
	s_delay_alu instid0(VALU_DEP_2) | instskip(NEXT) | instid1(VALU_DEP_1)
	v_sub_nc_u32_e32 v13, v24, v13
	v_subrev_nc_u32_e32 v18, s2, v13
	v_cmp_le_u32_e32 vcc_lo, s2, v13
	s_wait_alu 0xfffd
	s_delay_alu instid0(VALU_DEP_2) | instskip(SKIP_1) | instid1(VALU_DEP_2)
	v_cndmask_b32_e32 v13, v13, v18, vcc_lo
	v_cndmask_b32_e32 v2, v2, v14, vcc_lo
	v_cmp_le_u32_e32 vcc_lo, s2, v13
	s_delay_alu instid0(VALU_DEP_2) | instskip(SKIP_1) | instid1(VALU_DEP_1)
	v_add_nc_u32_e32 v14, 1, v2
	s_wait_alu 0xfffd
	v_dual_cndmask_b32 v13, v2, v14 :: v_dual_mov_b32 v14, v1
.LBB47_15:                              ;   in Loop: Header=BB47_3 Depth=1
	s_wait_alu 0xfffe
	s_or_b32 exec_lo, exec_lo, s0
	s_delay_alu instid0(VALU_DEP_1) | instskip(NEXT) | instid1(VALU_DEP_2)
	v_mul_lo_u32 v2, v14, s2
	v_mul_lo_u32 v22, v13, s3
	v_mad_co_u64_u32 v[18:19], null, v13, s2, 0
	v_mul_lo_u32 v25, v13, s9
	s_mov_b32 s0, exec_lo
	s_delay_alu instid0(VALU_DEP_2) | instskip(SKIP_1) | instid1(VALU_DEP_4)
	v_add3_u32 v2, v19, v22, v2
	v_mul_lo_u32 v22, v14, s8
	v_sub_co_u32 v14, vcc_lo, v9, v18
	s_wait_alu 0xfffd
	s_delay_alu instid0(VALU_DEP_3) | instskip(NEXT) | instid1(VALU_DEP_2)
	v_sub_co_ci_u32_e64 v2, null, v10, v2, vcc_lo
	v_add_co_u32 v18, vcc_lo, v3, v14
	v_mad_co_u64_u32 v[13:14], null, v13, s8, 0
	s_wait_alu 0xfffd
	s_delay_alu instid0(VALU_DEP_3) | instskip(NEXT) | instid1(VALU_DEP_3)
	v_add_co_ci_u32_e64 v2, null, v4, v2, vcc_lo
	v_mul_lo_u32 v28, v18, s11
	v_mad_co_u64_u32 v[18:19], null, v18, s10, 0
	s_delay_alu instid0(VALU_DEP_3) | instskip(SKIP_1) | instid1(VALU_DEP_1)
	v_mul_lo_u32 v2, v2, s10
	v_add3_u32 v14, v14, v25, v22
	v_lshlrev_b64_e32 v[13:14], 1, v[13:14]
	s_delay_alu instid0(VALU_DEP_3) | instskip(NEXT) | instid1(VALU_DEP_2)
	v_add3_u32 v19, v19, v28, v2
	v_add_co_u32 v2, vcc_lo, s28, v13
	s_delay_alu instid0(VALU_DEP_2) | instskip(SKIP_1) | instid1(VALU_DEP_4)
	v_lshlrev_b64_e32 v[18:19], 1, v[18:19]
	s_wait_alu 0xfffd
	v_add_co_ci_u32_e64 v14, null, s29, v14, vcc_lo
	s_delay_alu instid0(VALU_DEP_2) | instskip(SKIP_1) | instid1(VALU_DEP_2)
	v_add_co_u32 v13, vcc_lo, v2, v18
	s_wait_alu 0xfffd
	v_add_co_ci_u32_e64 v14, null, v14, v19, vcc_lo
	v_add_co_u32 v2, vcc_lo, v11, 2
	s_wait_alu 0xfffd
	v_add_co_ci_u32_e64 v11, null, 0, v12, vcc_lo
	global_load_u16 v18, v[13:14], off
	v_mul_lo_u32 v13, s5, v2
	v_mul_lo_u32 v14, s4, v11
	v_mad_co_u64_u32 v[11:12], null, s4, v2, 0
	s_delay_alu instid0(VALU_DEP_1) | instskip(NEXT) | instid1(VALU_DEP_2)
	v_add3_u32 v12, v12, v14, v13
	v_add_co_u32 v25, vcc_lo, v3, v11
                                        ; implicit-def: $vgpr13_vgpr14
	s_wait_alu 0xfffd
	s_delay_alu instid0(VALU_DEP_2) | instskip(NEXT) | instid1(VALU_DEP_1)
	v_add_co_ci_u32_e64 v28, null, v4, v12, vcc_lo
	v_or_b32_e32 v2, s3, v28
	v_ashrrev_i32_e32 v22, 31, v28
	s_delay_alu instid0(VALU_DEP_2)
	v_cmpx_ne_u64_e32 0, v[1:2]
	s_wait_alu 0xfffe
	s_xor_b32 s67, exec_lo, s0
	s_cbranch_execz .LBB47_17
; %bb.16:                               ;   in Loop: Header=BB47_3 Depth=1
	s_ashr_i32 s68, s3, 31
	v_add_co_u32 v2, vcc_lo, v25, v22
	s_wait_alu 0xfffe
	s_mov_b32 s69, s68
	s_wait_alu 0xfffd
	v_add_co_ci_u32_e64 v13, null, v28, v22, vcc_lo
	s_wait_alu 0xfffe
	s_add_nc_u64 s[70:71], s[2:3], s[68:69]
	v_xor_b32_e32 v2, v2, v22
	s_wait_alu 0xfffe
	s_xor_b64 s[70:71], s[70:71], s[68:69]
	v_xor_b32_e32 v19, v13, v22
	s_wait_alu 0xfffe
	s_cvt_f32_u32 s0, s70
	s_cvt_f32_u32 s69, s71
	s_sub_nc_u64 s[78:79], 0, s[70:71]
	s_wait_alu 0xfffe
	s_delay_alu instid0(SALU_CYCLE_1) | instskip(SKIP_1) | instid1(SALU_CYCLE_2)
	s_fmamk_f32 s0, s69, 0x4f800000, s0
	s_wait_alu 0xfffe
	v_s_rcp_f32 s0, s0
	s_delay_alu instid0(TRANS32_DEP_1) | instskip(SKIP_1) | instid1(SALU_CYCLE_2)
	s_mul_f32 s0, s0, 0x5f7ffffc
	s_wait_alu 0xfffe
	s_mul_f32 s69, s0, 0x2f800000
	s_wait_alu 0xfffe
	s_delay_alu instid0(SALU_CYCLE_2) | instskip(SKIP_1) | instid1(SALU_CYCLE_2)
	s_trunc_f32 s69, s69
	s_wait_alu 0xfffe
	s_fmamk_f32 s0, s69, 0xcf800000, s0
	s_cvt_u32_f32 s77, s69
	s_wait_alu 0xfffe
	s_delay_alu instid0(SALU_CYCLE_1) | instskip(NEXT) | instid1(SALU_CYCLE_3)
	s_cvt_u32_f32 s76, s0
	s_mul_u64 s[80:81], s[78:79], s[76:77]
	s_delay_alu instid0(SALU_CYCLE_1)
	s_mul_hi_u32 s83, s76, s81
	s_mul_i32 s82, s76, s81
	s_mul_hi_u32 s0, s76, s80
	s_mul_i32 s75, s77, s80
	s_wait_alu 0xfffe
	s_add_nc_u64 s[82:83], s[0:1], s[82:83]
	s_mul_hi_u32 s69, s77, s80
	s_mul_hi_u32 s84, s77, s81
	s_add_co_u32 s0, s82, s75
	s_wait_alu 0xfffe
	s_add_co_ci_u32 s0, s83, s69
	s_mul_i32 s80, s77, s81
	s_add_co_ci_u32 s81, s84, 0
	s_wait_alu 0xfffe
	s_add_nc_u64 s[80:81], s[0:1], s[80:81]
	s_delay_alu instid0(SALU_CYCLE_1) | instskip(SKIP_4) | instid1(SALU_CYCLE_1)
	s_add_co_u32 s76, s76, s80
	s_cselect_b32 s0, -1, 0
	s_wait_alu 0xfffe
	s_cmp_lg_u32 s0, 0
	s_add_co_ci_u32 s77, s77, s81
	s_mul_u64 s[78:79], s[78:79], s[76:77]
	s_delay_alu instid0(SALU_CYCLE_1)
	s_mul_hi_u32 s81, s76, s79
	s_mul_i32 s80, s76, s79
	s_mul_hi_u32 s0, s76, s78
	s_mul_i32 s75, s77, s78
	s_wait_alu 0xfffe
	s_add_nc_u64 s[80:81], s[0:1], s[80:81]
	s_mul_hi_u32 s69, s77, s78
	s_mul_hi_u32 s82, s77, s79
	s_add_co_u32 s0, s80, s75
	s_wait_alu 0xfffe
	s_add_co_ci_u32 s0, s81, s69
	s_mul_i32 s78, s77, s79
	s_add_co_ci_u32 s79, s82, 0
	s_wait_alu 0xfffe
	s_add_nc_u64 s[78:79], s[0:1], s[78:79]
	s_delay_alu instid0(SALU_CYCLE_1)
	s_add_co_u32 s0, s76, s78
	s_cselect_b32 s69, -1, 0
	s_wait_alu 0xfffe
	v_mul_hi_u32 v33, v2, s0
	s_cmp_lg_u32 s69, 0
	v_mad_co_u64_u32 v[29:30], null, v19, s0, 0
	s_add_co_ci_u32 s69, s77, s79
	s_wait_alu 0xfffe
	v_mad_co_u64_u32 v[13:14], null, v2, s69, 0
	v_mad_co_u64_u32 v[31:32], null, v19, s69, 0
	s_delay_alu instid0(VALU_DEP_2) | instskip(SKIP_1) | instid1(VALU_DEP_3)
	v_add_co_u32 v13, vcc_lo, v33, v13
	s_wait_alu 0xfffd
	v_add_co_ci_u32_e64 v14, null, 0, v14, vcc_lo
	s_delay_alu instid0(VALU_DEP_2) | instskip(SKIP_1) | instid1(VALU_DEP_2)
	v_add_co_u32 v13, vcc_lo, v13, v29
	s_wait_alu 0xfffd
	v_add_co_ci_u32_e32 v13, vcc_lo, v14, v30, vcc_lo
	s_wait_alu 0xfffd
	v_add_co_ci_u32_e32 v14, vcc_lo, 0, v32, vcc_lo
	s_delay_alu instid0(VALU_DEP_2) | instskip(SKIP_1) | instid1(VALU_DEP_2)
	v_add_co_u32 v29, vcc_lo, v13, v31
	s_wait_alu 0xfffd
	v_add_co_ci_u32_e64 v30, null, 0, v14, vcc_lo
	s_delay_alu instid0(VALU_DEP_2) | instskip(SKIP_1) | instid1(VALU_DEP_3)
	v_mul_lo_u32 v31, s71, v29
	v_mad_co_u64_u32 v[13:14], null, s70, v29, 0
	v_mul_lo_u32 v32, s70, v30
	s_delay_alu instid0(VALU_DEP_2) | instskip(NEXT) | instid1(VALU_DEP_2)
	v_sub_co_u32 v2, vcc_lo, v2, v13
	v_add3_u32 v14, v14, v32, v31
	s_delay_alu instid0(VALU_DEP_1) | instskip(SKIP_2) | instid1(VALU_DEP_2)
	v_sub_nc_u32_e32 v31, v19, v14
	s_wait_alu 0xfffd
	v_sub_co_ci_u32_e64 v14, null, v19, v14, vcc_lo
	v_subrev_co_ci_u32_e64 v13, null, s71, v31, vcc_lo
	v_add_co_u32 v31, s0, v29, 2
	s_wait_alu 0xf1ff
	v_add_co_ci_u32_e64 v32, null, 0, v30, s0
	v_sub_co_u32 v33, s0, v2, s70
	s_wait_alu 0xf1ff
	v_subrev_co_ci_u32_e64 v13, null, 0, v13, s0
	s_delay_alu instid0(VALU_DEP_2) | instskip(SKIP_2) | instid1(VALU_DEP_3)
	v_cmp_le_u32_e32 vcc_lo, s70, v33
	s_wait_alu 0xfffd
	v_cndmask_b32_e64 v19, 0, -1, vcc_lo
	v_cmp_le_u32_e32 vcc_lo, s71, v13
	s_wait_alu 0xfffd
	v_cndmask_b32_e64 v33, 0, -1, vcc_lo
	;; [unrolled: 3-line block ×4, first 2 shown]
	v_cmp_eq_u32_e32 vcc_lo, s71, v13
	s_wait_alu 0xfffd
	v_cndmask_b32_e32 v13, v33, v19, vcc_lo
	v_add_co_u32 v19, vcc_lo, v29, 1
	s_wait_alu 0xfffd
	v_add_co_ci_u32_e64 v33, null, 0, v30, vcc_lo
	v_cmp_eq_u32_e32 vcc_lo, s71, v14
	v_xor_b32_e32 v14, s68, v22
	s_wait_alu 0xfffd
	v_cndmask_b32_e32 v2, v34, v2, vcc_lo
	v_cmp_ne_u32_e32 vcc_lo, 0, v13
	s_delay_alu instid0(VALU_DEP_2) | instskip(SKIP_3) | instid1(VALU_DEP_1)
	v_cmp_ne_u32_e64 s0, 0, v2
	s_wait_alu 0xfffd
	v_dual_cndmask_b32 v13, v33, v32 :: v_dual_cndmask_b32 v2, v19, v31
	s_wait_alu 0xf1ff
	v_cndmask_b32_e64 v13, v30, v13, s0
	s_delay_alu instid0(VALU_DEP_2) | instskip(NEXT) | instid1(VALU_DEP_2)
	v_cndmask_b32_e64 v2, v29, v2, s0
	v_xor_b32_e32 v19, v13, v14
	s_delay_alu instid0(VALU_DEP_2) | instskip(NEXT) | instid1(VALU_DEP_1)
	v_xor_b32_e32 v2, v2, v14
	v_sub_co_u32 v13, vcc_lo, v2, v14
	s_wait_alu 0xfffd
	s_delay_alu instid0(VALU_DEP_3)
	v_sub_co_ci_u32_e64 v14, null, v19, v14, vcc_lo
.LBB47_17:                              ;   in Loop: Header=BB47_3 Depth=1
	s_wait_alu 0xfffe
	s_and_not1_saveexec_b32 s0, s67
	s_cbranch_execz .LBB47_19
; %bb.18:                               ;   in Loop: Header=BB47_3 Depth=1
	s_sub_co_i32 s67, 0, s2
	s_wait_alu 0xfffe
	v_mul_lo_u32 v2, s67, v15
	s_delay_alu instid0(VALU_DEP_1) | instskip(NEXT) | instid1(VALU_DEP_1)
	v_mul_hi_u32 v2, v15, v2
	v_add_nc_u32_e32 v2, v15, v2
	s_delay_alu instid0(VALU_DEP_1) | instskip(NEXT) | instid1(VALU_DEP_1)
	v_mul_hi_u32 v2, v25, v2
	v_mul_lo_u32 v13, v2, s2
	v_add_nc_u32_e32 v14, 1, v2
	s_delay_alu instid0(VALU_DEP_2) | instskip(NEXT) | instid1(VALU_DEP_1)
	v_sub_nc_u32_e32 v13, v25, v13
	v_subrev_nc_u32_e32 v19, s2, v13
	v_cmp_le_u32_e32 vcc_lo, s2, v13
	s_wait_alu 0xfffd
	s_delay_alu instid0(VALU_DEP_2) | instskip(NEXT) | instid1(VALU_DEP_1)
	v_dual_cndmask_b32 v13, v13, v19 :: v_dual_cndmask_b32 v2, v2, v14
	v_cmp_le_u32_e32 vcc_lo, s2, v13
	s_delay_alu instid0(VALU_DEP_2) | instskip(SKIP_1) | instid1(VALU_DEP_1)
	v_add_nc_u32_e32 v14, 1, v2
	s_wait_alu 0xfffd
	v_dual_cndmask_b32 v13, v2, v14 :: v_dual_mov_b32 v14, v1
.LBB47_19:                              ;   in Loop: Header=BB47_3 Depth=1
	s_wait_alu 0xfffe
	s_or_b32 exec_lo, exec_lo, s0
	s_delay_alu instid0(VALU_DEP_1) | instskip(NEXT) | instid1(VALU_DEP_2)
	v_mul_lo_u32 v2, v14, s2
	v_mul_lo_u32 v19, v13, s3
	v_mad_co_u64_u32 v[29:30], null, v13, s2, 0
	v_mul_lo_u32 v31, v13, s9
	s_mov_b32 s0, exec_lo
	s_delay_alu instid0(VALU_DEP_2) | instskip(SKIP_1) | instid1(VALU_DEP_4)
	v_add3_u32 v2, v30, v19, v2
	v_mul_lo_u32 v19, v14, s8
	v_sub_co_u32 v14, vcc_lo, v11, v29
	s_wait_alu 0xfffd
	s_delay_alu instid0(VALU_DEP_3) | instskip(NEXT) | instid1(VALU_DEP_2)
	v_sub_co_ci_u32_e64 v2, null, v12, v2, vcc_lo
	v_add_co_u32 v29, vcc_lo, v3, v14
	v_mad_co_u64_u32 v[13:14], null, v13, s8, 0
	s_wait_alu 0xfffd
	s_delay_alu instid0(VALU_DEP_3) | instskip(NEXT) | instid1(VALU_DEP_3)
	v_add_co_ci_u32_e64 v2, null, v4, v2, vcc_lo
	v_mul_lo_u32 v32, v29, s11
	v_mad_co_u64_u32 v[29:30], null, v29, s10, 0
	s_delay_alu instid0(VALU_DEP_3) | instskip(SKIP_1) | instid1(VALU_DEP_1)
	v_mul_lo_u32 v2, v2, s10
	v_add3_u32 v14, v14, v31, v19
	v_lshlrev_b64_e32 v[13:14], 1, v[13:14]
	s_delay_alu instid0(VALU_DEP_3) | instskip(NEXT) | instid1(VALU_DEP_2)
	v_add3_u32 v30, v30, v32, v2
	v_add_co_u32 v2, vcc_lo, s28, v13
	s_delay_alu instid0(VALU_DEP_2) | instskip(SKIP_1) | instid1(VALU_DEP_4)
	v_lshlrev_b64_e32 v[29:30], 1, v[29:30]
	s_wait_alu 0xfffd
	v_add_co_ci_u32_e64 v14, null, s29, v14, vcc_lo
	s_delay_alu instid0(VALU_DEP_2) | instskip(SKIP_1) | instid1(VALU_DEP_2)
	v_add_co_u32 v13, vcc_lo, v2, v29
	s_wait_alu 0xfffd
	v_add_co_ci_u32_e64 v14, null, v14, v30, vcc_lo
	v_or_b32_e32 v2, s37, v26
	global_load_u16 v19, v[13:14], off
                                        ; implicit-def: $vgpr13_vgpr14
	v_cmpx_ne_u64_e32 0, v[1:2]
	s_wait_alu 0xfffe
	s_xor_b32 s67, exec_lo, s0
	s_cbranch_execz .LBB47_21
; %bb.20:                               ;   in Loop: Header=BB47_3 Depth=1
	s_ashr_i32 s68, s37, 31
	v_add_co_u32 v2, vcc_lo, v23, v20
	s_wait_alu 0xfffe
	s_mov_b32 s69, s68
	s_wait_alu 0xfffd
	v_add_co_ci_u32_e64 v13, null, v26, v20, vcc_lo
	s_wait_alu 0xfffe
	s_add_nc_u64 s[70:71], s[36:37], s[68:69]
	v_xor_b32_e32 v2, v2, v20
	s_wait_alu 0xfffe
	s_xor_b64 s[70:71], s[70:71], s[68:69]
	v_xor_b32_e32 v23, v13, v20
	s_wait_alu 0xfffe
	s_cvt_f32_u32 s0, s70
	s_cvt_f32_u32 s69, s71
	s_sub_nc_u64 s[78:79], 0, s[70:71]
	s_wait_alu 0xfffe
	s_delay_alu instid0(SALU_CYCLE_1) | instskip(SKIP_1) | instid1(SALU_CYCLE_2)
	s_fmamk_f32 s0, s69, 0x4f800000, s0
	s_wait_alu 0xfffe
	v_s_rcp_f32 s0, s0
	s_delay_alu instid0(TRANS32_DEP_1) | instskip(SKIP_1) | instid1(SALU_CYCLE_2)
	s_mul_f32 s0, s0, 0x5f7ffffc
	s_wait_alu 0xfffe
	s_mul_f32 s69, s0, 0x2f800000
	s_wait_alu 0xfffe
	s_delay_alu instid0(SALU_CYCLE_2) | instskip(SKIP_1) | instid1(SALU_CYCLE_2)
	s_trunc_f32 s69, s69
	s_wait_alu 0xfffe
	s_fmamk_f32 s0, s69, 0xcf800000, s0
	s_cvt_u32_f32 s77, s69
	s_wait_alu 0xfffe
	s_delay_alu instid0(SALU_CYCLE_1) | instskip(NEXT) | instid1(SALU_CYCLE_3)
	s_cvt_u32_f32 s76, s0
	s_mul_u64 s[80:81], s[78:79], s[76:77]
	s_delay_alu instid0(SALU_CYCLE_1)
	s_mul_hi_u32 s83, s76, s81
	s_mul_i32 s82, s76, s81
	s_mul_hi_u32 s0, s76, s80
	s_mul_i32 s75, s77, s80
	s_wait_alu 0xfffe
	s_add_nc_u64 s[82:83], s[0:1], s[82:83]
	s_mul_hi_u32 s69, s77, s80
	s_mul_hi_u32 s84, s77, s81
	s_add_co_u32 s0, s82, s75
	s_wait_alu 0xfffe
	s_add_co_ci_u32 s0, s83, s69
	s_mul_i32 s80, s77, s81
	s_add_co_ci_u32 s81, s84, 0
	s_wait_alu 0xfffe
	s_add_nc_u64 s[80:81], s[0:1], s[80:81]
	s_delay_alu instid0(SALU_CYCLE_1) | instskip(SKIP_4) | instid1(SALU_CYCLE_1)
	s_add_co_u32 s76, s76, s80
	s_cselect_b32 s0, -1, 0
	s_wait_alu 0xfffe
	s_cmp_lg_u32 s0, 0
	s_add_co_ci_u32 s77, s77, s81
	s_mul_u64 s[78:79], s[78:79], s[76:77]
	s_delay_alu instid0(SALU_CYCLE_1)
	s_mul_hi_u32 s81, s76, s79
	s_mul_i32 s80, s76, s79
	s_mul_hi_u32 s0, s76, s78
	s_mul_i32 s75, s77, s78
	s_wait_alu 0xfffe
	s_add_nc_u64 s[80:81], s[0:1], s[80:81]
	s_mul_hi_u32 s69, s77, s78
	s_mul_hi_u32 s82, s77, s79
	s_add_co_u32 s0, s80, s75
	s_wait_alu 0xfffe
	s_add_co_ci_u32 s0, s81, s69
	s_mul_i32 s78, s77, s79
	s_add_co_ci_u32 s79, s82, 0
	s_wait_alu 0xfffe
	s_add_nc_u64 s[78:79], s[0:1], s[78:79]
	s_delay_alu instid0(SALU_CYCLE_1)
	s_add_co_u32 s0, s76, s78
	s_cselect_b32 s69, -1, 0
	s_wait_alu 0xfffe
	v_mul_hi_u32 v26, v2, s0
	s_cmp_lg_u32 s69, 0
	v_mad_co_u64_u32 v[29:30], null, v23, s0, 0
	s_add_co_ci_u32 s69, s77, s79
	s_wait_alu 0xfffe
	v_mad_co_u64_u32 v[13:14], null, v2, s69, 0
	v_mad_co_u64_u32 v[31:32], null, v23, s69, 0
	s_delay_alu instid0(VALU_DEP_2) | instskip(SKIP_1) | instid1(VALU_DEP_3)
	v_add_co_u32 v13, vcc_lo, v26, v13
	s_wait_alu 0xfffd
	v_add_co_ci_u32_e64 v14, null, 0, v14, vcc_lo
	s_delay_alu instid0(VALU_DEP_2) | instskip(SKIP_1) | instid1(VALU_DEP_2)
	v_add_co_u32 v13, vcc_lo, v13, v29
	s_wait_alu 0xfffd
	v_add_co_ci_u32_e32 v13, vcc_lo, v14, v30, vcc_lo
	s_wait_alu 0xfffd
	v_add_co_ci_u32_e32 v14, vcc_lo, 0, v32, vcc_lo
	s_delay_alu instid0(VALU_DEP_2) | instskip(SKIP_1) | instid1(VALU_DEP_2)
	v_add_co_u32 v26, vcc_lo, v13, v31
	s_wait_alu 0xfffd
	v_add_co_ci_u32_e64 v29, null, 0, v14, vcc_lo
	s_delay_alu instid0(VALU_DEP_2) | instskip(SKIP_1) | instid1(VALU_DEP_3)
	v_mul_lo_u32 v30, s71, v26
	v_mad_co_u64_u32 v[13:14], null, s70, v26, 0
	v_mul_lo_u32 v31, s70, v29
	s_delay_alu instid0(VALU_DEP_2) | instskip(NEXT) | instid1(VALU_DEP_2)
	v_sub_co_u32 v2, vcc_lo, v2, v13
	v_add3_u32 v14, v14, v31, v30
	s_delay_alu instid0(VALU_DEP_1) | instskip(SKIP_2) | instid1(VALU_DEP_2)
	v_sub_nc_u32_e32 v30, v23, v14
	s_wait_alu 0xfffd
	v_sub_co_ci_u32_e64 v14, null, v23, v14, vcc_lo
	v_subrev_co_ci_u32_e64 v13, null, s71, v30, vcc_lo
	v_add_co_u32 v30, s0, v26, 2
	s_wait_alu 0xf1ff
	v_add_co_ci_u32_e64 v31, null, 0, v29, s0
	v_sub_co_u32 v32, s0, v2, s70
	s_wait_alu 0xf1ff
	v_subrev_co_ci_u32_e64 v13, null, 0, v13, s0
	s_delay_alu instid0(VALU_DEP_2) | instskip(SKIP_2) | instid1(VALU_DEP_3)
	v_cmp_le_u32_e32 vcc_lo, s70, v32
	s_wait_alu 0xfffd
	v_cndmask_b32_e64 v23, 0, -1, vcc_lo
	v_cmp_le_u32_e32 vcc_lo, s71, v13
	s_wait_alu 0xfffd
	v_cndmask_b32_e64 v32, 0, -1, vcc_lo
	;; [unrolled: 3-line block ×4, first 2 shown]
	v_cmp_eq_u32_e32 vcc_lo, s71, v13
	s_wait_alu 0xfffd
	v_cndmask_b32_e32 v13, v32, v23, vcc_lo
	v_add_co_u32 v23, vcc_lo, v26, 1
	s_wait_alu 0xfffd
	v_add_co_ci_u32_e64 v32, null, 0, v29, vcc_lo
	v_cmp_eq_u32_e32 vcc_lo, s71, v14
	v_xor_b32_e32 v14, s68, v20
	s_wait_alu 0xfffd
	v_cndmask_b32_e32 v2, v33, v2, vcc_lo
	v_cmp_ne_u32_e32 vcc_lo, 0, v13
	s_delay_alu instid0(VALU_DEP_2) | instskip(SKIP_3) | instid1(VALU_DEP_1)
	v_cmp_ne_u32_e64 s0, 0, v2
	s_wait_alu 0xfffd
	v_dual_cndmask_b32 v13, v32, v31 :: v_dual_cndmask_b32 v2, v23, v30
                                        ; implicit-def: $vgpr23
	s_wait_alu 0xf1ff
	v_cndmask_b32_e64 v13, v29, v13, s0
	s_delay_alu instid0(VALU_DEP_2) | instskip(NEXT) | instid1(VALU_DEP_2)
	v_cndmask_b32_e64 v2, v26, v2, s0
	v_xor_b32_e32 v20, v13, v14
	s_delay_alu instid0(VALU_DEP_2) | instskip(NEXT) | instid1(VALU_DEP_1)
	v_xor_b32_e32 v2, v2, v14
	v_sub_co_u32 v13, vcc_lo, v2, v14
	s_wait_alu 0xfffd
	s_delay_alu instid0(VALU_DEP_3)
	v_sub_co_ci_u32_e64 v14, null, v20, v14, vcc_lo
.LBB47_21:                              ;   in Loop: Header=BB47_3 Depth=1
	s_wait_alu 0xfffe
	s_or_saveexec_b32 s0, s67
	v_cvt_f32_u32_e32 v20, s36
	s_wait_alu 0xfffe
	s_xor_b32 exec_lo, exec_lo, s0
	s_cbranch_execz .LBB47_23
; %bb.22:                               ;   in Loop: Header=BB47_3 Depth=1
	s_delay_alu instid0(VALU_DEP_1) | instskip(SKIP_1) | instid1(TRANS32_DEP_1)
	v_rcp_iflag_f32_e32 v2, v20
	s_sub_co_i32 s67, 0, s36
	v_mul_f32_e32 v2, 0x4f7ffffe, v2
	s_delay_alu instid0(VALU_DEP_1) | instskip(SKIP_1) | instid1(VALU_DEP_1)
	v_cvt_u32_f32_e32 v2, v2
	s_wait_alu 0xfffe
	v_mul_lo_u32 v13, s67, v2
	s_delay_alu instid0(VALU_DEP_1) | instskip(NEXT) | instid1(VALU_DEP_1)
	v_mul_hi_u32 v13, v2, v13
	v_add_nc_u32_e32 v2, v2, v13
	s_delay_alu instid0(VALU_DEP_1) | instskip(NEXT) | instid1(VALU_DEP_1)
	v_mul_hi_u32 v2, v23, v2
	v_mul_lo_u32 v13, v2, s36
	v_add_nc_u32_e32 v14, 1, v2
	s_delay_alu instid0(VALU_DEP_2) | instskip(NEXT) | instid1(VALU_DEP_1)
	v_sub_nc_u32_e32 v13, v23, v13
	v_subrev_nc_u32_e32 v23, s36, v13
	v_cmp_le_u32_e32 vcc_lo, s36, v13
	s_wait_alu 0xfffd
	s_delay_alu instid0(VALU_DEP_2) | instskip(NEXT) | instid1(VALU_DEP_1)
	v_dual_cndmask_b32 v13, v13, v23 :: v_dual_cndmask_b32 v2, v2, v14
	v_cmp_le_u32_e32 vcc_lo, s36, v13
	s_delay_alu instid0(VALU_DEP_2) | instskip(SKIP_1) | instid1(VALU_DEP_1)
	v_add_nc_u32_e32 v14, 1, v2
	s_wait_alu 0xfffd
	v_dual_cndmask_b32 v13, v2, v14 :: v_dual_mov_b32 v14, v1
.LBB47_23:                              ;   in Loop: Header=BB47_3 Depth=1
	s_or_b32 exec_lo, exec_lo, s0
	s_delay_alu instid0(VALU_DEP_1) | instskip(NEXT) | instid1(VALU_DEP_2)
	v_mul_lo_u32 v2, v14, s36
	v_mul_lo_u32 v23, v13, s37
	v_mad_co_u64_u32 v[29:30], null, v13, s36, 0
	v_mul_lo_u32 v26, v13, s13
	s_mov_b32 s0, exec_lo
	s_delay_alu instid0(VALU_DEP_2) | instskip(NEXT) | instid1(VALU_DEP_3)
	v_add3_u32 v2, v30, v23, v2
	v_sub_co_u32 v7, vcc_lo, v7, v29
	v_mul_lo_u32 v23, v14, s12
	s_wait_alu 0xfffd
	s_delay_alu instid0(VALU_DEP_3) | instskip(NEXT) | instid1(VALU_DEP_3)
	v_sub_co_ci_u32_e64 v2, null, v8, v2, vcc_lo
	v_add_co_u32 v14, vcc_lo, v3, v7
	v_mad_co_u64_u32 v[7:8], null, v13, s12, 0
	s_wait_alu 0xfffd
	s_delay_alu instid0(VALU_DEP_3) | instskip(NEXT) | instid1(VALU_DEP_3)
	v_add_co_ci_u32_e64 v2, null, v4, v2, vcc_lo
	v_mul_lo_u32 v29, v14, s15
	v_mad_co_u64_u32 v[13:14], null, v14, s14, 0
	s_delay_alu instid0(VALU_DEP_3) | instskip(SKIP_1) | instid1(VALU_DEP_1)
	v_mul_lo_u32 v2, v2, s14
	v_add3_u32 v8, v8, v26, v23
	v_lshlrev_b64_e32 v[7:8], 1, v[7:8]
	s_delay_alu instid0(VALU_DEP_3) | instskip(NEXT) | instid1(VALU_DEP_2)
	v_add3_u32 v14, v14, v29, v2
	v_add_co_u32 v2, vcc_lo, s30, v7
	s_delay_alu instid0(VALU_DEP_2) | instskip(SKIP_1) | instid1(VALU_DEP_4)
	v_lshlrev_b64_e32 v[13:14], 1, v[13:14]
	s_wait_alu 0xfffd
	v_add_co_ci_u32_e64 v8, null, s31, v8, vcc_lo
	s_delay_alu instid0(VALU_DEP_2) | instskip(SKIP_1) | instid1(VALU_DEP_2)
	v_add_co_u32 v7, vcc_lo, v2, v13
	s_wait_alu 0xfffd
	v_add_co_ci_u32_e64 v8, null, v8, v14, vcc_lo
	v_or_b32_e32 v2, s37, v27
	global_load_u16 v13, v[7:8], off
                                        ; implicit-def: $vgpr7_vgpr8
	v_cmpx_ne_u64_e32 0, v[1:2]
	s_wait_alu 0xfffe
	s_xor_b32 s67, exec_lo, s0
	s_cbranch_execz .LBB47_25
; %bb.24:                               ;   in Loop: Header=BB47_3 Depth=1
	s_ashr_i32 s68, s37, 31
	v_add_co_u32 v2, vcc_lo, v24, v21
	s_wait_alu 0xfffe
	s_mov_b32 s69, s68
	s_wait_alu 0xfffd
	v_add_co_ci_u32_e64 v7, null, v27, v21, vcc_lo
	s_wait_alu 0xfffe
	s_add_nc_u64 s[70:71], s[36:37], s[68:69]
	v_xor_b32_e32 v2, v2, v21
	s_wait_alu 0xfffe
	s_xor_b64 s[70:71], s[70:71], s[68:69]
	v_xor_b32_e32 v14, v7, v21
	s_wait_alu 0xfffe
	s_cvt_f32_u32 s0, s70
	s_cvt_f32_u32 s69, s71
	s_sub_nc_u64 s[78:79], 0, s[70:71]
	s_wait_alu 0xfffe
	s_delay_alu instid0(SALU_CYCLE_1) | instskip(SKIP_1) | instid1(SALU_CYCLE_2)
	s_fmamk_f32 s0, s69, 0x4f800000, s0
	s_wait_alu 0xfffe
	v_s_rcp_f32 s0, s0
	s_delay_alu instid0(TRANS32_DEP_1) | instskip(SKIP_1) | instid1(SALU_CYCLE_2)
	s_mul_f32 s0, s0, 0x5f7ffffc
	s_wait_alu 0xfffe
	s_mul_f32 s69, s0, 0x2f800000
	s_wait_alu 0xfffe
	s_delay_alu instid0(SALU_CYCLE_2) | instskip(SKIP_1) | instid1(SALU_CYCLE_2)
	s_trunc_f32 s69, s69
	s_wait_alu 0xfffe
	s_fmamk_f32 s0, s69, 0xcf800000, s0
	s_cvt_u32_f32 s77, s69
	s_wait_alu 0xfffe
	s_delay_alu instid0(SALU_CYCLE_1) | instskip(NEXT) | instid1(SALU_CYCLE_3)
	s_cvt_u32_f32 s76, s0
	s_mul_u64 s[80:81], s[78:79], s[76:77]
	s_delay_alu instid0(SALU_CYCLE_1)
	s_mul_hi_u32 s83, s76, s81
	s_mul_i32 s82, s76, s81
	s_mul_hi_u32 s0, s76, s80
	s_mul_i32 s75, s77, s80
	s_wait_alu 0xfffe
	s_add_nc_u64 s[82:83], s[0:1], s[82:83]
	s_mul_hi_u32 s69, s77, s80
	s_mul_hi_u32 s84, s77, s81
	s_add_co_u32 s0, s82, s75
	s_wait_alu 0xfffe
	s_add_co_ci_u32 s0, s83, s69
	s_mul_i32 s80, s77, s81
	s_add_co_ci_u32 s81, s84, 0
	s_wait_alu 0xfffe
	s_add_nc_u64 s[80:81], s[0:1], s[80:81]
	s_delay_alu instid0(SALU_CYCLE_1) | instskip(SKIP_4) | instid1(SALU_CYCLE_1)
	s_add_co_u32 s76, s76, s80
	s_cselect_b32 s0, -1, 0
	s_wait_alu 0xfffe
	s_cmp_lg_u32 s0, 0
	s_add_co_ci_u32 s77, s77, s81
	s_mul_u64 s[78:79], s[78:79], s[76:77]
	s_delay_alu instid0(SALU_CYCLE_1)
	s_mul_hi_u32 s81, s76, s79
	s_mul_i32 s80, s76, s79
	s_mul_hi_u32 s0, s76, s78
	s_mul_i32 s75, s77, s78
	s_wait_alu 0xfffe
	s_add_nc_u64 s[80:81], s[0:1], s[80:81]
	s_mul_hi_u32 s69, s77, s78
	s_mul_hi_u32 s82, s77, s79
	s_add_co_u32 s0, s80, s75
	s_wait_alu 0xfffe
	s_add_co_ci_u32 s0, s81, s69
	s_mul_i32 s78, s77, s79
	s_add_co_ci_u32 s79, s82, 0
	s_wait_alu 0xfffe
	s_add_nc_u64 s[78:79], s[0:1], s[78:79]
	s_delay_alu instid0(SALU_CYCLE_1)
	s_add_co_u32 s0, s76, s78
	s_cselect_b32 s69, -1, 0
	s_wait_alu 0xfffe
	v_mul_hi_u32 v29, v2, s0
	s_cmp_lg_u32 s69, 0
	v_mad_co_u64_u32 v[23:24], null, v14, s0, 0
	s_add_co_ci_u32 s69, s77, s79
	s_wait_alu 0xfffe
	v_mad_co_u64_u32 v[7:8], null, v2, s69, 0
	v_mad_co_u64_u32 v[26:27], null, v14, s69, 0
	s_delay_alu instid0(VALU_DEP_2) | instskip(SKIP_1) | instid1(VALU_DEP_3)
	v_add_co_u32 v7, vcc_lo, v29, v7
	s_wait_alu 0xfffd
	v_add_co_ci_u32_e64 v8, null, 0, v8, vcc_lo
	s_delay_alu instid0(VALU_DEP_2) | instskip(SKIP_1) | instid1(VALU_DEP_2)
	v_add_co_u32 v7, vcc_lo, v7, v23
	s_wait_alu 0xfffd
	v_add_co_ci_u32_e32 v7, vcc_lo, v8, v24, vcc_lo
	s_wait_alu 0xfffd
	v_add_co_ci_u32_e32 v8, vcc_lo, 0, v27, vcc_lo
	s_delay_alu instid0(VALU_DEP_2) | instskip(SKIP_1) | instid1(VALU_DEP_2)
	v_add_co_u32 v23, vcc_lo, v7, v26
	s_wait_alu 0xfffd
	v_add_co_ci_u32_e64 v24, null, 0, v8, vcc_lo
	s_delay_alu instid0(VALU_DEP_2) | instskip(SKIP_1) | instid1(VALU_DEP_3)
	v_mul_lo_u32 v26, s71, v23
	v_mad_co_u64_u32 v[7:8], null, s70, v23, 0
	v_mul_lo_u32 v27, s70, v24
	s_delay_alu instid0(VALU_DEP_2) | instskip(NEXT) | instid1(VALU_DEP_2)
	v_sub_co_u32 v2, vcc_lo, v2, v7
	v_add3_u32 v8, v8, v27, v26
	s_delay_alu instid0(VALU_DEP_1) | instskip(SKIP_2) | instid1(VALU_DEP_2)
	v_sub_nc_u32_e32 v26, v14, v8
	s_wait_alu 0xfffd
	v_sub_co_ci_u32_e64 v8, null, v14, v8, vcc_lo
	v_subrev_co_ci_u32_e64 v7, null, s71, v26, vcc_lo
	v_add_co_u32 v26, s0, v23, 2
	s_wait_alu 0xf1ff
	v_add_co_ci_u32_e64 v27, null, 0, v24, s0
	v_sub_co_u32 v29, s0, v2, s70
	s_wait_alu 0xf1ff
	v_subrev_co_ci_u32_e64 v7, null, 0, v7, s0
	s_delay_alu instid0(VALU_DEP_2) | instskip(SKIP_2) | instid1(VALU_DEP_3)
	v_cmp_le_u32_e32 vcc_lo, s70, v29
	s_wait_alu 0xfffd
	v_cndmask_b32_e64 v14, 0, -1, vcc_lo
	v_cmp_le_u32_e32 vcc_lo, s71, v7
	s_wait_alu 0xfffd
	v_cndmask_b32_e64 v29, 0, -1, vcc_lo
	;; [unrolled: 3-line block ×4, first 2 shown]
	v_cmp_eq_u32_e32 vcc_lo, s71, v7
	s_wait_alu 0xfffd
	v_cndmask_b32_e32 v7, v29, v14, vcc_lo
	v_add_co_u32 v14, vcc_lo, v23, 1
	s_wait_alu 0xfffd
	v_add_co_ci_u32_e64 v29, null, 0, v24, vcc_lo
	v_cmp_eq_u32_e32 vcc_lo, s71, v8
	v_xor_b32_e32 v8, s68, v21
	s_wait_alu 0xfffd
	v_cndmask_b32_e32 v2, v30, v2, vcc_lo
	v_cmp_ne_u32_e32 vcc_lo, 0, v7
	s_wait_alu 0xfffd
	v_cndmask_b32_e32 v7, v29, v27, vcc_lo
	s_delay_alu instid0(VALU_DEP_3) | instskip(SKIP_2) | instid1(VALU_DEP_2)
	v_cmp_ne_u32_e64 s0, 0, v2
	v_cndmask_b32_e32 v2, v14, v26, vcc_lo
	s_wait_alu 0xf1ff
	v_cndmask_b32_e64 v7, v24, v7, s0
	s_delay_alu instid0(VALU_DEP_2) | instskip(NEXT) | instid1(VALU_DEP_2)
	v_cndmask_b32_e64 v2, v23, v2, s0
                                        ; implicit-def: $vgpr24
	v_xor_b32_e32 v14, v7, v8
	s_delay_alu instid0(VALU_DEP_2) | instskip(NEXT) | instid1(VALU_DEP_1)
	v_xor_b32_e32 v2, v2, v8
	v_sub_co_u32 v7, vcc_lo, v2, v8
	s_wait_alu 0xfffd
	s_delay_alu instid0(VALU_DEP_3)
	v_sub_co_ci_u32_e64 v8, null, v14, v8, vcc_lo
.LBB47_25:                              ;   in Loop: Header=BB47_3 Depth=1
	s_wait_alu 0xfffe
	s_and_not1_saveexec_b32 s0, s67
	s_cbranch_execz .LBB47_27
; %bb.26:                               ;   in Loop: Header=BB47_3 Depth=1
	v_rcp_iflag_f32_e32 v2, v20
	s_sub_co_i32 s67, 0, s36
	s_delay_alu instid0(TRANS32_DEP_1) | instskip(NEXT) | instid1(VALU_DEP_1)
	v_mul_f32_e32 v2, 0x4f7ffffe, v2
	v_cvt_u32_f32_e32 v2, v2
	s_wait_alu 0xfffe
	s_delay_alu instid0(VALU_DEP_1) | instskip(NEXT) | instid1(VALU_DEP_1)
	v_mul_lo_u32 v7, s67, v2
	v_mul_hi_u32 v7, v2, v7
	s_delay_alu instid0(VALU_DEP_1) | instskip(NEXT) | instid1(VALU_DEP_1)
	v_add_nc_u32_e32 v2, v2, v7
	v_mul_hi_u32 v2, v24, v2
	s_delay_alu instid0(VALU_DEP_1) | instskip(SKIP_1) | instid1(VALU_DEP_2)
	v_mul_lo_u32 v7, v2, s36
	v_add_nc_u32_e32 v8, 1, v2
	v_sub_nc_u32_e32 v7, v24, v7
	s_delay_alu instid0(VALU_DEP_1) | instskip(SKIP_2) | instid1(VALU_DEP_2)
	v_subrev_nc_u32_e32 v14, s36, v7
	v_cmp_le_u32_e32 vcc_lo, s36, v7
	s_wait_alu 0xfffd
	v_dual_cndmask_b32 v7, v7, v14 :: v_dual_cndmask_b32 v2, v2, v8
	s_delay_alu instid0(VALU_DEP_1) | instskip(NEXT) | instid1(VALU_DEP_2)
	v_cmp_le_u32_e32 vcc_lo, s36, v7
	v_add_nc_u32_e32 v8, 1, v2
	s_wait_alu 0xfffd
	s_delay_alu instid0(VALU_DEP_1)
	v_dual_cndmask_b32 v7, v2, v8 :: v_dual_mov_b32 v8, v1
.LBB47_27:                              ;   in Loop: Header=BB47_3 Depth=1
	s_wait_alu 0xfffe
	s_or_b32 exec_lo, exec_lo, s0
	s_delay_alu instid0(VALU_DEP_1) | instskip(NEXT) | instid1(VALU_DEP_2)
	v_mul_lo_u32 v2, v8, s36
	v_mul_lo_u32 v14, v7, s37
	v_mad_co_u64_u32 v[23:24], null, v7, s36, 0
	v_mul_lo_u32 v21, v7, s13
	s_mov_b32 s0, exec_lo
	s_delay_alu instid0(VALU_DEP_2) | instskip(SKIP_1) | instid1(VALU_DEP_4)
	v_add3_u32 v2, v24, v14, v2
	v_mul_lo_u32 v14, v8, s12
	v_sub_co_u32 v8, vcc_lo, v9, v23
	s_wait_alu 0xfffd
	s_delay_alu instid0(VALU_DEP_3) | instskip(NEXT) | instid1(VALU_DEP_2)
	v_sub_co_ci_u32_e64 v2, null, v10, v2, vcc_lo
	v_add_co_u32 v9, vcc_lo, v3, v8
	v_mad_co_u64_u32 v[7:8], null, v7, s12, 0
	s_wait_alu 0xfffd
	s_delay_alu instid0(VALU_DEP_3) | instskip(NEXT) | instid1(VALU_DEP_3)
	v_add_co_ci_u32_e64 v2, null, v4, v2, vcc_lo
	v_mul_lo_u32 v23, v9, s15
	v_mad_co_u64_u32 v[9:10], null, v9, s14, 0
	s_delay_alu instid0(VALU_DEP_3) | instskip(SKIP_1) | instid1(VALU_DEP_1)
	v_mul_lo_u32 v2, v2, s14
	v_add3_u32 v8, v8, v21, v14
	v_lshlrev_b64_e32 v[7:8], 1, v[7:8]
	s_delay_alu instid0(VALU_DEP_3) | instskip(NEXT) | instid1(VALU_DEP_2)
	v_add3_u32 v10, v10, v23, v2
	v_add_co_u32 v2, vcc_lo, s30, v7
	s_delay_alu instid0(VALU_DEP_2) | instskip(SKIP_1) | instid1(VALU_DEP_4)
	v_lshlrev_b64_e32 v[9:10], 1, v[9:10]
	s_wait_alu 0xfffd
	v_add_co_ci_u32_e64 v8, null, s31, v8, vcc_lo
	s_delay_alu instid0(VALU_DEP_2) | instskip(SKIP_1) | instid1(VALU_DEP_2)
	v_add_co_u32 v7, vcc_lo, v2, v9
	s_wait_alu 0xfffd
	v_add_co_ci_u32_e64 v8, null, v8, v10, vcc_lo
	v_or_b32_e32 v2, s37, v28
	global_load_u16 v9, v[7:8], off
                                        ; implicit-def: $vgpr7_vgpr8
	v_cmpx_ne_u64_e32 0, v[1:2]
	s_wait_alu 0xfffe
	s_xor_b32 s67, exec_lo, s0
	s_cbranch_execz .LBB47_29
; %bb.28:                               ;   in Loop: Header=BB47_3 Depth=1
	s_ashr_i32 s68, s37, 31
	v_add_co_u32 v2, vcc_lo, v25, v22
	s_wait_alu 0xfffe
	s_mov_b32 s69, s68
	s_wait_alu 0xfffd
	v_add_co_ci_u32_e64 v7, null, v28, v22, vcc_lo
	s_wait_alu 0xfffe
	s_add_nc_u64 s[70:71], s[36:37], s[68:69]
	v_xor_b32_e32 v2, v2, v22
	s_wait_alu 0xfffe
	s_xor_b64 s[70:71], s[70:71], s[68:69]
	v_xor_b32_e32 v10, v7, v22
	s_wait_alu 0xfffe
	s_cvt_f32_u32 s0, s70
	s_cvt_f32_u32 s69, s71
	s_sub_nc_u64 s[78:79], 0, s[70:71]
	s_wait_alu 0xfffe
	s_delay_alu instid0(SALU_CYCLE_1) | instskip(SKIP_1) | instid1(SALU_CYCLE_2)
	s_fmamk_f32 s0, s69, 0x4f800000, s0
	s_wait_alu 0xfffe
	v_s_rcp_f32 s0, s0
	s_delay_alu instid0(TRANS32_DEP_1) | instskip(SKIP_1) | instid1(SALU_CYCLE_2)
	s_mul_f32 s0, s0, 0x5f7ffffc
	s_wait_alu 0xfffe
	s_mul_f32 s69, s0, 0x2f800000
	s_wait_alu 0xfffe
	s_delay_alu instid0(SALU_CYCLE_2) | instskip(SKIP_1) | instid1(SALU_CYCLE_2)
	s_trunc_f32 s69, s69
	s_wait_alu 0xfffe
	s_fmamk_f32 s0, s69, 0xcf800000, s0
	s_cvt_u32_f32 s77, s69
	s_wait_alu 0xfffe
	s_delay_alu instid0(SALU_CYCLE_1) | instskip(NEXT) | instid1(SALU_CYCLE_3)
	s_cvt_u32_f32 s76, s0
	s_mul_u64 s[80:81], s[78:79], s[76:77]
	s_delay_alu instid0(SALU_CYCLE_1)
	s_mul_hi_u32 s83, s76, s81
	s_mul_i32 s82, s76, s81
	s_mul_hi_u32 s0, s76, s80
	s_mul_i32 s75, s77, s80
	s_wait_alu 0xfffe
	s_add_nc_u64 s[82:83], s[0:1], s[82:83]
	s_mul_hi_u32 s69, s77, s80
	s_mul_hi_u32 s84, s77, s81
	s_add_co_u32 s0, s82, s75
	s_wait_alu 0xfffe
	s_add_co_ci_u32 s0, s83, s69
	s_mul_i32 s80, s77, s81
	s_add_co_ci_u32 s81, s84, 0
	s_wait_alu 0xfffe
	s_add_nc_u64 s[80:81], s[0:1], s[80:81]
	s_delay_alu instid0(SALU_CYCLE_1) | instskip(SKIP_4) | instid1(SALU_CYCLE_1)
	s_add_co_u32 s76, s76, s80
	s_cselect_b32 s0, -1, 0
	s_wait_alu 0xfffe
	s_cmp_lg_u32 s0, 0
	s_add_co_ci_u32 s77, s77, s81
	s_mul_u64 s[78:79], s[78:79], s[76:77]
	s_delay_alu instid0(SALU_CYCLE_1)
	s_mul_hi_u32 s81, s76, s79
	s_mul_i32 s80, s76, s79
	s_mul_hi_u32 s0, s76, s78
	s_mul_i32 s75, s77, s78
	s_wait_alu 0xfffe
	s_add_nc_u64 s[80:81], s[0:1], s[80:81]
	s_mul_hi_u32 s69, s77, s78
	s_mul_hi_u32 s82, s77, s79
	s_add_co_u32 s0, s80, s75
	s_wait_alu 0xfffe
	s_add_co_ci_u32 s0, s81, s69
	s_mul_i32 s78, s77, s79
	s_add_co_ci_u32 s79, s82, 0
	s_wait_alu 0xfffe
	s_add_nc_u64 s[78:79], s[0:1], s[78:79]
	s_delay_alu instid0(SALU_CYCLE_1)
	s_add_co_u32 s0, s76, s78
	s_cselect_b32 s69, -1, 0
	s_wait_alu 0xfffe
	v_mul_hi_u32 v14, v2, s0
	s_cmp_lg_u32 s69, 0
	v_mad_co_u64_u32 v[20:21], null, v10, s0, 0
	s_add_co_ci_u32 s69, s77, s79
	s_wait_alu 0xfffe
	v_mad_co_u64_u32 v[7:8], null, v2, s69, 0
	v_mad_co_u64_u32 v[23:24], null, v10, s69, 0
	s_delay_alu instid0(VALU_DEP_2) | instskip(SKIP_1) | instid1(VALU_DEP_3)
	v_add_co_u32 v7, vcc_lo, v14, v7
	s_wait_alu 0xfffd
	v_add_co_ci_u32_e64 v8, null, 0, v8, vcc_lo
	s_delay_alu instid0(VALU_DEP_2) | instskip(SKIP_1) | instid1(VALU_DEP_2)
	v_add_co_u32 v7, vcc_lo, v7, v20
	s_wait_alu 0xfffd
	v_add_co_ci_u32_e32 v7, vcc_lo, v8, v21, vcc_lo
	s_wait_alu 0xfffd
	v_add_co_ci_u32_e32 v8, vcc_lo, 0, v24, vcc_lo
	s_delay_alu instid0(VALU_DEP_2) | instskip(SKIP_1) | instid1(VALU_DEP_2)
	v_add_co_u32 v14, vcc_lo, v7, v23
	s_wait_alu 0xfffd
	v_add_co_ci_u32_e64 v20, null, 0, v8, vcc_lo
	s_delay_alu instid0(VALU_DEP_2) | instskip(SKIP_1) | instid1(VALU_DEP_3)
	v_mul_lo_u32 v21, s71, v14
	v_mad_co_u64_u32 v[7:8], null, s70, v14, 0
	v_mul_lo_u32 v23, s70, v20
	s_delay_alu instid0(VALU_DEP_2) | instskip(NEXT) | instid1(VALU_DEP_2)
	v_sub_co_u32 v2, vcc_lo, v2, v7
	v_add3_u32 v8, v8, v23, v21
	s_delay_alu instid0(VALU_DEP_1) | instskip(SKIP_2) | instid1(VALU_DEP_2)
	v_sub_nc_u32_e32 v21, v10, v8
	s_wait_alu 0xfffd
	v_sub_co_ci_u32_e64 v8, null, v10, v8, vcc_lo
	v_subrev_co_ci_u32_e64 v7, null, s71, v21, vcc_lo
	v_add_co_u32 v21, s0, v14, 2
	s_wait_alu 0xf1ff
	v_add_co_ci_u32_e64 v23, null, 0, v20, s0
	v_sub_co_u32 v24, s0, v2, s70
	s_wait_alu 0xf1ff
	v_subrev_co_ci_u32_e64 v7, null, 0, v7, s0
	s_delay_alu instid0(VALU_DEP_2) | instskip(SKIP_2) | instid1(VALU_DEP_3)
	v_cmp_le_u32_e32 vcc_lo, s70, v24
	s_wait_alu 0xfffd
	v_cndmask_b32_e64 v10, 0, -1, vcc_lo
	v_cmp_le_u32_e32 vcc_lo, s71, v7
	s_wait_alu 0xfffd
	v_cndmask_b32_e64 v24, 0, -1, vcc_lo
	;; [unrolled: 3-line block ×4, first 2 shown]
	v_cmp_eq_u32_e32 vcc_lo, s71, v7
	s_wait_alu 0xfffd
	v_cndmask_b32_e32 v7, v24, v10, vcc_lo
	v_add_co_u32 v10, vcc_lo, v14, 1
	s_wait_alu 0xfffd
	v_add_co_ci_u32_e64 v24, null, 0, v20, vcc_lo
	v_cmp_eq_u32_e32 vcc_lo, s71, v8
	v_xor_b32_e32 v8, s68, v22
	s_wait_alu 0xfffd
	v_cndmask_b32_e32 v2, v25, v2, vcc_lo
	v_cmp_ne_u32_e32 vcc_lo, 0, v7
                                        ; implicit-def: $vgpr25
	s_wait_alu 0xfffd
	v_cndmask_b32_e32 v7, v24, v23, vcc_lo
	s_delay_alu instid0(VALU_DEP_3) | instskip(SKIP_2) | instid1(VALU_DEP_2)
	v_cmp_ne_u32_e64 s0, 0, v2
	v_cndmask_b32_e32 v2, v10, v21, vcc_lo
	s_wait_alu 0xf1ff
	v_cndmask_b32_e64 v7, v20, v7, s0
	s_delay_alu instid0(VALU_DEP_2) | instskip(NEXT) | instid1(VALU_DEP_2)
	v_cndmask_b32_e64 v2, v14, v2, s0
                                        ; implicit-def: $vgpr20
	v_xor_b32_e32 v10, v7, v8
	s_delay_alu instid0(VALU_DEP_2) | instskip(NEXT) | instid1(VALU_DEP_1)
	v_xor_b32_e32 v2, v2, v8
	v_sub_co_u32 v7, vcc_lo, v2, v8
	s_wait_alu 0xfffd
	s_delay_alu instid0(VALU_DEP_3)
	v_sub_co_ci_u32_e64 v8, null, v10, v8, vcc_lo
.LBB47_29:                              ;   in Loop: Header=BB47_3 Depth=1
	s_wait_alu 0xfffe
	s_and_not1_saveexec_b32 s0, s67
	s_cbranch_execz .LBB47_31
; %bb.30:                               ;   in Loop: Header=BB47_3 Depth=1
	v_rcp_iflag_f32_e32 v2, v20
	s_sub_co_i32 s67, 0, s36
	s_delay_alu instid0(TRANS32_DEP_1) | instskip(NEXT) | instid1(VALU_DEP_1)
	v_mul_f32_e32 v2, 0x4f7ffffe, v2
	v_cvt_u32_f32_e32 v2, v2
	s_wait_alu 0xfffe
	s_delay_alu instid0(VALU_DEP_1) | instskip(NEXT) | instid1(VALU_DEP_1)
	v_mul_lo_u32 v7, s67, v2
	v_mul_hi_u32 v7, v2, v7
	s_delay_alu instid0(VALU_DEP_1) | instskip(NEXT) | instid1(VALU_DEP_1)
	v_add_nc_u32_e32 v2, v2, v7
	v_mul_hi_u32 v2, v25, v2
	s_delay_alu instid0(VALU_DEP_1) | instskip(SKIP_1) | instid1(VALU_DEP_2)
	v_mul_lo_u32 v7, v2, s36
	v_add_nc_u32_e32 v8, 1, v2
	v_sub_nc_u32_e32 v7, v25, v7
	s_delay_alu instid0(VALU_DEP_1) | instskip(SKIP_2) | instid1(VALU_DEP_2)
	v_subrev_nc_u32_e32 v10, s36, v7
	v_cmp_le_u32_e32 vcc_lo, s36, v7
	s_wait_alu 0xfffd
	v_dual_cndmask_b32 v7, v7, v10 :: v_dual_cndmask_b32 v2, v2, v8
	s_delay_alu instid0(VALU_DEP_1) | instskip(NEXT) | instid1(VALU_DEP_2)
	v_cmp_le_u32_e32 vcc_lo, s36, v7
	v_add_nc_u32_e32 v8, 1, v2
	s_wait_alu 0xfffd
	s_delay_alu instid0(VALU_DEP_1)
	v_dual_cndmask_b32 v7, v2, v8 :: v_dual_mov_b32 v8, v1
.LBB47_31:                              ;   in Loop: Header=BB47_3 Depth=1
	s_wait_alu 0xfffe
	s_or_b32 exec_lo, exec_lo, s0
	s_delay_alu instid0(VALU_DEP_1) | instskip(NEXT) | instid1(VALU_DEP_2)
	v_mul_lo_u32 v2, v8, s36
	v_mul_lo_u32 v10, v7, s37
	v_mad_co_u64_u32 v[20:21], null, v7, s36, 0
	v_mul_lo_u32 v14, v8, s12
	s_mov_b32 s0, exec_lo
	s_delay_alu instid0(VALU_DEP_2) | instskip(NEXT) | instid1(VALU_DEP_3)
	v_add3_u32 v2, v21, v10, v2
	v_sub_co_u32 v8, vcc_lo, v11, v20
	s_wait_alu 0xfffd
	s_delay_alu instid0(VALU_DEP_2) | instskip(NEXT) | instid1(VALU_DEP_2)
	v_sub_co_ci_u32_e64 v2, null, v12, v2, vcc_lo
	v_add_co_u32 v10, vcc_lo, v3, v8
	v_mul_lo_u32 v12, v7, s13
	s_wait_alu 0xfffd
	s_delay_alu instid0(VALU_DEP_3) | instskip(SKIP_3) | instid1(VALU_DEP_4)
	v_add_co_ci_u32_e64 v2, null, v4, v2, vcc_lo
	v_mad_co_u64_u32 v[7:8], null, v7, s12, 0
	v_mul_lo_u32 v20, v10, s15
	v_mad_co_u64_u32 v[10:11], null, v10, s14, 0
	v_mul_lo_u32 v2, v2, s14
	s_delay_alu instid0(VALU_DEP_4) | instskip(NEXT) | instid1(VALU_DEP_2)
	v_add3_u32 v8, v8, v12, v14
	v_add3_u32 v11, v11, v20, v2
	s_delay_alu instid0(VALU_DEP_2) | instskip(NEXT) | instid1(VALU_DEP_2)
	v_lshlrev_b64_e32 v[7:8], 1, v[7:8]
	v_lshlrev_b64_e32 v[10:11], 1, v[10:11]
	s_delay_alu instid0(VALU_DEP_2) | instskip(SKIP_1) | instid1(VALU_DEP_3)
	v_add_co_u32 v2, vcc_lo, s30, v7
	s_wait_alu 0xfffd
	v_add_co_ci_u32_e64 v8, null, s31, v8, vcc_lo
	s_delay_alu instid0(VALU_DEP_2) | instskip(SKIP_1) | instid1(VALU_DEP_2)
	v_add_co_u32 v7, vcc_lo, v2, v10
	s_wait_alu 0xfffd
	v_add_co_ci_u32_e64 v8, null, v8, v11, vcc_lo
	v_or_b32_e32 v2, s47, v4
	global_load_u16 v10, v[7:8], off
                                        ; implicit-def: $vgpr7_vgpr8
	v_cmpx_ne_u64_e32 0, v[1:2]
	s_wait_alu 0xfffe
	s_xor_b32 s67, exec_lo, s0
	s_cbranch_execz .LBB47_33
; %bb.32:                               ;   in Loop: Header=BB47_3 Depth=1
	s_ashr_i32 s68, s47, 31
	v_add_co_u32 v2, vcc_lo, v3, v16
	s_wait_alu 0xfffe
	s_mov_b32 s69, s68
	s_wait_alu 0xfffd
	v_add_co_ci_u32_e64 v7, null, v4, v16, vcc_lo
	s_wait_alu 0xfffe
	s_add_nc_u64 s[70:71], s[46:47], s[68:69]
	v_xor_b32_e32 v2, v2, v16
	s_wait_alu 0xfffe
	s_xor_b64 s[70:71], s[70:71], s[68:69]
	v_xor_b32_e32 v14, v7, v16
	s_wait_alu 0xfffe
	s_cvt_f32_u32 s0, s70
	s_cvt_f32_u32 s69, s71
	s_sub_nc_u64 s[78:79], 0, s[70:71]
	s_wait_alu 0xfffe
	s_delay_alu instid0(SALU_CYCLE_1) | instskip(SKIP_1) | instid1(SALU_CYCLE_2)
	s_fmamk_f32 s0, s69, 0x4f800000, s0
	s_wait_alu 0xfffe
	v_s_rcp_f32 s0, s0
	s_delay_alu instid0(TRANS32_DEP_1) | instskip(SKIP_1) | instid1(SALU_CYCLE_2)
	s_mul_f32 s0, s0, 0x5f7ffffc
	s_wait_alu 0xfffe
	s_mul_f32 s69, s0, 0x2f800000
	s_wait_alu 0xfffe
	s_delay_alu instid0(SALU_CYCLE_2) | instskip(SKIP_1) | instid1(SALU_CYCLE_2)
	s_trunc_f32 s69, s69
	s_wait_alu 0xfffe
	s_fmamk_f32 s0, s69, 0xcf800000, s0
	s_cvt_u32_f32 s77, s69
	s_wait_alu 0xfffe
	s_delay_alu instid0(SALU_CYCLE_1) | instskip(NEXT) | instid1(SALU_CYCLE_3)
	s_cvt_u32_f32 s76, s0
	s_mul_u64 s[80:81], s[78:79], s[76:77]
	s_delay_alu instid0(SALU_CYCLE_1)
	s_mul_hi_u32 s83, s76, s81
	s_mul_i32 s82, s76, s81
	s_mul_hi_u32 s0, s76, s80
	s_mul_i32 s75, s77, s80
	s_wait_alu 0xfffe
	s_add_nc_u64 s[82:83], s[0:1], s[82:83]
	s_mul_hi_u32 s69, s77, s80
	s_mul_hi_u32 s84, s77, s81
	s_add_co_u32 s0, s82, s75
	s_wait_alu 0xfffe
	s_add_co_ci_u32 s0, s83, s69
	s_mul_i32 s80, s77, s81
	s_add_co_ci_u32 s81, s84, 0
	s_wait_alu 0xfffe
	s_add_nc_u64 s[80:81], s[0:1], s[80:81]
	s_delay_alu instid0(SALU_CYCLE_1) | instskip(SKIP_4) | instid1(SALU_CYCLE_1)
	s_add_co_u32 s76, s76, s80
	s_cselect_b32 s0, -1, 0
	s_wait_alu 0xfffe
	s_cmp_lg_u32 s0, 0
	s_add_co_ci_u32 s77, s77, s81
	s_mul_u64 s[78:79], s[78:79], s[76:77]
	s_delay_alu instid0(SALU_CYCLE_1)
	s_mul_hi_u32 s81, s76, s79
	s_mul_i32 s80, s76, s79
	s_mul_hi_u32 s0, s76, s78
	s_mul_i32 s75, s77, s78
	s_wait_alu 0xfffe
	s_add_nc_u64 s[80:81], s[0:1], s[80:81]
	s_mul_hi_u32 s69, s77, s78
	s_mul_hi_u32 s82, s77, s79
	s_add_co_u32 s0, s80, s75
	s_wait_alu 0xfffe
	s_add_co_ci_u32 s0, s81, s69
	s_mul_i32 s78, s77, s79
	s_add_co_ci_u32 s79, s82, 0
	s_wait_alu 0xfffe
	s_add_nc_u64 s[78:79], s[0:1], s[78:79]
	s_delay_alu instid0(SALU_CYCLE_1)
	s_add_co_u32 s0, s76, s78
	s_cselect_b32 s69, -1, 0
	s_wait_alu 0xfffe
	v_mul_hi_u32 v22, v2, s0
	s_cmp_lg_u32 s69, 0
	v_mad_co_u64_u32 v[11:12], null, v14, s0, 0
	s_add_co_ci_u32 s69, s77, s79
	s_wait_alu 0xfffe
	v_mad_co_u64_u32 v[7:8], null, v2, s69, 0
	v_mad_co_u64_u32 v[20:21], null, v14, s69, 0
	s_delay_alu instid0(VALU_DEP_2) | instskip(SKIP_1) | instid1(VALU_DEP_3)
	v_add_co_u32 v7, vcc_lo, v22, v7
	s_wait_alu 0xfffd
	v_add_co_ci_u32_e64 v8, null, 0, v8, vcc_lo
	s_delay_alu instid0(VALU_DEP_2) | instskip(SKIP_1) | instid1(VALU_DEP_2)
	v_add_co_u32 v7, vcc_lo, v7, v11
	s_wait_alu 0xfffd
	v_add_co_ci_u32_e32 v7, vcc_lo, v8, v12, vcc_lo
	s_wait_alu 0xfffd
	v_add_co_ci_u32_e32 v8, vcc_lo, 0, v21, vcc_lo
	s_delay_alu instid0(VALU_DEP_2) | instskip(SKIP_1) | instid1(VALU_DEP_2)
	v_add_co_u32 v11, vcc_lo, v7, v20
	s_wait_alu 0xfffd
	v_add_co_ci_u32_e64 v12, null, 0, v8, vcc_lo
	s_delay_alu instid0(VALU_DEP_2) | instskip(SKIP_1) | instid1(VALU_DEP_3)
	v_mul_lo_u32 v20, s71, v11
	v_mad_co_u64_u32 v[7:8], null, s70, v11, 0
	v_mul_lo_u32 v21, s70, v12
	s_delay_alu instid0(VALU_DEP_2) | instskip(NEXT) | instid1(VALU_DEP_2)
	v_sub_co_u32 v2, vcc_lo, v2, v7
	v_add3_u32 v8, v8, v21, v20
	s_delay_alu instid0(VALU_DEP_1) | instskip(SKIP_2) | instid1(VALU_DEP_2)
	v_sub_nc_u32_e32 v20, v14, v8
	s_wait_alu 0xfffd
	v_sub_co_ci_u32_e64 v8, null, v14, v8, vcc_lo
	v_subrev_co_ci_u32_e64 v7, null, s71, v20, vcc_lo
	v_add_co_u32 v20, s0, v11, 2
	s_wait_alu 0xf1ff
	v_add_co_ci_u32_e64 v21, null, 0, v12, s0
	v_sub_co_u32 v22, s0, v2, s70
	s_wait_alu 0xf1ff
	v_subrev_co_ci_u32_e64 v7, null, 0, v7, s0
	s_delay_alu instid0(VALU_DEP_2) | instskip(SKIP_2) | instid1(VALU_DEP_3)
	v_cmp_le_u32_e32 vcc_lo, s70, v22
	s_wait_alu 0xfffd
	v_cndmask_b32_e64 v14, 0, -1, vcc_lo
	v_cmp_le_u32_e32 vcc_lo, s71, v7
	s_wait_alu 0xfffd
	v_cndmask_b32_e64 v22, 0, -1, vcc_lo
	;; [unrolled: 3-line block ×4, first 2 shown]
	v_cmp_eq_u32_e32 vcc_lo, s71, v7
	s_wait_alu 0xfffd
	v_cndmask_b32_e32 v7, v22, v14, vcc_lo
	v_add_co_u32 v14, vcc_lo, v11, 1
	s_wait_alu 0xfffd
	v_add_co_ci_u32_e64 v22, null, 0, v12, vcc_lo
	v_cmp_eq_u32_e32 vcc_lo, s71, v8
	v_xor_b32_e32 v8, s68, v16
	s_wait_alu 0xfffd
	v_cndmask_b32_e32 v2, v23, v2, vcc_lo
	v_cmp_ne_u32_e32 vcc_lo, 0, v7
	s_wait_alu 0xfffd
	v_cndmask_b32_e32 v7, v22, v21, vcc_lo
	s_delay_alu instid0(VALU_DEP_3) | instskip(SKIP_2) | instid1(VALU_DEP_2)
	v_cmp_ne_u32_e64 s0, 0, v2
	v_cndmask_b32_e32 v2, v14, v20, vcc_lo
	s_wait_alu 0xf1ff
	v_cndmask_b32_e64 v7, v12, v7, s0
	s_delay_alu instid0(VALU_DEP_2) | instskip(NEXT) | instid1(VALU_DEP_2)
	v_cndmask_b32_e64 v2, v11, v2, s0
	v_xor_b32_e32 v11, v7, v8
	s_delay_alu instid0(VALU_DEP_2) | instskip(NEXT) | instid1(VALU_DEP_1)
	v_xor_b32_e32 v2, v2, v8
	v_sub_co_u32 v7, vcc_lo, v2, v8
	s_wait_alu 0xfffd
	s_delay_alu instid0(VALU_DEP_3)
	v_sub_co_ci_u32_e64 v8, null, v11, v8, vcc_lo
.LBB47_33:                              ;   in Loop: Header=BB47_3 Depth=1
	s_wait_alu 0xfffe
	s_and_not1_saveexec_b32 s0, s67
	s_cbranch_execz .LBB47_35
; %bb.34:                               ;   in Loop: Header=BB47_3 Depth=1
	v_cvt_f32_u32_e32 v2, s46
	s_sub_co_i32 s67, 0, s46
	s_delay_alu instid0(VALU_DEP_1) | instskip(NEXT) | instid1(TRANS32_DEP_1)
	v_rcp_iflag_f32_e32 v2, v2
	v_mul_f32_e32 v2, 0x4f7ffffe, v2
	s_delay_alu instid0(VALU_DEP_1) | instskip(SKIP_1) | instid1(VALU_DEP_1)
	v_cvt_u32_f32_e32 v2, v2
	s_wait_alu 0xfffe
	v_mul_lo_u32 v7, s67, v2
	s_delay_alu instid0(VALU_DEP_1) | instskip(NEXT) | instid1(VALU_DEP_1)
	v_mul_hi_u32 v7, v2, v7
	v_add_nc_u32_e32 v2, v2, v7
	s_delay_alu instid0(VALU_DEP_1) | instskip(NEXT) | instid1(VALU_DEP_1)
	v_mul_hi_u32 v2, v3, v2
	v_mul_lo_u32 v7, v2, s46
	v_add_nc_u32_e32 v8, 1, v2
	s_delay_alu instid0(VALU_DEP_2) | instskip(NEXT) | instid1(VALU_DEP_1)
	v_sub_nc_u32_e32 v7, v3, v7
	v_subrev_nc_u32_e32 v11, s46, v7
	v_cmp_le_u32_e32 vcc_lo, s46, v7
	s_wait_alu 0xfffd
	s_delay_alu instid0(VALU_DEP_2) | instskip(NEXT) | instid1(VALU_DEP_1)
	v_dual_cndmask_b32 v7, v7, v11 :: v_dual_cndmask_b32 v2, v2, v8
	v_cmp_le_u32_e32 vcc_lo, s46, v7
	s_delay_alu instid0(VALU_DEP_2) | instskip(SKIP_1) | instid1(VALU_DEP_1)
	v_add_nc_u32_e32 v8, 1, v2
	s_wait_alu 0xfffd
	v_dual_cndmask_b32 v7, v2, v8 :: v_dual_mov_b32 v8, v1
.LBB47_35:                              ;   in Loop: Header=BB47_3 Depth=1
	s_wait_alu 0xfffe
	s_or_b32 exec_lo, exec_lo, s0
	s_delay_alu instid0(VALU_DEP_1) | instskip(NEXT) | instid1(VALU_DEP_2)
	v_mad_co_u64_u32 v[11:12], null, s62, v7, v[3:4]
	v_mul_lo_u32 v2, s62, v8
	v_mul_lo_u32 v14, s63, v7
	;; [unrolled: 1-line block ×4, first 2 shown]
	v_mad_co_u64_u32 v[7:8], null, v7, s16, 0
	s_mov_b32 s0, exec_lo
	v_add3_u32 v2, v14, v12, v2
	v_mul_lo_u32 v14, v11, s19
	v_mad_co_u64_u32 v[11:12], null, v11, s18, 0
	v_add3_u32 v8, v8, v21, v20
	s_delay_alu instid0(VALU_DEP_4) | instskip(NEXT) | instid1(VALU_DEP_2)
	v_mul_lo_u32 v2, v2, s18
	v_lshlrev_b64_e32 v[7:8], 1, v[7:8]
	s_delay_alu instid0(VALU_DEP_2) | instskip(NEXT) | instid1(VALU_DEP_2)
	v_add3_u32 v12, v12, v14, v2
	v_add_co_u32 v2, vcc_lo, s44, v7
	s_wait_alu 0xfffd
	s_delay_alu instid0(VALU_DEP_3) | instskip(NEXT) | instid1(VALU_DEP_3)
	v_add_co_ci_u32_e64 v8, null, s45, v8, vcc_lo
	v_lshlrev_b64_e32 v[11:12], 1, v[11:12]
	s_delay_alu instid0(VALU_DEP_1) | instskip(SKIP_1) | instid1(VALU_DEP_2)
	v_add_co_u32 v7, vcc_lo, v2, v11
	s_wait_alu 0xfffd
	v_add_co_ci_u32_e64 v8, null, v8, v12, vcc_lo
	v_or_b32_e32 v2, s51, v4
	global_load_u16 v11, v[7:8], off
                                        ; implicit-def: $vgpr7_vgpr8
	v_cmpx_ne_u64_e32 0, v[1:2]
	s_wait_alu 0xfffe
	s_xor_b32 s67, exec_lo, s0
	s_cbranch_execnz .LBB47_39
; %bb.36:                               ;   in Loop: Header=BB47_3 Depth=1
	s_wait_alu 0xfffe
	s_and_not1_saveexec_b32 s0, s67
	s_cbranch_execnz .LBB47_40
.LBB47_37:                              ;   in Loop: Header=BB47_3 Depth=1
	s_wait_alu 0xfffe
	s_or_b32 exec_lo, exec_lo, s0
	s_delay_alu instid0(SALU_CYCLE_1)
	s_and_not1_b32 vcc_lo, exec_lo, s33
	s_wait_alu 0xfffe
	s_cbranch_vccnz .LBB47_41
.LBB47_38:                              ;   in Loop: Header=BB47_3 Depth=1
	v_mad_co_u64_u32 v[20:21], null, s60, v5, v[3:4]
	v_mul_lo_u32 v2, s60, v6
	v_mul_lo_u32 v12, s61, v5
	v_sub_co_u32 v14, vcc_lo, 1, v5
	s_wait_alu 0xfffd
	v_sub_co_ci_u32_e64 v16, null, 0, v6, vcc_lo
	v_mul_lo_u32 v33, v20, s43
	s_delay_alu instid0(VALU_DEP_3)
	v_mul_lo_u32 v25, s5, v14
	v_mad_co_u64_u32 v[23:24], null, s4, v14, v[3:4]
	v_add3_u32 v2, v12, v21, v2
	v_mul_lo_u32 v12, v20, s39
	v_mad_co_u64_u32 v[21:22], null, v20, s38, 0
	v_mul_lo_u32 v16, s4, v16
	s_delay_alu instid0(VALU_DEP_4) | instskip(SKIP_2) | instid1(VALU_DEP_4)
	v_mul_lo_u32 v14, v2, s38
	v_mul_lo_u32 v29, v23, s39
	;; [unrolled: 1-line block ×3, first 2 shown]
	v_add3_u32 v16, v25, v24, v16
	s_delay_alu instid0(VALU_DEP_4) | instskip(SKIP_4) | instid1(VALU_DEP_3)
	v_add3_u32 v22, v22, v12, v14
	v_sub_co_u32 v12, vcc_lo, 2, v5
	s_wait_alu 0xfffd
	v_sub_co_ci_u32_e64 v14, null, 0, v6, vcc_lo
	v_mul_lo_u32 v28, v16, s38
	v_mul_lo_u32 v30, s5, v12
	v_mad_co_u64_u32 v[26:27], null, s4, v12, v[3:4]
	s_delay_alu instid0(VALU_DEP_4) | instskip(SKIP_2) | instid1(VALU_DEP_4)
	v_mul_lo_u32 v14, s4, v14
	v_mad_co_u64_u32 v[24:25], null, v23, s38, 0
	v_lshlrev_b64_e32 v[21:22], 1, v[21:22]
	v_mul_lo_u32 v31, v26, s39
	s_delay_alu instid0(VALU_DEP_4) | instskip(NEXT) | instid1(VALU_DEP_4)
	v_add3_u32 v12, v30, v27, v14
	v_add3_u32 v25, v25, v29, v28
	v_mad_co_u64_u32 v[27:28], null, v26, s38, 0
	v_mad_co_u64_u32 v[29:30], null, v20, s42, 0
	s_delay_alu instid0(VALU_DEP_4) | instskip(NEXT) | instid1(VALU_DEP_4)
	v_mul_lo_u32 v14, v12, s38
	v_lshlrev_b64_e32 v[24:25], 1, v[24:25]
	v_add_co_u32 v21, vcc_lo, s34, v21
	s_wait_alu 0xfffd
	v_add_co_ci_u32_e64 v22, null, s35, v22, vcc_lo
	v_add3_u32 v30, v30, v33, v2
	v_mul_lo_u32 v2, v12, s42
	v_add3_u32 v28, v28, v31, v14
	v_mul_lo_u32 v14, v16, s42
	v_mul_lo_u32 v16, v23, s43
	v_mad_co_u64_u32 v[31:32], null, v23, s42, 0
	v_mul_lo_u32 v12, v26, s43
	v_mad_co_u64_u32 v[33:34], null, v26, s42, 0
	v_lshlrev_b64_e32 v[27:28], 1, v[27:28]
	v_lshlrev_b64_e32 v[29:30], 1, v[29:30]
	v_add_co_u32 v24, vcc_lo, s34, v24
	v_add3_u32 v32, v32, v16, v14
	s_wait_alu 0xfffd
	v_add_co_ci_u32_e64 v25, null, s35, v25, vcc_lo
	v_add3_u32 v34, v34, v12, v2
	v_add_co_u32 v26, vcc_lo, s34, v27
	v_lshlrev_b64_e32 v[31:32], 1, v[31:32]
	s_wait_alu 0xfffd
	v_add_co_ci_u32_e64 v27, null, s35, v28, vcc_lo
	v_lshlrev_b64_e32 v[33:34], 1, v[33:34]
	v_add_co_u32 v28, vcc_lo, s40, v29
	s_wait_alu 0xfffd
	v_add_co_ci_u32_e64 v29, null, s41, v30, vcc_lo
	v_add_co_u32 v30, vcc_lo, s40, v31
	s_wait_alu 0xfffd
	v_add_co_ci_u32_e64 v31, null, s41, v32, vcc_lo
	;; [unrolled: 3-line block ×3, first 2 shown]
	global_load_u16 v2, v[21:22], off
	global_load_u16 v12, v[28:29], off
	s_clause 0x1
	global_load_u16 v14, v[24:25], off
	global_load_u16 v22, v[26:27], off
	s_clause 0x1
	global_load_u16 v23, v[32:33], off
	global_load_u16 v24, v[30:31], off
	s_wait_loadcnt 0x5
	v_lshlrev_b32_e32 v21, 16, v2
	s_wait_loadcnt 0x4
	v_lshlrev_b32_e32 v20, 16, v12
	;; [unrolled: 2-line block ×6, first 2 shown]
	s_branch .LBB47_42
.LBB47_39:                              ;   in Loop: Header=BB47_3 Depth=1
	s_ashr_i32 s68, s51, 31
	v_add_co_u32 v2, vcc_lo, v3, v16
	s_wait_alu 0xfffe
	s_mov_b32 s69, s68
	s_wait_alu 0xfffd
	v_add_co_ci_u32_e64 v7, null, v4, v16, vcc_lo
	s_wait_alu 0xfffe
	s_add_nc_u64 s[70:71], s[50:51], s[68:69]
	v_xor_b32_e32 v2, v2, v16
	s_wait_alu 0xfffe
	s_xor_b64 s[70:71], s[70:71], s[68:69]
	v_xor_b32_e32 v12, v7, v16
	s_wait_alu 0xfffe
	s_cvt_f32_u32 s0, s70
	s_cvt_f32_u32 s69, s71
	s_sub_nc_u64 s[78:79], 0, s[70:71]
	s_wait_alu 0xfffe
	s_delay_alu instid0(SALU_CYCLE_1) | instskip(SKIP_1) | instid1(SALU_CYCLE_2)
	s_fmamk_f32 s0, s69, 0x4f800000, s0
	s_wait_alu 0xfffe
	v_s_rcp_f32 s0, s0
	s_delay_alu instid0(TRANS32_DEP_1) | instskip(SKIP_1) | instid1(SALU_CYCLE_2)
	s_mul_f32 s0, s0, 0x5f7ffffc
	s_wait_alu 0xfffe
	s_mul_f32 s69, s0, 0x2f800000
	s_wait_alu 0xfffe
	s_delay_alu instid0(SALU_CYCLE_2) | instskip(SKIP_1) | instid1(SALU_CYCLE_2)
	s_trunc_f32 s69, s69
	s_wait_alu 0xfffe
	s_fmamk_f32 s0, s69, 0xcf800000, s0
	s_cvt_u32_f32 s77, s69
	s_wait_alu 0xfffe
	s_delay_alu instid0(SALU_CYCLE_1) | instskip(NEXT) | instid1(SALU_CYCLE_3)
	s_cvt_u32_f32 s76, s0
	s_mul_u64 s[80:81], s[78:79], s[76:77]
	s_delay_alu instid0(SALU_CYCLE_1)
	s_mul_hi_u32 s83, s76, s81
	s_mul_i32 s82, s76, s81
	s_mul_hi_u32 s0, s76, s80
	s_mul_i32 s75, s77, s80
	s_wait_alu 0xfffe
	s_add_nc_u64 s[82:83], s[0:1], s[82:83]
	s_mul_hi_u32 s69, s77, s80
	s_mul_hi_u32 s84, s77, s81
	s_add_co_u32 s0, s82, s75
	s_wait_alu 0xfffe
	s_add_co_ci_u32 s0, s83, s69
	s_mul_i32 s80, s77, s81
	s_add_co_ci_u32 s81, s84, 0
	s_wait_alu 0xfffe
	s_add_nc_u64 s[80:81], s[0:1], s[80:81]
	s_delay_alu instid0(SALU_CYCLE_1) | instskip(SKIP_4) | instid1(SALU_CYCLE_1)
	s_add_co_u32 s76, s76, s80
	s_cselect_b32 s0, -1, 0
	s_wait_alu 0xfffe
	s_cmp_lg_u32 s0, 0
	s_add_co_ci_u32 s77, s77, s81
	s_mul_u64 s[78:79], s[78:79], s[76:77]
	s_delay_alu instid0(SALU_CYCLE_1)
	s_mul_hi_u32 s81, s76, s79
	s_mul_i32 s80, s76, s79
	s_mul_hi_u32 s0, s76, s78
	s_mul_i32 s75, s77, s78
	s_wait_alu 0xfffe
	s_add_nc_u64 s[80:81], s[0:1], s[80:81]
	s_mul_hi_u32 s69, s77, s78
	s_mul_hi_u32 s82, s77, s79
	s_add_co_u32 s0, s80, s75
	s_wait_alu 0xfffe
	s_add_co_ci_u32 s0, s81, s69
	s_mul_i32 s78, s77, s79
	s_add_co_ci_u32 s79, s82, 0
	s_wait_alu 0xfffe
	s_add_nc_u64 s[78:79], s[0:1], s[78:79]
	s_delay_alu instid0(SALU_CYCLE_1)
	s_add_co_u32 s0, s76, s78
	s_cselect_b32 s69, -1, 0
	s_wait_alu 0xfffe
	v_mul_hi_u32 v14, v2, s0
	s_cmp_lg_u32 s69, 0
	v_mad_co_u64_u32 v[20:21], null, v12, s0, 0
	s_add_co_ci_u32 s69, s77, s79
	s_wait_alu 0xfffe
	v_mad_co_u64_u32 v[7:8], null, v2, s69, 0
	v_mad_co_u64_u32 v[22:23], null, v12, s69, 0
	s_delay_alu instid0(VALU_DEP_2) | instskip(SKIP_1) | instid1(VALU_DEP_3)
	v_add_co_u32 v7, vcc_lo, v14, v7
	s_wait_alu 0xfffd
	v_add_co_ci_u32_e64 v8, null, 0, v8, vcc_lo
	s_delay_alu instid0(VALU_DEP_2) | instskip(SKIP_1) | instid1(VALU_DEP_2)
	v_add_co_u32 v7, vcc_lo, v7, v20
	s_wait_alu 0xfffd
	v_add_co_ci_u32_e32 v7, vcc_lo, v8, v21, vcc_lo
	s_wait_alu 0xfffd
	v_add_co_ci_u32_e32 v8, vcc_lo, 0, v23, vcc_lo
	s_delay_alu instid0(VALU_DEP_2) | instskip(SKIP_1) | instid1(VALU_DEP_2)
	v_add_co_u32 v14, vcc_lo, v7, v22
	s_wait_alu 0xfffd
	v_add_co_ci_u32_e64 v20, null, 0, v8, vcc_lo
	s_delay_alu instid0(VALU_DEP_2) | instskip(SKIP_1) | instid1(VALU_DEP_3)
	v_mul_lo_u32 v21, s71, v14
	v_mad_co_u64_u32 v[7:8], null, s70, v14, 0
	v_mul_lo_u32 v22, s70, v20
	s_delay_alu instid0(VALU_DEP_2) | instskip(NEXT) | instid1(VALU_DEP_2)
	v_sub_co_u32 v2, vcc_lo, v2, v7
	v_add3_u32 v8, v8, v22, v21
	s_delay_alu instid0(VALU_DEP_1) | instskip(SKIP_2) | instid1(VALU_DEP_2)
	v_sub_nc_u32_e32 v21, v12, v8
	s_wait_alu 0xfffd
	v_sub_co_ci_u32_e64 v8, null, v12, v8, vcc_lo
	v_subrev_co_ci_u32_e64 v7, null, s71, v21, vcc_lo
	v_add_co_u32 v21, s0, v14, 2
	s_wait_alu 0xf1ff
	v_add_co_ci_u32_e64 v22, null, 0, v20, s0
	v_sub_co_u32 v23, s0, v2, s70
	s_wait_alu 0xf1ff
	v_subrev_co_ci_u32_e64 v7, null, 0, v7, s0
	s_delay_alu instid0(VALU_DEP_2) | instskip(SKIP_2) | instid1(VALU_DEP_3)
	v_cmp_le_u32_e32 vcc_lo, s70, v23
	s_wait_alu 0xfffd
	v_cndmask_b32_e64 v12, 0, -1, vcc_lo
	v_cmp_le_u32_e32 vcc_lo, s71, v7
	s_wait_alu 0xfffd
	v_cndmask_b32_e64 v23, 0, -1, vcc_lo
	;; [unrolled: 3-line block ×4, first 2 shown]
	v_cmp_eq_u32_e32 vcc_lo, s71, v7
	s_wait_alu 0xfffd
	v_cndmask_b32_e32 v7, v23, v12, vcc_lo
	v_add_co_u32 v12, vcc_lo, v14, 1
	s_wait_alu 0xfffd
	v_add_co_ci_u32_e64 v23, null, 0, v20, vcc_lo
	v_cmp_eq_u32_e32 vcc_lo, s71, v8
	v_xor_b32_e32 v8, s68, v16
	s_wait_alu 0xfffd
	v_cndmask_b32_e32 v2, v24, v2, vcc_lo
	v_cmp_ne_u32_e32 vcc_lo, 0, v7
	s_delay_alu instid0(VALU_DEP_2) | instskip(SKIP_3) | instid1(VALU_DEP_1)
	v_cmp_ne_u32_e64 s0, 0, v2
	s_wait_alu 0xfffd
	v_dual_cndmask_b32 v7, v23, v22 :: v_dual_cndmask_b32 v2, v12, v21
	s_wait_alu 0xf1ff
	v_cndmask_b32_e64 v7, v20, v7, s0
	s_delay_alu instid0(VALU_DEP_2) | instskip(NEXT) | instid1(VALU_DEP_2)
	v_cndmask_b32_e64 v2, v14, v2, s0
	v_xor_b32_e32 v12, v7, v8
	s_delay_alu instid0(VALU_DEP_2) | instskip(NEXT) | instid1(VALU_DEP_1)
	v_xor_b32_e32 v2, v2, v8
	v_sub_co_u32 v7, vcc_lo, v2, v8
	s_wait_alu 0xfffd
	s_delay_alu instid0(VALU_DEP_3)
	v_sub_co_ci_u32_e64 v8, null, v12, v8, vcc_lo
	s_and_not1_saveexec_b32 s0, s67
	s_cbranch_execz .LBB47_37
.LBB47_40:                              ;   in Loop: Header=BB47_3 Depth=1
	v_cvt_f32_u32_e32 v2, s50
	s_sub_co_i32 s67, 0, s50
	s_delay_alu instid0(VALU_DEP_1) | instskip(NEXT) | instid1(TRANS32_DEP_1)
	v_rcp_iflag_f32_e32 v2, v2
	v_mul_f32_e32 v2, 0x4f7ffffe, v2
	s_delay_alu instid0(VALU_DEP_1) | instskip(SKIP_1) | instid1(VALU_DEP_1)
	v_cvt_u32_f32_e32 v2, v2
	s_wait_alu 0xfffe
	v_mul_lo_u32 v7, s67, v2
	s_delay_alu instid0(VALU_DEP_1) | instskip(NEXT) | instid1(VALU_DEP_1)
	v_mul_hi_u32 v7, v2, v7
	v_add_nc_u32_e32 v2, v2, v7
	s_delay_alu instid0(VALU_DEP_1) | instskip(NEXT) | instid1(VALU_DEP_1)
	v_mul_hi_u32 v2, v3, v2
	v_mul_lo_u32 v7, v2, s50
	v_add_nc_u32_e32 v8, 1, v2
	s_delay_alu instid0(VALU_DEP_2) | instskip(NEXT) | instid1(VALU_DEP_1)
	v_sub_nc_u32_e32 v7, v3, v7
	v_subrev_nc_u32_e32 v12, s50, v7
	v_cmp_le_u32_e32 vcc_lo, s50, v7
	s_wait_alu 0xfffd
	s_delay_alu instid0(VALU_DEP_2) | instskip(SKIP_1) | instid1(VALU_DEP_2)
	v_cndmask_b32_e32 v7, v7, v12, vcc_lo
	v_cndmask_b32_e32 v2, v2, v8, vcc_lo
	v_cmp_le_u32_e32 vcc_lo, s50, v7
	s_delay_alu instid0(VALU_DEP_2) | instskip(SKIP_1) | instid1(VALU_DEP_1)
	v_add_nc_u32_e32 v8, 1, v2
	s_wait_alu 0xfffd
	v_dual_cndmask_b32 v7, v2, v8 :: v_dual_mov_b32 v8, v1
	s_or_b32 exec_lo, exec_lo, s0
	s_delay_alu instid0(SALU_CYCLE_1)
	s_and_not1_b32 vcc_lo, exec_lo, s33
	s_wait_alu 0xfffe
	s_cbranch_vccz .LBB47_38
.LBB47_41:                              ;   in Loop: Header=BB47_3 Depth=1
	v_dual_mov_b32 v12, 0 :: v_dual_mov_b32 v21, 0
	v_mov_b32_e32 v14, 0
	v_mov_b32_e32 v20, 0
	;; [unrolled: 1-line block ×4, first 2 shown]
.LBB47_42:                              ;   in Loop: Header=BB47_3 Depth=1
	s_wait_loadcnt 0x6
	v_lshlrev_b32_e32 v17, 16, v17
	s_wait_loadcnt 0x4
	v_lshlrev_b32_e32 v19, 16, v19
	;; [unrolled: 2-line block ×4, first 2 shown]
	s_delay_alu instid0(VALU_DEP_2) | instskip(NEXT) | instid1(VALU_DEP_1)
	v_dual_add_f32 v2, v2, v19 :: v_dual_add_f32 v13, v17, v13
	v_dual_add_f32 v12, v12, v10 :: v_dual_add_f32 v13, v13, v21
	s_delay_alu instid0(VALU_DEP_1) | instskip(NEXT) | instid1(VALU_DEP_1)
	v_add_f32_e32 v13, v20, v13
	v_mul_f32_e32 v17, 0xbfb8aa3b, v13
	v_cmp_nlt_f32_e32 vcc_lo, 0x42ce8ed0, v13
	s_delay_alu instid0(VALU_DEP_2) | instskip(SKIP_1) | instid1(VALU_DEP_2)
	v_fma_f32 v20, 0xbfb8aa3b, v13, -v17
	v_rndne_f32_e32 v21, v17
	v_fmac_f32_e32 v20, 0xb2a5705f, v13
	s_delay_alu instid0(VALU_DEP_2) | instskip(NEXT) | instid1(VALU_DEP_1)
	v_sub_f32_e32 v17, v17, v21
	v_add_f32_e32 v17, v17, v20
	v_cvt_i32_f32_e32 v20, v21
	s_delay_alu instid0(VALU_DEP_2) | instskip(NEXT) | instid1(TRANS32_DEP_1)
	v_exp_f32_e32 v17, v17
	v_ldexp_f32 v17, v17, v20
	s_wait_alu 0xfffd
	s_delay_alu instid0(VALU_DEP_1) | instskip(SKIP_2) | instid1(VALU_DEP_2)
	v_cndmask_b32_e32 v17, 0, v17, vcc_lo
	v_cmp_ngt_f32_e32 vcc_lo, 0xc2b17218, v13
	s_wait_alu 0xfffd
	v_cndmask_b32_e32 v13, 0x7f800000, v17, vcc_lo
	s_delay_alu instid0(VALU_DEP_1) | instskip(NEXT) | instid1(VALU_DEP_1)
	v_add_f32_e32 v13, 1.0, v13
	v_div_scale_f32 v17, null, v13, v13, 1.0
	v_div_scale_f32 v22, vcc_lo, 1.0, v13, 1.0
	s_delay_alu instid0(VALU_DEP_2) | instskip(NEXT) | instid1(TRANS32_DEP_1)
	v_rcp_f32_e32 v20, v17
	v_fma_f32 v21, -v17, v20, 1.0
	s_delay_alu instid0(VALU_DEP_1) | instskip(NEXT) | instid1(VALU_DEP_1)
	v_fmac_f32_e32 v20, v21, v20
	v_mul_f32_e32 v21, v22, v20
	s_delay_alu instid0(VALU_DEP_1) | instskip(NEXT) | instid1(VALU_DEP_1)
	v_fma_f32 v23, -v17, v21, v22
	v_fmac_f32_e32 v21, v23, v20
	s_delay_alu instid0(VALU_DEP_1) | instskip(SKIP_1) | instid1(VALU_DEP_1)
	v_fma_f32 v17, -v17, v21, v22
	s_wait_alu 0xfffd
	v_div_fmas_f32 v17, v17, v20, v21
	s_delay_alu instid0(VALU_DEP_1) | instskip(NEXT) | instid1(VALU_DEP_1)
	v_div_fixup_f32 v17, v17, v13, 1.0
                                        ; implicit-def: $vgpr13
	v_fmac_f32_e32 v2, v12, v17
	s_delay_alu instid0(VALU_DEP_1)
	v_cmp_ngt_f32_e64 s0, 0x3f200000, |v2|
	s_and_saveexec_b32 s67, s0
	s_wait_alu 0xfffe
	s_xor_b32 s0, exec_lo, s67
	s_cbranch_execz .LBB47_44
; %bb.43:                               ;   in Loop: Header=BB47_3 Depth=1
	v_add_f32_e64 v10, |v2|, |v2|
	s_delay_alu instid0(VALU_DEP_1) | instskip(SKIP_1) | instid1(VALU_DEP_2)
	v_mul_f32_e32 v13, 0x3fb8aa3b, v10
	v_cmp_ngt_f32_e32 vcc_lo, 0xc2ce8ed0, v10
	v_rndne_f32_e32 v19, v13
	v_fma_f32 v20, 0x3fb8aa3b, v10, -v13
	s_delay_alu instid0(VALU_DEP_1) | instskip(SKIP_1) | instid1(VALU_DEP_2)
	v_dual_sub_f32 v13, v13, v19 :: v_dual_fmac_f32 v20, 0x32a5705f, v10
	v_cvt_i32_f32_e32 v19, v19
	v_add_f32_e32 v13, v13, v20
	s_delay_alu instid0(VALU_DEP_1) | instskip(NEXT) | instid1(TRANS32_DEP_1)
	v_exp_f32_e32 v13, v13
	v_ldexp_f32 v13, v13, v19
	s_wait_alu 0xfffd
	s_delay_alu instid0(VALU_DEP_1) | instskip(SKIP_2) | instid1(VALU_DEP_2)
	v_cndmask_b32_e32 v13, 0, v13, vcc_lo
	v_cmp_nlt_f32_e32 vcc_lo, 0x42b17218, v10
	s_wait_alu 0xfffd
	v_cndmask_b32_e32 v10, 0x7f800000, v13, vcc_lo
	s_delay_alu instid0(VALU_DEP_1) | instskip(NEXT) | instid1(VALU_DEP_1)
	v_add_f32_e32 v10, 1.0, v10
	v_rcp_f32_e32 v10, v10
	s_delay_alu instid0(TRANS32_DEP_1)
	v_fma_f32 v13, v10, -2.0, 1.0
.LBB47_44:                              ;   in Loop: Header=BB47_3 Depth=1
	s_wait_alu 0xfffe
	s_and_not1_saveexec_b32 s0, s0
	s_cbranch_execz .LBB47_46
; %bb.45:                               ;   in Loop: Header=BB47_3 Depth=1
	v_mul_f32_e32 v10, v2, v2
	s_delay_alu instid0(VALU_DEP_1) | instskip(NEXT) | instid1(VALU_DEP_1)
	v_fmaak_f32 v13, s73, v10, 0x3ca908c9
	v_fmaak_f32 v13, v10, v13, 0xbd5c1c4e
	s_delay_alu instid0(VALU_DEP_1) | instskip(NEXT) | instid1(VALU_DEP_1)
	v_fmaak_f32 v13, v10, v13, 0x3e088382
	v_fmaak_f32 v13, v10, v13, 0xbeaaaa99
	s_delay_alu instid0(VALU_DEP_1) | instskip(NEXT) | instid1(VALU_DEP_1)
	v_mul_f32_e64 v13, |v2|, v13
	v_fma_f32 v13, v10, v13, |v2|
.LBB47_46:                              ;   in Loop: Header=BB47_3 Depth=1
	s_wait_alu 0xfffe
	s_or_b32 exec_lo, exec_lo, s0
	v_lshlrev_b32_e32 v10, 16, v18
	v_lshlrev_b32_e32 v9, 16, v9
	v_mad_co_u64_u32 v[18:19], null, s64, v7, v[3:4]
	v_mul_lo_u32 v26, s65, v7
	v_mul_lo_u32 v27, v8, s20
	s_delay_alu instid0(VALU_DEP_4)
	v_add_f32_e32 v9, v10, v9
	v_mul_lo_u32 v28, v7, s21
	v_mul_lo_u32 v23, s59, v5
	;; [unrolled: 1-line block ×3, first 2 shown]
	s_mov_b32 s0, exec_lo
	v_add_f32_e32 v9, v9, v16
	s_delay_alu instid0(VALU_DEP_1) | instskip(NEXT) | instid1(VALU_DEP_1)
	v_add_f32_e32 v9, v14, v9
	v_mul_f32_e32 v10, 0xbfb8aa3b, v9
	v_cmp_nlt_f32_e32 vcc_lo, 0x42ce8ed0, v9
	s_delay_alu instid0(VALU_DEP_2) | instskip(SKIP_1) | instid1(VALU_DEP_2)
	v_fma_f32 v14, 0xbfb8aa3b, v9, -v10
	v_rndne_f32_e32 v16, v10
	v_fmac_f32_e32 v14, 0xb2a5705f, v9
	s_delay_alu instid0(VALU_DEP_2) | instskip(NEXT) | instid1(VALU_DEP_1)
	v_sub_f32_e32 v10, v10, v16
	v_add_f32_e32 v10, v10, v14
	v_cvt_i32_f32_e32 v14, v16
	s_delay_alu instid0(VALU_DEP_2) | instskip(NEXT) | instid1(TRANS32_DEP_1)
	v_exp_f32_e32 v10, v10
	v_ldexp_f32 v10, v10, v14
	s_wait_alu 0xfffd
	s_delay_alu instid0(VALU_DEP_1) | instskip(SKIP_2) | instid1(VALU_DEP_2)
	v_cndmask_b32_e32 v10, 0, v10, vcc_lo
	v_cmp_ngt_f32_e32 vcc_lo, 0xc2b17218, v9
	s_wait_alu 0xfffd
	v_cndmask_b32_e32 v9, 0x7f800000, v10, vcc_lo
	s_delay_alu instid0(VALU_DEP_1) | instskip(NEXT) | instid1(VALU_DEP_1)
	v_add_f32_e32 v16, 1.0, v9
	v_div_scale_f32 v14, null, v16, v16, 1.0
	v_div_scale_f32 v21, vcc_lo, 1.0, v16, 1.0
	s_delay_alu instid0(VALU_DEP_2) | instskip(NEXT) | instid1(TRANS32_DEP_1)
	v_rcp_f32_e32 v20, v14
	v_fma_f32 v9, -v14, v20, 1.0
	s_delay_alu instid0(VALU_DEP_1) | instskip(SKIP_1) | instid1(VALU_DEP_2)
	v_fmac_f32_e32 v20, v9, v20
	v_mad_co_u64_u32 v[9:10], null, s58, v5, 0
	v_mul_f32_e32 v22, v21, v20
	s_delay_alu instid0(VALU_DEP_2) | instskip(NEXT) | instid1(VALU_DEP_2)
	v_add3_u32 v10, v10, v24, v23
	v_fma_f32 v25, -v14, v22, v21
	s_delay_alu instid0(VALU_DEP_1) | instskip(SKIP_1) | instid1(VALU_DEP_2)
	v_fmac_f32_e32 v22, v25, v20
	v_mul_lo_u32 v25, s64, v8
	v_fma_f32 v8, -v14, v22, v21
	v_bfi_b32 v14, 0x7fffffff, v13, v2
	s_wait_loadcnt 0x0
	v_lshlrev_b32_e32 v2, 16, v11
	s_delay_alu instid0(VALU_DEP_4)
	v_add3_u32 v21, v26, v19, v25
	s_wait_alu 0xfffd
	v_div_fmas_f32 v13, v8, v20, v22
	v_mad_co_u64_u32 v[7:8], null, v7, s20, 0
	v_mul_lo_u32 v22, v18, s23
	v_mad_co_u64_u32 v[19:20], null, v18, s22, 0
	v_mul_lo_u32 v21, v21, s22
	v_sub_f32_e32 v2, v2, v14
	v_div_fixup_f32 v16, v13, v16, 1.0
	v_add3_u32 v8, v8, v28, v27
	v_add_co_u32 v18, vcc_lo, v3, v9
	s_wait_alu 0xfffd
	v_add_co_ci_u32_e64 v13, null, v4, v10, vcc_lo
	v_fma_f32 v23, v16, v2, v14
	v_add3_u32 v20, v20, v22, v21
	v_lshlrev_b64_e32 v[7:8], 1, v[7:8]
	s_delay_alu instid0(VALU_DEP_4) | instskip(NEXT) | instid1(VALU_DEP_4)
	v_or_b32_e32 v2, s55, v13
	v_bfe_u32 v21, v23, 16, 1
	s_delay_alu instid0(VALU_DEP_4) | instskip(NEXT) | instid1(VALU_DEP_4)
	v_lshlrev_b64_e32 v[19:20], 1, v[19:20]
	v_add_co_u32 v7, vcc_lo, s48, v7
	s_delay_alu instid0(VALU_DEP_3) | instskip(SKIP_2) | instid1(VALU_DEP_3)
	v_add3_u32 v21, v23, v21, 0x7fff
	s_wait_alu 0xfffd
	v_add_co_ci_u32_e64 v8, null, s49, v8, vcc_lo
	v_add_co_u32 v7, vcc_lo, v7, v19
	s_delay_alu instid0(VALU_DEP_3) | instskip(SKIP_1) | instid1(VALU_DEP_3)
	v_lshrrev_b32_e32 v21, 16, v21
	s_wait_alu 0xfffd
	v_add_co_ci_u32_e64 v8, null, v8, v20, vcc_lo
	v_cmp_o_f32_e32 vcc_lo, v23, v23
	s_wait_alu 0xfffd
	v_cndmask_b32_e32 v19, 0x7fc0, v21, vcc_lo
	global_store_b16 v[7:8], v19, off
                                        ; implicit-def: $vgpr7_vgpr8
	v_cmpx_ne_u64_e32 0, v[1:2]
	s_wait_alu 0xfffe
	s_xor_b32 s67, exec_lo, s0
	s_cbranch_execz .LBB47_48
; %bb.47:                               ;   in Loop: Header=BB47_3 Depth=1
	s_ashr_i32 s68, s55, 31
	v_ashrrev_i32_e32 v2, 31, v13
	s_wait_alu 0xfffe
	s_mov_b32 s69, s68
	s_wait_alu 0xfffe
	s_add_nc_u64 s[70:71], s[54:55], s[68:69]
	v_add_co_u32 v7, vcc_lo, v18, v2
	s_wait_alu 0xfffe
	s_xor_b64 s[70:71], s[70:71], s[68:69]
	s_wait_alu 0xfffd
	v_add_co_ci_u32_e64 v8, null, v13, v2, vcc_lo
	s_wait_alu 0xfffe
	s_cvt_f32_u32 s0, s70
	s_cvt_f32_u32 s69, s71
	s_sub_nc_u64 s[78:79], 0, s[70:71]
	v_xor_b32_e32 v13, v7, v2
	v_xor_b32_e32 v22, v8, v2
	s_wait_alu 0xfffe
	s_fmamk_f32 s0, s69, 0x4f800000, s0
	v_xor_b32_e32 v2, s68, v2
	s_wait_alu 0xfffe
	s_delay_alu instid0(SALU_CYCLE_1) | instskip(NEXT) | instid1(TRANS32_DEP_1)
	v_s_rcp_f32 s0, s0
	s_mul_f32 s0, s0, 0x5f7ffffc
	s_wait_alu 0xfffe
	s_delay_alu instid0(SALU_CYCLE_2) | instskip(SKIP_1) | instid1(SALU_CYCLE_2)
	s_mul_f32 s69, s0, 0x2f800000
	s_wait_alu 0xfffe
	s_trunc_f32 s69, s69
	s_wait_alu 0xfffe
	s_delay_alu instid0(SALU_CYCLE_2) | instskip(SKIP_2) | instid1(SALU_CYCLE_1)
	s_fmamk_f32 s0, s69, 0xcf800000, s0
	s_cvt_u32_f32 s77, s69
	s_wait_alu 0xfffe
	s_cvt_u32_f32 s76, s0
	s_delay_alu instid0(SALU_CYCLE_3) | instskip(NEXT) | instid1(SALU_CYCLE_1)
	s_mul_u64 s[80:81], s[78:79], s[76:77]
	s_mul_hi_u32 s83, s76, s81
	s_mul_i32 s82, s76, s81
	s_mul_hi_u32 s0, s76, s80
	s_mul_i32 s75, s77, s80
	s_wait_alu 0xfffe
	s_add_nc_u64 s[82:83], s[0:1], s[82:83]
	s_mul_hi_u32 s69, s77, s80
	s_mul_hi_u32 s84, s77, s81
	s_add_co_u32 s0, s82, s75
	s_wait_alu 0xfffe
	s_add_co_ci_u32 s0, s83, s69
	s_mul_i32 s80, s77, s81
	s_add_co_ci_u32 s81, s84, 0
	s_wait_alu 0xfffe
	s_add_nc_u64 s[80:81], s[0:1], s[80:81]
	s_delay_alu instid0(SALU_CYCLE_1) | instskip(SKIP_4) | instid1(SALU_CYCLE_1)
	s_add_co_u32 s76, s76, s80
	s_cselect_b32 s0, -1, 0
	s_wait_alu 0xfffe
	s_cmp_lg_u32 s0, 0
	s_add_co_ci_u32 s77, s77, s81
	s_mul_u64 s[78:79], s[78:79], s[76:77]
	s_delay_alu instid0(SALU_CYCLE_1)
	s_mul_hi_u32 s81, s76, s79
	s_mul_i32 s80, s76, s79
	s_mul_hi_u32 s0, s76, s78
	s_mul_i32 s75, s77, s78
	s_wait_alu 0xfffe
	s_add_nc_u64 s[80:81], s[0:1], s[80:81]
	s_mul_hi_u32 s69, s77, s78
	s_mul_hi_u32 s82, s77, s79
	s_add_co_u32 s0, s80, s75
	s_wait_alu 0xfffe
	s_add_co_ci_u32 s0, s81, s69
	s_mul_i32 s78, s77, s79
	s_add_co_ci_u32 s79, s82, 0
	s_wait_alu 0xfffe
	s_add_nc_u64 s[78:79], s[0:1], s[78:79]
	s_delay_alu instid0(SALU_CYCLE_1)
	s_add_co_u32 s0, s76, s78
	s_cselect_b32 s69, -1, 0
	s_wait_alu 0xfffe
	v_mul_hi_u32 v23, v13, s0
	s_cmp_lg_u32 s69, 0
	v_mad_co_u64_u32 v[18:19], null, v22, s0, 0
	s_add_co_ci_u32 s69, s77, s79
	s_wait_alu 0xfffe
	v_mad_co_u64_u32 v[7:8], null, v13, s69, 0
	v_mad_co_u64_u32 v[20:21], null, v22, s69, 0
	s_delay_alu instid0(VALU_DEP_2) | instskip(SKIP_1) | instid1(VALU_DEP_3)
	v_add_co_u32 v7, vcc_lo, v23, v7
	s_wait_alu 0xfffd
	v_add_co_ci_u32_e64 v8, null, 0, v8, vcc_lo
	s_delay_alu instid0(VALU_DEP_2) | instskip(SKIP_1) | instid1(VALU_DEP_2)
	v_add_co_u32 v7, vcc_lo, v7, v18
	s_wait_alu 0xfffd
	v_add_co_ci_u32_e32 v7, vcc_lo, v8, v19, vcc_lo
	s_wait_alu 0xfffd
	v_add_co_ci_u32_e32 v8, vcc_lo, 0, v21, vcc_lo
	s_delay_alu instid0(VALU_DEP_2) | instskip(SKIP_1) | instid1(VALU_DEP_2)
	v_add_co_u32 v18, vcc_lo, v7, v20
	s_wait_alu 0xfffd
	v_add_co_ci_u32_e64 v19, null, 0, v8, vcc_lo
	s_delay_alu instid0(VALU_DEP_2) | instskip(SKIP_1) | instid1(VALU_DEP_3)
	v_mul_lo_u32 v20, s71, v18
	v_mad_co_u64_u32 v[7:8], null, s70, v18, 0
	v_mul_lo_u32 v21, s70, v19
	s_delay_alu instid0(VALU_DEP_2) | instskip(NEXT) | instid1(VALU_DEP_2)
	v_sub_co_u32 v7, vcc_lo, v13, v7
	v_add3_u32 v8, v8, v21, v20
	s_delay_alu instid0(VALU_DEP_1) | instskip(SKIP_2) | instid1(VALU_DEP_2)
	v_sub_nc_u32_e32 v20, v22, v8
	s_wait_alu 0xfffd
	v_sub_co_ci_u32_e64 v8, null, v22, v8, vcc_lo
	v_subrev_co_ci_u32_e64 v13, null, s71, v20, vcc_lo
	v_add_co_u32 v20, s0, v18, 2
	s_wait_alu 0xf1ff
	v_add_co_ci_u32_e64 v21, null, 0, v19, s0
	v_sub_co_u32 v23, s0, v7, s70
	s_wait_alu 0xf1ff
	v_subrev_co_ci_u32_e64 v13, null, 0, v13, s0
	s_delay_alu instid0(VALU_DEP_2) | instskip(SKIP_2) | instid1(VALU_DEP_3)
	v_cmp_le_u32_e32 vcc_lo, s70, v23
	s_wait_alu 0xfffd
	v_cndmask_b32_e64 v22, 0, -1, vcc_lo
	v_cmp_le_u32_e32 vcc_lo, s71, v13
	s_wait_alu 0xfffd
	v_cndmask_b32_e64 v23, 0, -1, vcc_lo
	;; [unrolled: 3-line block ×4, first 2 shown]
	v_cmp_eq_u32_e32 vcc_lo, s71, v13
	s_wait_alu 0xfffd
	v_cndmask_b32_e32 v13, v23, v22, vcc_lo
	v_add_co_u32 v22, vcc_lo, v18, 1
	s_wait_alu 0xfffd
	v_add_co_ci_u32_e64 v23, null, 0, v19, vcc_lo
	v_cmp_eq_u32_e32 vcc_lo, s71, v8
	s_wait_alu 0xfffd
	v_cndmask_b32_e32 v7, v24, v7, vcc_lo
	v_cmp_ne_u32_e32 vcc_lo, 0, v13
	s_wait_alu 0xfffd
	v_cndmask_b32_e32 v8, v23, v21, vcc_lo
	s_delay_alu instid0(VALU_DEP_3) | instskip(SKIP_2) | instid1(VALU_DEP_2)
	v_cmp_ne_u32_e64 s0, 0, v7
	v_cndmask_b32_e32 v7, v22, v20, vcc_lo
	s_wait_alu 0xf1ff
	v_cndmask_b32_e64 v8, v19, v8, s0
	s_delay_alu instid0(VALU_DEP_2) | instskip(NEXT) | instid1(VALU_DEP_2)
	v_cndmask_b32_e64 v7, v18, v7, s0
                                        ; implicit-def: $vgpr18
	v_xor_b32_e32 v8, v8, v2
	s_delay_alu instid0(VALU_DEP_2) | instskip(NEXT) | instid1(VALU_DEP_1)
	v_xor_b32_e32 v7, v7, v2
	v_sub_co_u32 v7, vcc_lo, v7, v2
	s_wait_alu 0xfffd
	s_delay_alu instid0(VALU_DEP_3)
	v_sub_co_ci_u32_e64 v8, null, v8, v2, vcc_lo
.LBB47_48:                              ;   in Loop: Header=BB47_3 Depth=1
	s_wait_alu 0xfffe
	s_or_saveexec_b32 s0, s67
	v_cvt_f32_u32_e32 v13, s54
	s_wait_alu 0xfffe
	s_xor_b32 exec_lo, exec_lo, s0
	s_cbranch_execz .LBB47_50
; %bb.49:                               ;   in Loop: Header=BB47_3 Depth=1
	s_delay_alu instid0(VALU_DEP_1) | instskip(SKIP_1) | instid1(TRANS32_DEP_1)
	v_rcp_iflag_f32_e32 v2, v13
	s_sub_co_i32 s67, 0, s54
	v_mul_f32_e32 v2, 0x4f7ffffe, v2
	s_delay_alu instid0(VALU_DEP_1) | instskip(SKIP_1) | instid1(VALU_DEP_1)
	v_cvt_u32_f32_e32 v2, v2
	s_wait_alu 0xfffe
	v_mul_lo_u32 v7, s67, v2
	s_delay_alu instid0(VALU_DEP_1) | instskip(NEXT) | instid1(VALU_DEP_1)
	v_mul_hi_u32 v7, v2, v7
	v_add_nc_u32_e32 v2, v2, v7
	s_delay_alu instid0(VALU_DEP_1) | instskip(NEXT) | instid1(VALU_DEP_1)
	v_mul_hi_u32 v2, v18, v2
	v_mul_lo_u32 v7, v2, s54
	v_add_nc_u32_e32 v8, 1, v2
	s_delay_alu instid0(VALU_DEP_2) | instskip(NEXT) | instid1(VALU_DEP_1)
	v_sub_nc_u32_e32 v7, v18, v7
	v_subrev_nc_u32_e32 v18, s54, v7
	v_cmp_le_u32_e32 vcc_lo, s54, v7
	s_wait_alu 0xfffd
	s_delay_alu instid0(VALU_DEP_2) | instskip(NEXT) | instid1(VALU_DEP_1)
	v_dual_cndmask_b32 v7, v7, v18 :: v_dual_cndmask_b32 v2, v2, v8
	v_cmp_le_u32_e32 vcc_lo, s54, v7
	s_delay_alu instid0(VALU_DEP_2) | instskip(SKIP_1) | instid1(VALU_DEP_1)
	v_add_nc_u32_e32 v8, 1, v2
	s_wait_alu 0xfffd
	v_dual_cndmask_b32 v7, v2, v8 :: v_dual_mov_b32 v8, v1
.LBB47_50:                              ;   in Loop: Header=BB47_3 Depth=1
	s_or_b32 exec_lo, exec_lo, s0
	s_delay_alu instid0(VALU_DEP_1) | instskip(NEXT) | instid1(VALU_DEP_2)
	v_mul_lo_u32 v2, v8, s54
	v_mul_lo_u32 v20, v7, s55
	v_mad_co_u64_u32 v[18:19], null, v7, s54, 0
	v_mul_lo_u32 v22, v8, s24
	v_bfe_u32 v21, v17, 16, 1
	s_mov_b32 s0, exec_lo
	s_delay_alu instid0(VALU_DEP_1) | instskip(NEXT) | instid1(VALU_DEP_4)
	v_add3_u32 v21, v17, v21, 0x7fff
	v_add3_u32 v2, v19, v20, v2
	v_sub_co_u32 v8, vcc_lo, v9, v18
	v_mul_lo_u32 v20, v7, s25
	s_wait_alu 0xfffd
	s_delay_alu instid0(VALU_DEP_3) | instskip(NEXT) | instid1(VALU_DEP_3)
	v_sub_co_ci_u32_e64 v2, null, v10, v2, vcc_lo
	v_add_co_u32 v18, vcc_lo, v3, v8
	v_mad_co_u64_u32 v[9:10], null, v7, s24, 0
	s_wait_alu 0xfffd
	s_delay_alu instid0(VALU_DEP_3) | instskip(SKIP_3) | instid1(VALU_DEP_4)
	v_add_co_ci_u32_e64 v2, null, v4, v2, vcc_lo
	v_lshlrev_b64_e32 v[7:8], 2, v[5:6]
	v_alignbit_b32 v5, v6, v5, 30
	v_mul_lo_u32 v23, v18, s27
	v_mul_lo_u32 v2, v2, s26
	v_mad_co_u64_u32 v[18:19], null, v18, s26, 0
	s_delay_alu instid0(VALU_DEP_4)
	v_mul_lo_u32 v24, s4, v5
	v_mul_lo_u32 v25, s5, v7
	v_mad_co_u64_u32 v[5:6], null, s4, v7, s[4:5]
	v_add3_u32 v10, v10, v20, v22
	v_lshrrev_b32_e32 v20, 16, v21
	v_cmp_o_f32_e32 vcc_lo, v17, v17
	v_add3_u32 v19, v19, v23, v2
	s_delay_alu instid0(VALU_DEP_4)
	v_lshlrev_b64_e32 v[9:10], 1, v[9:10]
	v_add3_u32 v6, v25, v6, v24
	s_wait_alu 0xfffd
	v_cndmask_b32_e32 v21, 0x7fc0, v20, vcc_lo
	v_add_co_u32 v17, vcc_lo, v3, v5
	v_lshlrev_b64_e32 v[19:20], 1, v[18:19]
	s_wait_alu 0xfffd
	v_add_co_ci_u32_e64 v18, null, v4, v6, vcc_lo
	v_add_co_u32 v9, vcc_lo, s52, v9
	s_wait_alu 0xfffd
	v_add_co_ci_u32_e64 v10, null, s53, v10, vcc_lo
	s_delay_alu instid0(VALU_DEP_3) | instskip(NEXT) | instid1(VALU_DEP_3)
	v_or_b32_e32 v2, s55, v18
	v_add_co_u32 v9, vcc_lo, v9, v19
	s_wait_alu 0xfffd
	s_delay_alu instid0(VALU_DEP_3)
	v_add_co_ci_u32_e64 v10, null, v10, v20, vcc_lo
	global_store_b16 v[9:10], v21, off
                                        ; implicit-def: $vgpr9_vgpr10
	v_cmpx_ne_u64_e32 0, v[1:2]
	s_wait_alu 0xfffe
	s_xor_b32 s67, exec_lo, s0
	s_cbranch_execz .LBB47_52
; %bb.51:                               ;   in Loop: Header=BB47_3 Depth=1
	s_ashr_i32 s68, s55, 31
	v_ashrrev_i32_e32 v2, 31, v18
	s_wait_alu 0xfffe
	s_mov_b32 s69, s68
	s_wait_alu 0xfffe
	s_add_nc_u64 s[70:71], s[54:55], s[68:69]
	v_add_co_u32 v9, vcc_lo, v17, v2
	s_wait_alu 0xfffe
	s_xor_b64 s[70:71], s[70:71], s[68:69]
	s_wait_alu 0xfffd
	v_add_co_ci_u32_e64 v10, null, v18, v2, vcc_lo
	s_wait_alu 0xfffe
	s_cvt_f32_u32 s0, s70
	s_cvt_f32_u32 s69, s71
	s_sub_nc_u64 s[78:79], 0, s[70:71]
	v_xor_b32_e32 v21, v9, v2
	v_xor_b32_e32 v22, v10, v2
	s_wait_alu 0xfffe
	s_fmamk_f32 s0, s69, 0x4f800000, s0
	v_xor_b32_e32 v2, s68, v2
	s_wait_alu 0xfffe
	s_delay_alu instid0(SALU_CYCLE_1) | instskip(NEXT) | instid1(TRANS32_DEP_1)
	v_s_rcp_f32 s0, s0
	s_mul_f32 s0, s0, 0x5f7ffffc
	s_wait_alu 0xfffe
	s_delay_alu instid0(SALU_CYCLE_2) | instskip(SKIP_1) | instid1(SALU_CYCLE_2)
	s_mul_f32 s69, s0, 0x2f800000
	s_wait_alu 0xfffe
	s_trunc_f32 s69, s69
	s_wait_alu 0xfffe
	s_delay_alu instid0(SALU_CYCLE_2) | instskip(SKIP_2) | instid1(SALU_CYCLE_1)
	s_fmamk_f32 s0, s69, 0xcf800000, s0
	s_cvt_u32_f32 s77, s69
	s_wait_alu 0xfffe
	s_cvt_u32_f32 s76, s0
	s_delay_alu instid0(SALU_CYCLE_3) | instskip(NEXT) | instid1(SALU_CYCLE_1)
	s_mul_u64 s[80:81], s[78:79], s[76:77]
	s_mul_hi_u32 s83, s76, s81
	s_mul_i32 s82, s76, s81
	s_mul_hi_u32 s0, s76, s80
	s_mul_i32 s75, s77, s80
	s_wait_alu 0xfffe
	s_add_nc_u64 s[82:83], s[0:1], s[82:83]
	s_mul_hi_u32 s69, s77, s80
	s_mul_hi_u32 s84, s77, s81
	s_add_co_u32 s0, s82, s75
	s_wait_alu 0xfffe
	s_add_co_ci_u32 s0, s83, s69
	s_mul_i32 s80, s77, s81
	s_add_co_ci_u32 s81, s84, 0
	s_wait_alu 0xfffe
	s_add_nc_u64 s[80:81], s[0:1], s[80:81]
	s_delay_alu instid0(SALU_CYCLE_1) | instskip(SKIP_4) | instid1(SALU_CYCLE_1)
	s_add_co_u32 s76, s76, s80
	s_cselect_b32 s0, -1, 0
	s_wait_alu 0xfffe
	s_cmp_lg_u32 s0, 0
	s_add_co_ci_u32 s77, s77, s81
	s_mul_u64 s[78:79], s[78:79], s[76:77]
	s_delay_alu instid0(SALU_CYCLE_1)
	s_mul_hi_u32 s81, s76, s79
	s_mul_i32 s80, s76, s79
	s_mul_hi_u32 s0, s76, s78
	s_mul_i32 s75, s77, s78
	s_wait_alu 0xfffe
	s_add_nc_u64 s[80:81], s[0:1], s[80:81]
	s_mul_hi_u32 s69, s77, s78
	s_mul_hi_u32 s82, s77, s79
	s_add_co_u32 s0, s80, s75
	s_wait_alu 0xfffe
	s_add_co_ci_u32 s0, s81, s69
	s_mul_i32 s78, s77, s79
	s_add_co_ci_u32 s79, s82, 0
	s_wait_alu 0xfffe
	s_add_nc_u64 s[78:79], s[0:1], s[78:79]
	s_delay_alu instid0(SALU_CYCLE_1)
	s_add_co_u32 s0, s76, s78
	s_cselect_b32 s69, -1, 0
	s_wait_alu 0xfffe
	v_mul_hi_u32 v23, v21, s0
	s_cmp_lg_u32 s69, 0
	v_mad_co_u64_u32 v[17:18], null, v22, s0, 0
	s_add_co_ci_u32 s69, s77, s79
	s_wait_alu 0xfffe
	v_mad_co_u64_u32 v[9:10], null, v21, s69, 0
	v_mad_co_u64_u32 v[19:20], null, v22, s69, 0
	s_delay_alu instid0(VALU_DEP_2) | instskip(SKIP_1) | instid1(VALU_DEP_3)
	v_add_co_u32 v9, vcc_lo, v23, v9
	s_wait_alu 0xfffd
	v_add_co_ci_u32_e64 v10, null, 0, v10, vcc_lo
	s_delay_alu instid0(VALU_DEP_2) | instskip(SKIP_1) | instid1(VALU_DEP_2)
	v_add_co_u32 v9, vcc_lo, v9, v17
	s_wait_alu 0xfffd
	v_add_co_ci_u32_e32 v9, vcc_lo, v10, v18, vcc_lo
	s_wait_alu 0xfffd
	v_add_co_ci_u32_e32 v10, vcc_lo, 0, v20, vcc_lo
	s_delay_alu instid0(VALU_DEP_2) | instskip(SKIP_1) | instid1(VALU_DEP_2)
	v_add_co_u32 v17, vcc_lo, v9, v19
	s_wait_alu 0xfffd
	v_add_co_ci_u32_e64 v18, null, 0, v10, vcc_lo
	s_delay_alu instid0(VALU_DEP_2) | instskip(SKIP_1) | instid1(VALU_DEP_3)
	v_mul_lo_u32 v19, s71, v17
	v_mad_co_u64_u32 v[9:10], null, s70, v17, 0
	v_mul_lo_u32 v20, s70, v18
	s_delay_alu instid0(VALU_DEP_2) | instskip(NEXT) | instid1(VALU_DEP_2)
	v_sub_co_u32 v9, vcc_lo, v21, v9
	v_add3_u32 v10, v10, v20, v19
	v_add_co_u32 v20, s0, v17, 2
	s_wait_alu 0xf1ff
	v_add_co_ci_u32_e64 v21, null, 0, v18, s0
	s_delay_alu instid0(VALU_DEP_3) | instskip(SKIP_3) | instid1(VALU_DEP_3)
	v_sub_nc_u32_e32 v19, v22, v10
	v_sub_co_u32 v23, s0, v9, s70
	s_wait_alu 0xfffd
	v_sub_co_ci_u32_e64 v10, null, v22, v10, vcc_lo
	v_subrev_co_ci_u32_e64 v19, null, s71, v19, vcc_lo
	s_delay_alu instid0(VALU_DEP_3) | instskip(SKIP_1) | instid1(VALU_DEP_2)
	v_cmp_le_u32_e32 vcc_lo, s70, v23
	s_wait_alu 0xf1ff
	v_subrev_co_ci_u32_e64 v19, null, 0, v19, s0
	s_wait_alu 0xfffd
	v_cndmask_b32_e64 v22, 0, -1, vcc_lo
	s_delay_alu instid0(VALU_DEP_2)
	v_cmp_le_u32_e32 vcc_lo, s71, v19
	s_wait_alu 0xfffd
	v_cndmask_b32_e64 v23, 0, -1, vcc_lo
	v_cmp_le_u32_e32 vcc_lo, s70, v9
	s_wait_alu 0xfffd
	v_cndmask_b32_e64 v9, 0, -1, vcc_lo
	;; [unrolled: 3-line block ×3, first 2 shown]
	v_cmp_eq_u32_e32 vcc_lo, s71, v19
	s_wait_alu 0xfffd
	v_cndmask_b32_e32 v19, v23, v22, vcc_lo
	v_add_co_u32 v22, vcc_lo, v17, 1
	s_wait_alu 0xfffd
	v_add_co_ci_u32_e64 v23, null, 0, v18, vcc_lo
	v_cmp_eq_u32_e32 vcc_lo, s71, v10
	s_wait_alu 0xfffd
	v_cndmask_b32_e32 v9, v24, v9, vcc_lo
	v_cmp_ne_u32_e32 vcc_lo, 0, v19
	s_delay_alu instid0(VALU_DEP_2) | instskip(SKIP_3) | instid1(VALU_DEP_1)
	v_cmp_ne_u32_e64 s0, 0, v9
	s_wait_alu 0xfffd
	v_dual_cndmask_b32 v10, v23, v21 :: v_dual_cndmask_b32 v9, v22, v20
	s_wait_alu 0xf1ff
	v_cndmask_b32_e64 v10, v18, v10, s0
	s_delay_alu instid0(VALU_DEP_2) | instskip(NEXT) | instid1(VALU_DEP_2)
	v_cndmask_b32_e64 v9, v17, v9, s0
                                        ; implicit-def: $vgpr17
	v_xor_b32_e32 v10, v10, v2
	s_delay_alu instid0(VALU_DEP_2) | instskip(NEXT) | instid1(VALU_DEP_1)
	v_xor_b32_e32 v9, v9, v2
	v_sub_co_u32 v9, vcc_lo, v9, v2
	s_wait_alu 0xfffd
	s_delay_alu instid0(VALU_DEP_3)
	v_sub_co_ci_u32_e64 v10, null, v10, v2, vcc_lo
.LBB47_52:                              ;   in Loop: Header=BB47_3 Depth=1
	s_wait_alu 0xfffe
	s_and_not1_saveexec_b32 s0, s67
	s_cbranch_execz .LBB47_54
; %bb.53:                               ;   in Loop: Header=BB47_3 Depth=1
	v_rcp_iflag_f32_e32 v2, v13
	s_sub_co_i32 s67, 0, s54
	s_delay_alu instid0(TRANS32_DEP_1) | instskip(NEXT) | instid1(VALU_DEP_1)
	v_mul_f32_e32 v2, 0x4f7ffffe, v2
	v_cvt_u32_f32_e32 v2, v2
	s_wait_alu 0xfffe
	s_delay_alu instid0(VALU_DEP_1) | instskip(NEXT) | instid1(VALU_DEP_1)
	v_mul_lo_u32 v9, s67, v2
	v_mul_hi_u32 v9, v2, v9
	s_delay_alu instid0(VALU_DEP_1) | instskip(NEXT) | instid1(VALU_DEP_1)
	v_add_nc_u32_e32 v2, v2, v9
	v_mul_hi_u32 v2, v17, v2
	s_delay_alu instid0(VALU_DEP_1) | instskip(SKIP_1) | instid1(VALU_DEP_2)
	v_mul_lo_u32 v9, v2, s54
	v_add_nc_u32_e32 v10, 1, v2
	v_sub_nc_u32_e32 v9, v17, v9
	s_delay_alu instid0(VALU_DEP_1) | instskip(SKIP_2) | instid1(VALU_DEP_2)
	v_subrev_nc_u32_e32 v17, s54, v9
	v_cmp_le_u32_e32 vcc_lo, s54, v9
	s_wait_alu 0xfffd
	v_dual_cndmask_b32 v9, v9, v17 :: v_dual_cndmask_b32 v2, v2, v10
	s_delay_alu instid0(VALU_DEP_1) | instskip(NEXT) | instid1(VALU_DEP_2)
	v_cmp_le_u32_e32 vcc_lo, s54, v9
	v_add_nc_u32_e32 v10, 1, v2
	s_wait_alu 0xfffd
	s_delay_alu instid0(VALU_DEP_1)
	v_dual_cndmask_b32 v9, v2, v10 :: v_dual_mov_b32 v10, v1
.LBB47_54:                              ;   in Loop: Header=BB47_3 Depth=1
	s_wait_alu 0xfffe
	s_or_b32 exec_lo, exec_lo, s0
	s_delay_alu instid0(VALU_DEP_1) | instskip(NEXT) | instid1(VALU_DEP_2)
	v_mul_lo_u32 v2, v10, s54
	v_mul_lo_u32 v19, v9, s55
	v_mad_co_u64_u32 v[17:18], null, v9, s54, 0
	v_mul_lo_u32 v21, v9, s25
	v_bfe_u32 v20, v16, 16, 1
	s_mov_b32 s0, exec_lo
	s_delay_alu instid0(VALU_DEP_1) | instskip(NEXT) | instid1(VALU_DEP_4)
	v_add3_u32 v20, v16, v20, 0x7fff
	v_add3_u32 v2, v18, v19, v2
	v_sub_co_u32 v5, vcc_lo, v5, v17
	v_mul_lo_u32 v19, v10, s24
	v_mad_co_u64_u32 v[9:10], null, v9, s24, 0
	s_wait_alu 0xfffd
	v_sub_co_ci_u32_e64 v2, null, v6, v2, vcc_lo
	v_add_co_u32 v5, vcc_lo, v3, v5
	v_lshrrev_b32_e32 v20, 16, v20
	s_wait_alu 0xfffd
	s_delay_alu instid0(VALU_DEP_3)
	v_add_co_ci_u32_e64 v2, null, v4, v2, vcc_lo
	v_add_co_u32 v6, vcc_lo, v7, 2
	s_wait_alu 0xfffd
	v_add_co_ci_u32_e64 v22, null, 0, v8, vcc_lo
	v_mul_lo_u32 v23, v5, s27
	v_mul_lo_u32 v2, v2, s26
	v_mad_co_u64_u32 v[17:18], null, v5, s26, 0
	v_mul_lo_u32 v24, s5, v6
	v_mul_lo_u32 v22, s4, v22
	v_mad_co_u64_u32 v[5:6], null, s4, v6, 0
	v_add3_u32 v10, v10, v21, v19
	v_cmp_o_f32_e32 vcc_lo, v16, v16
	v_add3_u32 v18, v18, v23, v2
	s_delay_alu instid0(VALU_DEP_3)
	v_lshlrev_b64_e32 v[9:10], 1, v[9:10]
	v_add3_u32 v6, v6, v22, v24
	s_wait_alu 0xfffd
	v_cndmask_b32_e32 v20, 0x7fc0, v20, vcc_lo
	v_add_co_u32 v16, vcc_lo, v3, v5
	v_lshlrev_b64_e32 v[18:19], 1, v[17:18]
	s_wait_alu 0xfffd
	v_add_co_ci_u32_e64 v17, null, v4, v6, vcc_lo
	v_add_co_u32 v9, vcc_lo, s52, v9
	s_wait_alu 0xfffd
	v_add_co_ci_u32_e64 v10, null, s53, v10, vcc_lo
	s_delay_alu instid0(VALU_DEP_3) | instskip(NEXT) | instid1(VALU_DEP_3)
	v_or_b32_e32 v2, s55, v17
	v_add_co_u32 v9, vcc_lo, v9, v18
	s_wait_alu 0xfffd
	s_delay_alu instid0(VALU_DEP_3)
	v_add_co_ci_u32_e64 v10, null, v10, v19, vcc_lo
	global_store_b16 v[9:10], v20, off
                                        ; implicit-def: $vgpr9_vgpr10
	v_cmpx_ne_u64_e32 0, v[1:2]
	s_wait_alu 0xfffe
	s_xor_b32 s67, exec_lo, s0
	s_cbranch_execz .LBB47_56
; %bb.55:                               ;   in Loop: Header=BB47_3 Depth=1
	s_ashr_i32 s68, s55, 31
	v_ashrrev_i32_e32 v2, 31, v17
	s_wait_alu 0xfffe
	s_mov_b32 s69, s68
	s_wait_alu 0xfffe
	s_add_nc_u64 s[70:71], s[54:55], s[68:69]
	v_add_co_u32 v9, vcc_lo, v16, v2
	s_wait_alu 0xfffe
	s_xor_b64 s[70:71], s[70:71], s[68:69]
	s_wait_alu 0xfffd
	v_add_co_ci_u32_e64 v10, null, v17, v2, vcc_lo
	s_wait_alu 0xfffe
	s_cvt_f32_u32 s0, s70
	s_cvt_f32_u32 s69, s71
	s_sub_nc_u64 s[78:79], 0, s[70:71]
	v_xor_b32_e32 v20, v9, v2
	v_xor_b32_e32 v21, v10, v2
	s_wait_alu 0xfffe
	s_fmamk_f32 s0, s69, 0x4f800000, s0
	v_xor_b32_e32 v2, s68, v2
	s_wait_alu 0xfffe
	s_delay_alu instid0(SALU_CYCLE_1) | instskip(NEXT) | instid1(TRANS32_DEP_1)
	v_s_rcp_f32 s0, s0
	s_mul_f32 s0, s0, 0x5f7ffffc
	s_wait_alu 0xfffe
	s_delay_alu instid0(SALU_CYCLE_2) | instskip(SKIP_1) | instid1(SALU_CYCLE_2)
	s_mul_f32 s69, s0, 0x2f800000
	s_wait_alu 0xfffe
	s_trunc_f32 s69, s69
	s_wait_alu 0xfffe
	s_delay_alu instid0(SALU_CYCLE_2) | instskip(SKIP_2) | instid1(SALU_CYCLE_1)
	s_fmamk_f32 s0, s69, 0xcf800000, s0
	s_cvt_u32_f32 s77, s69
	s_wait_alu 0xfffe
	s_cvt_u32_f32 s76, s0
	s_delay_alu instid0(SALU_CYCLE_3) | instskip(NEXT) | instid1(SALU_CYCLE_1)
	s_mul_u64 s[80:81], s[78:79], s[76:77]
	s_mul_hi_u32 s83, s76, s81
	s_mul_i32 s82, s76, s81
	s_mul_hi_u32 s0, s76, s80
	s_mul_i32 s75, s77, s80
	s_wait_alu 0xfffe
	s_add_nc_u64 s[82:83], s[0:1], s[82:83]
	s_mul_hi_u32 s69, s77, s80
	s_mul_hi_u32 s84, s77, s81
	s_add_co_u32 s0, s82, s75
	s_wait_alu 0xfffe
	s_add_co_ci_u32 s0, s83, s69
	s_mul_i32 s80, s77, s81
	s_add_co_ci_u32 s81, s84, 0
	s_wait_alu 0xfffe
	s_add_nc_u64 s[80:81], s[0:1], s[80:81]
	s_delay_alu instid0(SALU_CYCLE_1) | instskip(SKIP_4) | instid1(SALU_CYCLE_1)
	s_add_co_u32 s76, s76, s80
	s_cselect_b32 s0, -1, 0
	s_wait_alu 0xfffe
	s_cmp_lg_u32 s0, 0
	s_add_co_ci_u32 s77, s77, s81
	s_mul_u64 s[78:79], s[78:79], s[76:77]
	s_delay_alu instid0(SALU_CYCLE_1)
	s_mul_hi_u32 s81, s76, s79
	s_mul_i32 s80, s76, s79
	s_mul_hi_u32 s0, s76, s78
	s_mul_i32 s75, s77, s78
	s_wait_alu 0xfffe
	s_add_nc_u64 s[80:81], s[0:1], s[80:81]
	s_mul_hi_u32 s69, s77, s78
	s_mul_hi_u32 s82, s77, s79
	s_add_co_u32 s0, s80, s75
	s_wait_alu 0xfffe
	s_add_co_ci_u32 s0, s81, s69
	s_mul_i32 s78, s77, s79
	s_add_co_ci_u32 s79, s82, 0
	s_wait_alu 0xfffe
	s_add_nc_u64 s[78:79], s[0:1], s[78:79]
	s_delay_alu instid0(SALU_CYCLE_1)
	s_add_co_u32 s0, s76, s78
	s_cselect_b32 s69, -1, 0
	s_wait_alu 0xfffe
	v_mul_hi_u32 v22, v20, s0
	s_cmp_lg_u32 s69, 0
	v_mad_co_u64_u32 v[16:17], null, v21, s0, 0
	s_add_co_ci_u32 s69, s77, s79
	s_wait_alu 0xfffe
	v_mad_co_u64_u32 v[9:10], null, v20, s69, 0
	v_mad_co_u64_u32 v[18:19], null, v21, s69, 0
	s_delay_alu instid0(VALU_DEP_2) | instskip(SKIP_1) | instid1(VALU_DEP_3)
	v_add_co_u32 v9, vcc_lo, v22, v9
	s_wait_alu 0xfffd
	v_add_co_ci_u32_e64 v10, null, 0, v10, vcc_lo
	s_delay_alu instid0(VALU_DEP_2) | instskip(SKIP_1) | instid1(VALU_DEP_2)
	v_add_co_u32 v9, vcc_lo, v9, v16
	s_wait_alu 0xfffd
	v_add_co_ci_u32_e32 v9, vcc_lo, v10, v17, vcc_lo
	s_wait_alu 0xfffd
	v_add_co_ci_u32_e32 v10, vcc_lo, 0, v19, vcc_lo
	s_delay_alu instid0(VALU_DEP_2) | instskip(SKIP_1) | instid1(VALU_DEP_2)
	v_add_co_u32 v16, vcc_lo, v9, v18
	s_wait_alu 0xfffd
	v_add_co_ci_u32_e64 v17, null, 0, v10, vcc_lo
	s_delay_alu instid0(VALU_DEP_2) | instskip(SKIP_1) | instid1(VALU_DEP_3)
	v_mul_lo_u32 v18, s71, v16
	v_mad_co_u64_u32 v[9:10], null, s70, v16, 0
	v_mul_lo_u32 v19, s70, v17
	s_delay_alu instid0(VALU_DEP_2) | instskip(NEXT) | instid1(VALU_DEP_2)
	v_sub_co_u32 v9, vcc_lo, v20, v9
	v_add3_u32 v10, v10, v19, v18
	v_add_co_u32 v19, s0, v16, 2
	s_wait_alu 0xf1ff
	v_add_co_ci_u32_e64 v20, null, 0, v17, s0
	s_delay_alu instid0(VALU_DEP_3) | instskip(SKIP_3) | instid1(VALU_DEP_3)
	v_sub_nc_u32_e32 v18, v21, v10
	v_sub_co_u32 v22, s0, v9, s70
	s_wait_alu 0xfffd
	v_sub_co_ci_u32_e64 v10, null, v21, v10, vcc_lo
	v_subrev_co_ci_u32_e64 v18, null, s71, v18, vcc_lo
	s_delay_alu instid0(VALU_DEP_3) | instskip(SKIP_1) | instid1(VALU_DEP_2)
	v_cmp_le_u32_e32 vcc_lo, s70, v22
	s_wait_alu 0xf1ff
	v_subrev_co_ci_u32_e64 v18, null, 0, v18, s0
	s_wait_alu 0xfffd
	v_cndmask_b32_e64 v21, 0, -1, vcc_lo
	s_delay_alu instid0(VALU_DEP_2)
	v_cmp_le_u32_e32 vcc_lo, s71, v18
	s_wait_alu 0xfffd
	v_cndmask_b32_e64 v22, 0, -1, vcc_lo
	v_cmp_le_u32_e32 vcc_lo, s70, v9
	s_wait_alu 0xfffd
	v_cndmask_b32_e64 v9, 0, -1, vcc_lo
	;; [unrolled: 3-line block ×3, first 2 shown]
	v_cmp_eq_u32_e32 vcc_lo, s71, v18
	s_wait_alu 0xfffd
	v_cndmask_b32_e32 v18, v22, v21, vcc_lo
	v_add_co_u32 v21, vcc_lo, v16, 1
	s_wait_alu 0xfffd
	v_add_co_ci_u32_e64 v22, null, 0, v17, vcc_lo
	v_cmp_eq_u32_e32 vcc_lo, s71, v10
	s_wait_alu 0xfffd
	v_cndmask_b32_e32 v9, v23, v9, vcc_lo
	v_cmp_ne_u32_e32 vcc_lo, 0, v18
	s_wait_alu 0xfffd
	v_cndmask_b32_e32 v10, v22, v20, vcc_lo
	s_delay_alu instid0(VALU_DEP_3) | instskip(SKIP_2) | instid1(VALU_DEP_2)
	v_cmp_ne_u32_e64 s0, 0, v9
	v_cndmask_b32_e32 v9, v21, v19, vcc_lo
	s_wait_alu 0xf1ff
	v_cndmask_b32_e64 v10, v17, v10, s0
	s_delay_alu instid0(VALU_DEP_2) | instskip(NEXT) | instid1(VALU_DEP_2)
	v_cndmask_b32_e64 v9, v16, v9, s0
                                        ; implicit-def: $vgpr16
	v_xor_b32_e32 v10, v10, v2
	s_delay_alu instid0(VALU_DEP_2) | instskip(NEXT) | instid1(VALU_DEP_1)
	v_xor_b32_e32 v9, v9, v2
	v_sub_co_u32 v9, vcc_lo, v9, v2
	s_wait_alu 0xfffd
	s_delay_alu instid0(VALU_DEP_3)
	v_sub_co_ci_u32_e64 v10, null, v10, v2, vcc_lo
.LBB47_56:                              ;   in Loop: Header=BB47_3 Depth=1
	s_wait_alu 0xfffe
	s_and_not1_saveexec_b32 s0, s67
	s_cbranch_execz .LBB47_58
; %bb.57:                               ;   in Loop: Header=BB47_3 Depth=1
	v_rcp_iflag_f32_e32 v2, v13
	s_sub_co_i32 s67, 0, s54
	s_delay_alu instid0(TRANS32_DEP_1) | instskip(NEXT) | instid1(VALU_DEP_1)
	v_mul_f32_e32 v2, 0x4f7ffffe, v2
	v_cvt_u32_f32_e32 v2, v2
	s_wait_alu 0xfffe
	s_delay_alu instid0(VALU_DEP_1) | instskip(NEXT) | instid1(VALU_DEP_1)
	v_mul_lo_u32 v9, s67, v2
	v_mul_hi_u32 v9, v2, v9
	s_delay_alu instid0(VALU_DEP_1) | instskip(NEXT) | instid1(VALU_DEP_1)
	v_add_nc_u32_e32 v2, v2, v9
	v_mul_hi_u32 v2, v16, v2
	s_delay_alu instid0(VALU_DEP_1) | instskip(SKIP_1) | instid1(VALU_DEP_2)
	v_mul_lo_u32 v9, v2, s54
	v_add_nc_u32_e32 v10, 1, v2
	v_sub_nc_u32_e32 v9, v16, v9
	s_delay_alu instid0(VALU_DEP_1) | instskip(SKIP_2) | instid1(VALU_DEP_2)
	v_subrev_nc_u32_e32 v16, s54, v9
	v_cmp_le_u32_e32 vcc_lo, s54, v9
	s_wait_alu 0xfffd
	v_dual_cndmask_b32 v9, v9, v16 :: v_dual_cndmask_b32 v2, v2, v10
	s_delay_alu instid0(VALU_DEP_1) | instskip(NEXT) | instid1(VALU_DEP_2)
	v_cmp_le_u32_e32 vcc_lo, s54, v9
	v_add_nc_u32_e32 v10, 1, v2
	s_wait_alu 0xfffd
	s_delay_alu instid0(VALU_DEP_1)
	v_dual_cndmask_b32 v9, v2, v10 :: v_dual_mov_b32 v10, v1
.LBB47_58:                              ;   in Loop: Header=BB47_3 Depth=1
	s_wait_alu 0xfffe
	s_or_b32 exec_lo, exec_lo, s0
	s_delay_alu instid0(VALU_DEP_1) | instskip(NEXT) | instid1(VALU_DEP_2)
	v_mul_lo_u32 v2, v10, s54
	v_mul_lo_u32 v18, v9, s55
	v_mad_co_u64_u32 v[16:17], null, v9, s54, 0
	v_mul_lo_u32 v20, v9, s25
	v_bfe_u32 v19, v14, 16, 1
	s_mov_b32 s0, exec_lo
	s_delay_alu instid0(VALU_DEP_1) | instskip(NEXT) | instid1(VALU_DEP_4)
	v_add3_u32 v19, v14, v19, 0x7fff
	v_add3_u32 v2, v17, v18, v2
	v_sub_co_u32 v5, vcc_lo, v5, v16
	v_mul_lo_u32 v18, v10, s24
	v_mad_co_u64_u32 v[9:10], null, v9, s24, 0
	s_wait_alu 0xfffd
	v_sub_co_ci_u32_e64 v2, null, v6, v2, vcc_lo
	v_add_co_u32 v5, vcc_lo, v3, v5
	v_lshrrev_b32_e32 v19, 16, v19
	s_wait_alu 0xfffd
	s_delay_alu instid0(VALU_DEP_3)
	v_add_co_ci_u32_e64 v2, null, v4, v2, vcc_lo
	v_add_co_u32 v6, vcc_lo, v7, 3
	s_wait_alu 0xfffd
	v_add_co_ci_u32_e64 v21, null, 0, v8, vcc_lo
	v_mul_lo_u32 v22, v5, s27
	v_mul_lo_u32 v2, v2, s26
	v_mad_co_u64_u32 v[16:17], null, v5, s26, 0
	v_mul_lo_u32 v23, s5, v6
	v_mul_lo_u32 v21, s4, v21
	v_mad_co_u64_u32 v[5:6], null, s4, v6, 0
	v_add3_u32 v10, v10, v20, v18
	v_cmp_o_f32_e32 vcc_lo, v14, v14
	v_add3_u32 v17, v17, v22, v2
	s_delay_alu instid0(VALU_DEP_3)
	v_lshlrev_b64_e32 v[9:10], 1, v[9:10]
	v_add3_u32 v6, v6, v21, v23
	s_wait_alu 0xfffd
	v_cndmask_b32_e32 v19, 0x7fc0, v19, vcc_lo
	v_add_co_u32 v14, vcc_lo, v3, v5
	v_lshlrev_b64_e32 v[17:18], 1, v[16:17]
	s_wait_alu 0xfffd
	v_add_co_ci_u32_e64 v16, null, v4, v6, vcc_lo
	v_add_co_u32 v9, vcc_lo, s52, v9
	s_wait_alu 0xfffd
	v_add_co_ci_u32_e64 v10, null, s53, v10, vcc_lo
	s_delay_alu instid0(VALU_DEP_3) | instskip(NEXT) | instid1(VALU_DEP_3)
	v_or_b32_e32 v2, s55, v16
	v_add_co_u32 v9, vcc_lo, v9, v17
	s_wait_alu 0xfffd
	s_delay_alu instid0(VALU_DEP_3)
	v_add_co_ci_u32_e64 v10, null, v10, v18, vcc_lo
	global_store_b16 v[9:10], v19, off
                                        ; implicit-def: $vgpr9_vgpr10
	v_cmpx_ne_u64_e32 0, v[1:2]
	s_wait_alu 0xfffe
	s_xor_b32 s67, exec_lo, s0
	s_cbranch_execz .LBB47_60
; %bb.59:                               ;   in Loop: Header=BB47_3 Depth=1
	s_ashr_i32 s68, s55, 31
	v_ashrrev_i32_e32 v2, 31, v16
	s_wait_alu 0xfffe
	s_mov_b32 s69, s68
	s_wait_alu 0xfffe
	s_add_nc_u64 s[70:71], s[54:55], s[68:69]
	v_add_co_u32 v9, vcc_lo, v14, v2
	s_wait_alu 0xfffe
	s_xor_b64 s[70:71], s[70:71], s[68:69]
	s_wait_alu 0xfffd
	v_add_co_ci_u32_e64 v10, null, v16, v2, vcc_lo
	s_wait_alu 0xfffe
	s_cvt_f32_u32 s0, s70
	s_cvt_f32_u32 s69, s71
	s_sub_nc_u64 s[78:79], 0, s[70:71]
	v_xor_b32_e32 v14, v9, v2
	v_xor_b32_e32 v20, v10, v2
	s_wait_alu 0xfffe
	s_fmamk_f32 s0, s69, 0x4f800000, s0
	v_xor_b32_e32 v2, s68, v2
	s_wait_alu 0xfffe
	s_delay_alu instid0(SALU_CYCLE_1) | instskip(NEXT) | instid1(TRANS32_DEP_1)
	v_s_rcp_f32 s0, s0
	s_mul_f32 s0, s0, 0x5f7ffffc
	s_wait_alu 0xfffe
	s_delay_alu instid0(SALU_CYCLE_2) | instskip(SKIP_1) | instid1(SALU_CYCLE_2)
	s_mul_f32 s69, s0, 0x2f800000
	s_wait_alu 0xfffe
	s_trunc_f32 s69, s69
	s_wait_alu 0xfffe
	s_delay_alu instid0(SALU_CYCLE_2) | instskip(SKIP_2) | instid1(SALU_CYCLE_1)
	s_fmamk_f32 s0, s69, 0xcf800000, s0
	s_cvt_u32_f32 s77, s69
	s_wait_alu 0xfffe
	s_cvt_u32_f32 s76, s0
	s_delay_alu instid0(SALU_CYCLE_3) | instskip(NEXT) | instid1(SALU_CYCLE_1)
	s_mul_u64 s[80:81], s[78:79], s[76:77]
	s_mul_hi_u32 s83, s76, s81
	s_mul_i32 s82, s76, s81
	s_mul_hi_u32 s0, s76, s80
	s_mul_i32 s75, s77, s80
	s_wait_alu 0xfffe
	s_add_nc_u64 s[82:83], s[0:1], s[82:83]
	s_mul_hi_u32 s69, s77, s80
	s_mul_hi_u32 s84, s77, s81
	s_add_co_u32 s0, s82, s75
	s_wait_alu 0xfffe
	s_add_co_ci_u32 s0, s83, s69
	s_mul_i32 s80, s77, s81
	s_add_co_ci_u32 s81, s84, 0
	s_wait_alu 0xfffe
	s_add_nc_u64 s[80:81], s[0:1], s[80:81]
	s_delay_alu instid0(SALU_CYCLE_1) | instskip(SKIP_4) | instid1(SALU_CYCLE_1)
	s_add_co_u32 s76, s76, s80
	s_cselect_b32 s0, -1, 0
	s_wait_alu 0xfffe
	s_cmp_lg_u32 s0, 0
	s_add_co_ci_u32 s77, s77, s81
	s_mul_u64 s[78:79], s[78:79], s[76:77]
	s_delay_alu instid0(SALU_CYCLE_1)
	s_mul_hi_u32 s81, s76, s79
	s_mul_i32 s80, s76, s79
	s_mul_hi_u32 s0, s76, s78
	s_mul_i32 s75, s77, s78
	s_wait_alu 0xfffe
	s_add_nc_u64 s[80:81], s[0:1], s[80:81]
	s_mul_hi_u32 s69, s77, s78
	s_mul_hi_u32 s82, s77, s79
	s_add_co_u32 s0, s80, s75
	s_wait_alu 0xfffe
	s_add_co_ci_u32 s0, s81, s69
	s_mul_i32 s78, s77, s79
	s_add_co_ci_u32 s79, s82, 0
	s_wait_alu 0xfffe
	s_add_nc_u64 s[78:79], s[0:1], s[78:79]
	s_delay_alu instid0(SALU_CYCLE_1)
	s_add_co_u32 s0, s76, s78
	s_cselect_b32 s69, -1, 0
	s_wait_alu 0xfffe
	v_mul_hi_u32 v21, v14, s0
	s_cmp_lg_u32 s69, 0
	v_mad_co_u64_u32 v[16:17], null, v20, s0, 0
	s_add_co_ci_u32 s69, s77, s79
	s_wait_alu 0xfffe
	v_mad_co_u64_u32 v[9:10], null, v14, s69, 0
	v_mad_co_u64_u32 v[18:19], null, v20, s69, 0
	s_delay_alu instid0(VALU_DEP_2) | instskip(SKIP_1) | instid1(VALU_DEP_3)
	v_add_co_u32 v9, vcc_lo, v21, v9
	s_wait_alu 0xfffd
	v_add_co_ci_u32_e64 v10, null, 0, v10, vcc_lo
	s_delay_alu instid0(VALU_DEP_2) | instskip(SKIP_1) | instid1(VALU_DEP_2)
	v_add_co_u32 v9, vcc_lo, v9, v16
	s_wait_alu 0xfffd
	v_add_co_ci_u32_e32 v9, vcc_lo, v10, v17, vcc_lo
	s_wait_alu 0xfffd
	v_add_co_ci_u32_e32 v10, vcc_lo, 0, v19, vcc_lo
	s_delay_alu instid0(VALU_DEP_2) | instskip(SKIP_1) | instid1(VALU_DEP_2)
	v_add_co_u32 v16, vcc_lo, v9, v18
	s_wait_alu 0xfffd
	v_add_co_ci_u32_e64 v17, null, 0, v10, vcc_lo
	s_delay_alu instid0(VALU_DEP_2) | instskip(SKIP_1) | instid1(VALU_DEP_3)
	v_mul_lo_u32 v18, s71, v16
	v_mad_co_u64_u32 v[9:10], null, s70, v16, 0
	v_mul_lo_u32 v19, s70, v17
	s_delay_alu instid0(VALU_DEP_2) | instskip(NEXT) | instid1(VALU_DEP_2)
	v_sub_co_u32 v9, vcc_lo, v14, v9
	v_add3_u32 v10, v10, v19, v18
	s_delay_alu instid0(VALU_DEP_1) | instskip(SKIP_2) | instid1(VALU_DEP_2)
	v_sub_nc_u32_e32 v18, v20, v10
	s_wait_alu 0xfffd
	v_sub_co_ci_u32_e64 v10, null, v20, v10, vcc_lo
	v_subrev_co_ci_u32_e64 v14, null, s71, v18, vcc_lo
	v_add_co_u32 v18, s0, v16, 2
	s_wait_alu 0xf1ff
	v_add_co_ci_u32_e64 v19, null, 0, v17, s0
	v_sub_co_u32 v21, s0, v9, s70
	s_wait_alu 0xf1ff
	v_subrev_co_ci_u32_e64 v14, null, 0, v14, s0
	s_delay_alu instid0(VALU_DEP_2) | instskip(SKIP_2) | instid1(VALU_DEP_3)
	v_cmp_le_u32_e32 vcc_lo, s70, v21
	s_wait_alu 0xfffd
	v_cndmask_b32_e64 v20, 0, -1, vcc_lo
	v_cmp_le_u32_e32 vcc_lo, s71, v14
	s_wait_alu 0xfffd
	v_cndmask_b32_e64 v21, 0, -1, vcc_lo
	v_cmp_le_u32_e32 vcc_lo, s70, v9
	s_wait_alu 0xfffd
	v_cndmask_b32_e64 v9, 0, -1, vcc_lo
	v_cmp_le_u32_e32 vcc_lo, s71, v10
	s_wait_alu 0xfffd
	v_cndmask_b32_e64 v22, 0, -1, vcc_lo
	v_cmp_eq_u32_e32 vcc_lo, s71, v14
	s_wait_alu 0xfffd
	v_cndmask_b32_e32 v14, v21, v20, vcc_lo
	v_add_co_u32 v20, vcc_lo, v16, 1
	s_wait_alu 0xfffd
	v_add_co_ci_u32_e64 v21, null, 0, v17, vcc_lo
	v_cmp_eq_u32_e32 vcc_lo, s71, v10
	s_wait_alu 0xfffd
	v_cndmask_b32_e32 v9, v22, v9, vcc_lo
	v_cmp_ne_u32_e32 vcc_lo, 0, v14
                                        ; implicit-def: $vgpr14
	s_delay_alu instid0(VALU_DEP_2) | instskip(SKIP_3) | instid1(VALU_DEP_1)
	v_cmp_ne_u32_e64 s0, 0, v9
	s_wait_alu 0xfffd
	v_dual_cndmask_b32 v10, v21, v19 :: v_dual_cndmask_b32 v9, v20, v18
	s_wait_alu 0xf1ff
	v_cndmask_b32_e64 v10, v17, v10, s0
	s_delay_alu instid0(VALU_DEP_2) | instskip(NEXT) | instid1(VALU_DEP_2)
	v_cndmask_b32_e64 v9, v16, v9, s0
	v_xor_b32_e32 v10, v10, v2
	s_delay_alu instid0(VALU_DEP_2) | instskip(NEXT) | instid1(VALU_DEP_1)
	v_xor_b32_e32 v9, v9, v2
	v_sub_co_u32 v9, vcc_lo, v9, v2
	s_wait_alu 0xfffd
	s_delay_alu instid0(VALU_DEP_3)
	v_sub_co_ci_u32_e64 v10, null, v10, v2, vcc_lo
.LBB47_60:                              ;   in Loop: Header=BB47_3 Depth=1
	s_wait_alu 0xfffe
	s_and_not1_saveexec_b32 s0, s67
	s_cbranch_execz .LBB47_62
; %bb.61:                               ;   in Loop: Header=BB47_3 Depth=1
	v_rcp_iflag_f32_e32 v2, v13
	s_sub_co_i32 s67, 0, s54
	s_delay_alu instid0(TRANS32_DEP_1) | instskip(NEXT) | instid1(VALU_DEP_1)
	v_mul_f32_e32 v2, 0x4f7ffffe, v2
	v_cvt_u32_f32_e32 v2, v2
	s_wait_alu 0xfffe
	s_delay_alu instid0(VALU_DEP_1) | instskip(NEXT) | instid1(VALU_DEP_1)
	v_mul_lo_u32 v9, s67, v2
	v_mul_hi_u32 v9, v2, v9
	s_delay_alu instid0(VALU_DEP_1) | instskip(NEXT) | instid1(VALU_DEP_1)
	v_add_nc_u32_e32 v2, v2, v9
	v_mul_hi_u32 v2, v14, v2
	s_delay_alu instid0(VALU_DEP_1) | instskip(SKIP_1) | instid1(VALU_DEP_2)
	v_mul_lo_u32 v9, v2, s54
	v_add_nc_u32_e32 v10, 1, v2
	v_sub_nc_u32_e32 v9, v14, v9
	s_delay_alu instid0(VALU_DEP_1) | instskip(SKIP_2) | instid1(VALU_DEP_2)
	v_subrev_nc_u32_e32 v14, s54, v9
	v_cmp_le_u32_e32 vcc_lo, s54, v9
	s_wait_alu 0xfffd
	v_cndmask_b32_e32 v9, v9, v14, vcc_lo
	v_cndmask_b32_e32 v2, v2, v10, vcc_lo
	s_delay_alu instid0(VALU_DEP_2) | instskip(NEXT) | instid1(VALU_DEP_2)
	v_cmp_le_u32_e32 vcc_lo, s54, v9
	v_add_nc_u32_e32 v10, 1, v2
	s_wait_alu 0xfffd
	s_delay_alu instid0(VALU_DEP_1)
	v_dual_cndmask_b32 v9, v2, v10 :: v_dual_mov_b32 v10, v1
.LBB47_62:                              ;   in Loop: Header=BB47_3 Depth=1
	s_wait_alu 0xfffe
	s_or_b32 exec_lo, exec_lo, s0
	s_delay_alu instid0(VALU_DEP_1) | instskip(NEXT) | instid1(VALU_DEP_2)
	v_mul_lo_u32 v2, v10, s54
	v_mul_lo_u32 v14, v9, s55
	v_mad_co_u64_u32 v[16:17], null, v9, s54, 0
	v_mul_lo_u32 v18, v10, s24
	s_mov_b32 s0, exec_lo
	s_delay_alu instid0(VALU_DEP_2) | instskip(NEXT) | instid1(VALU_DEP_3)
	v_add3_u32 v2, v17, v14, v2
	v_sub_co_u32 v5, vcc_lo, v5, v16
	v_mul_lo_u32 v14, v9, s25
	v_mad_co_u64_u32 v[9:10], null, v9, s24, 0
	s_wait_alu 0xfffd
	v_sub_co_ci_u32_e64 v2, null, v6, v2, vcc_lo
	v_add_co_u32 v5, vcc_lo, v3, v5
	s_wait_alu 0xfffd
	s_delay_alu instid0(VALU_DEP_2)
	v_add_co_ci_u32_e64 v2, null, v4, v2, vcc_lo
	v_add_co_u32 v6, vcc_lo, v7, 4
	s_wait_alu 0xfffd
	v_add_co_ci_u32_e64 v16, null, 0, v8, vcc_lo
	v_mul_lo_u32 v17, v5, s27
	v_mul_lo_u32 v2, v2, s26
	v_mad_co_u64_u32 v[7:8], null, v5, s26, 0
	v_mul_lo_u32 v19, s5, v6
	v_mul_lo_u32 v20, s4, v16
	v_mad_co_u64_u32 v[5:6], null, s4, v6, 0
	v_add3_u32 v10, v10, v14, v18
	v_add3_u32 v8, v8, v17, v2
	s_delay_alu instid0(VALU_DEP_2) | instskip(NEXT) | instid1(VALU_DEP_4)
	v_lshlrev_b64_e32 v[16:17], 1, v[9:10]
	v_add3_u32 v6, v6, v20, v19
	v_add_co_u32 v9, vcc_lo, v3, v5
	s_delay_alu instid0(VALU_DEP_4) | instskip(SKIP_1) | instid1(VALU_DEP_3)
	v_lshlrev_b64_e32 v[7:8], 1, v[7:8]
	s_wait_alu 0xfffd
	v_add_co_ci_u32_e64 v10, null, v4, v6, vcc_lo
	v_add_co_u32 v14, vcc_lo, s52, v16
	s_wait_alu 0xfffd
	v_add_co_ci_u32_e64 v16, null, s53, v17, vcc_lo
	s_delay_alu instid0(VALU_DEP_3) | instskip(NEXT) | instid1(VALU_DEP_3)
	v_or_b32_e32 v2, s55, v10
	v_add_co_u32 v7, vcc_lo, v14, v7
	s_wait_alu 0xfffd
	s_delay_alu instid0(VALU_DEP_3)
	v_add_co_ci_u32_e64 v8, null, v16, v8, vcc_lo
	global_store_b16 v[7:8], v11, off
                                        ; implicit-def: $vgpr7_vgpr8
	v_cmpx_ne_u64_e32 0, v[1:2]
	s_wait_alu 0xfffe
	s_xor_b32 s67, exec_lo, s0
	s_cbranch_execz .LBB47_64
; %bb.63:                               ;   in Loop: Header=BB47_3 Depth=1
	s_ashr_i32 s68, s55, 31
	v_ashrrev_i32_e32 v2, 31, v10
	s_wait_alu 0xfffe
	s_mov_b32 s69, s68
	s_wait_alu 0xfffe
	s_add_nc_u64 s[70:71], s[54:55], s[68:69]
	v_add_co_u32 v7, vcc_lo, v9, v2
	s_wait_alu 0xfffe
	s_xor_b64 s[70:71], s[70:71], s[68:69]
	s_wait_alu 0xfffd
	v_add_co_ci_u32_e64 v8, null, v10, v2, vcc_lo
	s_wait_alu 0xfffe
	s_cvt_f32_u32 s0, s70
	s_cvt_f32_u32 s69, s71
	s_sub_nc_u64 s[78:79], 0, s[70:71]
	v_xor_b32_e32 v11, v7, v2
	v_xor_b32_e32 v16, v8, v2
	s_wait_alu 0xfffe
	s_fmamk_f32 s0, s69, 0x4f800000, s0
	v_xor_b32_e32 v2, s68, v2
	s_wait_alu 0xfffe
	s_delay_alu instid0(SALU_CYCLE_1) | instskip(NEXT) | instid1(TRANS32_DEP_1)
	v_s_rcp_f32 s0, s0
	s_mul_f32 s0, s0, 0x5f7ffffc
	s_wait_alu 0xfffe
	s_delay_alu instid0(SALU_CYCLE_2) | instskip(SKIP_1) | instid1(SALU_CYCLE_2)
	s_mul_f32 s69, s0, 0x2f800000
	s_wait_alu 0xfffe
	s_trunc_f32 s69, s69
	s_wait_alu 0xfffe
	s_delay_alu instid0(SALU_CYCLE_2) | instskip(SKIP_2) | instid1(SALU_CYCLE_1)
	s_fmamk_f32 s0, s69, 0xcf800000, s0
	s_cvt_u32_f32 s77, s69
	s_wait_alu 0xfffe
	s_cvt_u32_f32 s76, s0
	s_delay_alu instid0(SALU_CYCLE_3) | instskip(NEXT) | instid1(SALU_CYCLE_1)
	s_mul_u64 s[80:81], s[78:79], s[76:77]
	s_mul_hi_u32 s83, s76, s81
	s_mul_i32 s82, s76, s81
	s_mul_hi_u32 s0, s76, s80
	s_mul_i32 s75, s77, s80
	s_wait_alu 0xfffe
	s_add_nc_u64 s[82:83], s[0:1], s[82:83]
	s_mul_hi_u32 s69, s77, s80
	s_mul_hi_u32 s84, s77, s81
	s_add_co_u32 s0, s82, s75
	s_wait_alu 0xfffe
	s_add_co_ci_u32 s0, s83, s69
	s_mul_i32 s80, s77, s81
	s_add_co_ci_u32 s81, s84, 0
	s_wait_alu 0xfffe
	s_add_nc_u64 s[80:81], s[0:1], s[80:81]
	s_delay_alu instid0(SALU_CYCLE_1) | instskip(SKIP_4) | instid1(SALU_CYCLE_1)
	s_add_co_u32 s76, s76, s80
	s_cselect_b32 s0, -1, 0
	s_wait_alu 0xfffe
	s_cmp_lg_u32 s0, 0
	s_add_co_ci_u32 s77, s77, s81
	s_mul_u64 s[78:79], s[78:79], s[76:77]
	s_delay_alu instid0(SALU_CYCLE_1)
	s_mul_hi_u32 s81, s76, s79
	s_mul_i32 s80, s76, s79
	s_mul_hi_u32 s0, s76, s78
	s_mul_i32 s75, s77, s78
	s_wait_alu 0xfffe
	s_add_nc_u64 s[80:81], s[0:1], s[80:81]
	s_mul_hi_u32 s69, s77, s78
	s_mul_hi_u32 s82, s77, s79
	s_add_co_u32 s0, s80, s75
	s_wait_alu 0xfffe
	s_add_co_ci_u32 s0, s81, s69
	s_mul_i32 s78, s77, s79
	s_add_co_ci_u32 s79, s82, 0
	s_wait_alu 0xfffe
	s_add_nc_u64 s[78:79], s[0:1], s[78:79]
	s_delay_alu instid0(SALU_CYCLE_1)
	s_add_co_u32 s0, s76, s78
	s_cselect_b32 s69, -1, 0
	s_wait_alu 0xfffe
	v_mul_hi_u32 v17, v11, s0
	s_cmp_lg_u32 s69, 0
	v_mad_co_u64_u32 v[9:10], null, v16, s0, 0
	s_add_co_ci_u32 s69, s77, s79
	s_wait_alu 0xfffe
	v_mad_co_u64_u32 v[7:8], null, v11, s69, 0
	v_mad_co_u64_u32 v[13:14], null, v16, s69, 0
	s_delay_alu instid0(VALU_DEP_2) | instskip(SKIP_1) | instid1(VALU_DEP_3)
	v_add_co_u32 v7, vcc_lo, v17, v7
	s_wait_alu 0xfffd
	v_add_co_ci_u32_e64 v8, null, 0, v8, vcc_lo
	s_delay_alu instid0(VALU_DEP_2) | instskip(SKIP_1) | instid1(VALU_DEP_2)
	v_add_co_u32 v7, vcc_lo, v7, v9
	s_wait_alu 0xfffd
	v_add_co_ci_u32_e32 v7, vcc_lo, v8, v10, vcc_lo
	s_wait_alu 0xfffd
	v_add_co_ci_u32_e32 v8, vcc_lo, 0, v14, vcc_lo
	s_delay_alu instid0(VALU_DEP_2) | instskip(SKIP_1) | instid1(VALU_DEP_2)
	v_add_co_u32 v9, vcc_lo, v7, v13
	s_wait_alu 0xfffd
	v_add_co_ci_u32_e64 v10, null, 0, v8, vcc_lo
	s_delay_alu instid0(VALU_DEP_2) | instskip(SKIP_1) | instid1(VALU_DEP_3)
	v_mul_lo_u32 v13, s71, v9
	v_mad_co_u64_u32 v[7:8], null, s70, v9, 0
	v_mul_lo_u32 v14, s70, v10
	s_delay_alu instid0(VALU_DEP_2) | instskip(NEXT) | instid1(VALU_DEP_2)
	v_sub_co_u32 v7, vcc_lo, v11, v7
	v_add3_u32 v8, v8, v14, v13
	s_delay_alu instid0(VALU_DEP_1) | instskip(SKIP_2) | instid1(VALU_DEP_2)
	v_sub_nc_u32_e32 v13, v16, v8
	s_wait_alu 0xfffd
	v_sub_co_ci_u32_e64 v8, null, v16, v8, vcc_lo
	v_subrev_co_ci_u32_e64 v11, null, s71, v13, vcc_lo
	v_add_co_u32 v13, s0, v9, 2
	s_wait_alu 0xf1ff
	v_add_co_ci_u32_e64 v14, null, 0, v10, s0
	v_sub_co_u32 v17, s0, v7, s70
	s_wait_alu 0xf1ff
	v_subrev_co_ci_u32_e64 v11, null, 0, v11, s0
	s_delay_alu instid0(VALU_DEP_2) | instskip(SKIP_2) | instid1(VALU_DEP_3)
	v_cmp_le_u32_e32 vcc_lo, s70, v17
	s_wait_alu 0xfffd
	v_cndmask_b32_e64 v16, 0, -1, vcc_lo
	v_cmp_le_u32_e32 vcc_lo, s71, v11
	s_wait_alu 0xfffd
	v_cndmask_b32_e64 v17, 0, -1, vcc_lo
	;; [unrolled: 3-line block ×4, first 2 shown]
	v_cmp_eq_u32_e32 vcc_lo, s71, v11
	s_wait_alu 0xfffd
	v_cndmask_b32_e32 v11, v17, v16, vcc_lo
	v_add_co_u32 v16, vcc_lo, v9, 1
	s_wait_alu 0xfffd
	v_add_co_ci_u32_e64 v17, null, 0, v10, vcc_lo
	v_cmp_eq_u32_e32 vcc_lo, s71, v8
	s_wait_alu 0xfffd
	v_cndmask_b32_e32 v7, v18, v7, vcc_lo
	v_cmp_ne_u32_e32 vcc_lo, 0, v11
	s_wait_alu 0xfffd
	v_cndmask_b32_e32 v8, v17, v14, vcc_lo
	s_delay_alu instid0(VALU_DEP_3) | instskip(SKIP_2) | instid1(VALU_DEP_2)
	v_cmp_ne_u32_e64 s0, 0, v7
	v_cndmask_b32_e32 v7, v16, v13, vcc_lo
                                        ; implicit-def: $vgpr13
	s_wait_alu 0xf1ff
	v_cndmask_b32_e64 v8, v10, v8, s0
	s_delay_alu instid0(VALU_DEP_2) | instskip(NEXT) | instid1(VALU_DEP_2)
	v_cndmask_b32_e64 v7, v9, v7, s0
                                        ; implicit-def: $vgpr9
	v_xor_b32_e32 v8, v8, v2
	s_delay_alu instid0(VALU_DEP_2) | instskip(NEXT) | instid1(VALU_DEP_1)
	v_xor_b32_e32 v7, v7, v2
	v_sub_co_u32 v7, vcc_lo, v7, v2
	s_wait_alu 0xfffd
	s_delay_alu instid0(VALU_DEP_3)
	v_sub_co_ci_u32_e64 v8, null, v8, v2, vcc_lo
.LBB47_64:                              ;   in Loop: Header=BB47_3 Depth=1
	s_wait_alu 0xfffe
	s_and_not1_saveexec_b32 s0, s67
	s_cbranch_execz .LBB47_2
; %bb.65:                               ;   in Loop: Header=BB47_3 Depth=1
	v_rcp_iflag_f32_e32 v2, v13
	s_sub_co_i32 s67, 0, s54
	s_delay_alu instid0(TRANS32_DEP_1) | instskip(NEXT) | instid1(VALU_DEP_1)
	v_mul_f32_e32 v2, 0x4f7ffffe, v2
	v_cvt_u32_f32_e32 v2, v2
	s_wait_alu 0xfffe
	s_delay_alu instid0(VALU_DEP_1) | instskip(NEXT) | instid1(VALU_DEP_1)
	v_mul_lo_u32 v7, s67, v2
	v_mul_hi_u32 v7, v2, v7
	s_delay_alu instid0(VALU_DEP_1) | instskip(NEXT) | instid1(VALU_DEP_1)
	v_add_nc_u32_e32 v2, v2, v7
	v_mul_hi_u32 v2, v9, v2
	s_delay_alu instid0(VALU_DEP_1) | instskip(SKIP_1) | instid1(VALU_DEP_2)
	v_mul_lo_u32 v7, v2, s54
	v_add_nc_u32_e32 v8, 1, v2
	v_sub_nc_u32_e32 v7, v9, v7
	s_delay_alu instid0(VALU_DEP_1) | instskip(SKIP_2) | instid1(VALU_DEP_2)
	v_subrev_nc_u32_e32 v9, s54, v7
	v_cmp_le_u32_e32 vcc_lo, s54, v7
	s_wait_alu 0xfffd
	v_dual_cndmask_b32 v7, v7, v9 :: v_dual_cndmask_b32 v2, v2, v8
	s_delay_alu instid0(VALU_DEP_1) | instskip(NEXT) | instid1(VALU_DEP_2)
	v_cmp_le_u32_e32 vcc_lo, s54, v7
	v_add_nc_u32_e32 v8, 1, v2
	s_wait_alu 0xfffd
	s_delay_alu instid0(VALU_DEP_1)
	v_dual_cndmask_b32 v7, v2, v8 :: v_dual_mov_b32 v8, v1
	s_branch .LBB47_2
.LBB47_66:
	s_endpgm
	.section	.rodata,"a",@progbits
	.p2align	6, 0x0
	.amdhsa_kernel _ZN2at6native12_GLOBAL__N_16kernel16gru_cell_forwardIN3c108BFloat16EflLi2EEEvNS_4cuda6detail10TensorInfoIT_T1_EESB_SB_SB_SB_SB_SB_SA_SA_
		.amdhsa_group_segment_fixed_size 0
		.amdhsa_private_segment_fixed_size 0
		.amdhsa_kernarg_size 3184
		.amdhsa_user_sgpr_count 2
		.amdhsa_user_sgpr_dispatch_ptr 0
		.amdhsa_user_sgpr_queue_ptr 0
		.amdhsa_user_sgpr_kernarg_segment_ptr 1
		.amdhsa_user_sgpr_dispatch_id 0
		.amdhsa_user_sgpr_private_segment_size 0
		.amdhsa_wavefront_size32 1
		.amdhsa_uses_dynamic_stack 0
		.amdhsa_enable_private_segment 0
		.amdhsa_system_sgpr_workgroup_id_x 1
		.amdhsa_system_sgpr_workgroup_id_y 0
		.amdhsa_system_sgpr_workgroup_id_z 0
		.amdhsa_system_sgpr_workgroup_info 0
		.amdhsa_system_vgpr_workitem_id 0
		.amdhsa_next_free_vgpr 35
		.amdhsa_next_free_sgpr 85
		.amdhsa_reserve_vcc 1
		.amdhsa_float_round_mode_32 0
		.amdhsa_float_round_mode_16_64 0
		.amdhsa_float_denorm_mode_32 3
		.amdhsa_float_denorm_mode_16_64 3
		.amdhsa_fp16_overflow 0
		.amdhsa_workgroup_processor_mode 1
		.amdhsa_memory_ordered 1
		.amdhsa_forward_progress 1
		.amdhsa_inst_pref_size 148
		.amdhsa_round_robin_scheduling 0
		.amdhsa_exception_fp_ieee_invalid_op 0
		.amdhsa_exception_fp_denorm_src 0
		.amdhsa_exception_fp_ieee_div_zero 0
		.amdhsa_exception_fp_ieee_overflow 0
		.amdhsa_exception_fp_ieee_underflow 0
		.amdhsa_exception_fp_ieee_inexact 0
		.amdhsa_exception_int_div_zero 0
	.end_amdhsa_kernel
	.section	.text._ZN2at6native12_GLOBAL__N_16kernel16gru_cell_forwardIN3c108BFloat16EflLi2EEEvNS_4cuda6detail10TensorInfoIT_T1_EESB_SB_SB_SB_SB_SB_SA_SA_,"axG",@progbits,_ZN2at6native12_GLOBAL__N_16kernel16gru_cell_forwardIN3c108BFloat16EflLi2EEEvNS_4cuda6detail10TensorInfoIT_T1_EESB_SB_SB_SB_SB_SB_SA_SA_,comdat
.Lfunc_end47:
	.size	_ZN2at6native12_GLOBAL__N_16kernel16gru_cell_forwardIN3c108BFloat16EflLi2EEEvNS_4cuda6detail10TensorInfoIT_T1_EESB_SB_SB_SB_SB_SB_SA_SA_, .Lfunc_end47-_ZN2at6native12_GLOBAL__N_16kernel16gru_cell_forwardIN3c108BFloat16EflLi2EEEvNS_4cuda6detail10TensorInfoIT_T1_EESB_SB_SB_SB_SB_SB_SA_SA_
                                        ; -- End function
	.set _ZN2at6native12_GLOBAL__N_16kernel16gru_cell_forwardIN3c108BFloat16EflLi2EEEvNS_4cuda6detail10TensorInfoIT_T1_EESB_SB_SB_SB_SB_SB_SA_SA_.num_vgpr, 35
	.set _ZN2at6native12_GLOBAL__N_16kernel16gru_cell_forwardIN3c108BFloat16EflLi2EEEvNS_4cuda6detail10TensorInfoIT_T1_EESB_SB_SB_SB_SB_SB_SA_SA_.num_agpr, 0
	.set _ZN2at6native12_GLOBAL__N_16kernel16gru_cell_forwardIN3c108BFloat16EflLi2EEEvNS_4cuda6detail10TensorInfoIT_T1_EESB_SB_SB_SB_SB_SB_SA_SA_.numbered_sgpr, 85
	.set _ZN2at6native12_GLOBAL__N_16kernel16gru_cell_forwardIN3c108BFloat16EflLi2EEEvNS_4cuda6detail10TensorInfoIT_T1_EESB_SB_SB_SB_SB_SB_SA_SA_.num_named_barrier, 0
	.set _ZN2at6native12_GLOBAL__N_16kernel16gru_cell_forwardIN3c108BFloat16EflLi2EEEvNS_4cuda6detail10TensorInfoIT_T1_EESB_SB_SB_SB_SB_SB_SA_SA_.private_seg_size, 0
	.set _ZN2at6native12_GLOBAL__N_16kernel16gru_cell_forwardIN3c108BFloat16EflLi2EEEvNS_4cuda6detail10TensorInfoIT_T1_EESB_SB_SB_SB_SB_SB_SA_SA_.uses_vcc, 1
	.set _ZN2at6native12_GLOBAL__N_16kernel16gru_cell_forwardIN3c108BFloat16EflLi2EEEvNS_4cuda6detail10TensorInfoIT_T1_EESB_SB_SB_SB_SB_SB_SA_SA_.uses_flat_scratch, 0
	.set _ZN2at6native12_GLOBAL__N_16kernel16gru_cell_forwardIN3c108BFloat16EflLi2EEEvNS_4cuda6detail10TensorInfoIT_T1_EESB_SB_SB_SB_SB_SB_SA_SA_.has_dyn_sized_stack, 0
	.set _ZN2at6native12_GLOBAL__N_16kernel16gru_cell_forwardIN3c108BFloat16EflLi2EEEvNS_4cuda6detail10TensorInfoIT_T1_EESB_SB_SB_SB_SB_SB_SA_SA_.has_recursion, 0
	.set _ZN2at6native12_GLOBAL__N_16kernel16gru_cell_forwardIN3c108BFloat16EflLi2EEEvNS_4cuda6detail10TensorInfoIT_T1_EESB_SB_SB_SB_SB_SB_SA_SA_.has_indirect_call, 0
	.section	.AMDGPU.csdata,"",@progbits
; Kernel info:
; codeLenInByte = 18872
; TotalNumSgprs: 87
; NumVgprs: 35
; ScratchSize: 0
; MemoryBound: 0
; FloatMode: 240
; IeeeMode: 1
; LDSByteSize: 0 bytes/workgroup (compile time only)
; SGPRBlocks: 0
; VGPRBlocks: 4
; NumSGPRsForWavesPerEU: 87
; NumVGPRsForWavesPerEU: 35
; Occupancy: 16
; WaveLimiterHint : 1
; COMPUTE_PGM_RSRC2:SCRATCH_EN: 0
; COMPUTE_PGM_RSRC2:USER_SGPR: 2
; COMPUTE_PGM_RSRC2:TRAP_HANDLER: 0
; COMPUTE_PGM_RSRC2:TGID_X_EN: 1
; COMPUTE_PGM_RSRC2:TGID_Y_EN: 0
; COMPUTE_PGM_RSRC2:TGID_Z_EN: 0
; COMPUTE_PGM_RSRC2:TIDIG_COMP_CNT: 0
	.section	.text._ZN2at6native12_GLOBAL__N_16kernel17gru_cell_backwardIddiLi1EEEvNS_4cuda6detail10TensorInfoIT_T1_EES9_S9_S9_S9_S8_S8_,"axG",@progbits,_ZN2at6native12_GLOBAL__N_16kernel17gru_cell_backwardIddiLi1EEEvNS_4cuda6detail10TensorInfoIT_T1_EES9_S9_S9_S9_S8_S8_,comdat
	.globl	_ZN2at6native12_GLOBAL__N_16kernel17gru_cell_backwardIddiLi1EEEvNS_4cuda6detail10TensorInfoIT_T1_EES9_S9_S9_S9_S8_S8_ ; -- Begin function _ZN2at6native12_GLOBAL__N_16kernel17gru_cell_backwardIddiLi1EEEvNS_4cuda6detail10TensorInfoIT_T1_EES9_S9_S9_S9_S8_S8_
	.p2align	8
	.type	_ZN2at6native12_GLOBAL__N_16kernel17gru_cell_backwardIddiLi1EEEvNS_4cuda6detail10TensorInfoIT_T1_EES9_S9_S9_S9_S8_S8_,@function
_ZN2at6native12_GLOBAL__N_16kernel17gru_cell_backwardIddiLi1EEEvNS_4cuda6detail10TensorInfoIT_T1_EES9_S9_S9_S9_S8_S8_: ; @_ZN2at6native12_GLOBAL__N_16kernel17gru_cell_backwardIddiLi1EEEvNS_4cuda6detail10TensorInfoIT_T1_EES9_S9_S9_S9_S8_S8_
; %bb.0:
	s_clause 0x1
	s_load_b32 s4, s[0:1], 0x44c
	s_load_b64 s[2:3], s[0:1], 0x438
	s_wait_kmcnt 0x0
	s_and_b32 s20, s4, 0xffff
	s_mov_b32 s4, exec_lo
	v_mad_co_u64_u32 v[0:1], null, ttmp9, s20, v[0:1]
	s_delay_alu instid0(VALU_DEP_1)
	v_cmpx_gt_i32_e64 s3, v0
	s_cbranch_execz .LBB48_3
; %bb.1:
	s_abs_i32 s14, s2
	s_add_nc_u64 s[8:9], s[0:1], 0x440
	s_cvt_f32_u32 s4, s14
	s_sub_co_i32 s25, 0, s14
	s_lshl_b32 s18, s2, 2
	s_lshl_b32 s19, s2, 1
	v_rcp_iflag_f32_e32 v1, s4
	s_clause 0x3
	s_load_b64 s[4:5], s[0:1], 0x1b0
	s_load_b32 s21, s[0:1], 0x21c
	s_load_b64 s[6:7], s[0:1], 0x288
	s_load_b32 s23, s[0:1], 0x2f4
	s_load_b32 s22, s[8:9], 0x0
	s_clause 0x5
	s_load_b64 s[8:9], s[0:1], 0x0
	s_load_b32 s15, s[0:1], 0x6c
	s_load_b64 s[10:11], s[0:1], 0xd8
	s_load_b32 s16, s[0:1], 0x144
	;; [unrolled: 2-line block ×3, first 2 shown]
	s_ashr_i32 s1, s2, 31
	v_readfirstlane_b32 s17, v1
	s_wait_kmcnt 0x0
	v_mul_lo_u32 v1, v0, s21
	v_mul_lo_u32 v3, v0, s23
	s_mul_f32 s24, s17, 0x4f7ffffe
	s_mul_i32 s20, s22, s20
	s_mov_b32 s17, 0
	s_wait_alu 0xfffe
	s_mul_i32 s21, s20, s21
	s_cvt_u32_f32 s24, s24
	s_mul_i32 s23, s20, s23
	s_delay_alu instid0(SALU_CYCLE_2) | instskip(NEXT) | instid1(SALU_CYCLE_1)
	s_mul_i32 s25, s25, s24
	s_mul_hi_u32 s22, s24, s25
	s_wait_alu 0xfffe
	s_add_co_i32 s22, s24, s22
.LBB48_2:                               ; =>This Inner Loop Header: Depth=1
	v_sub_nc_u32_e32 v4, 0, v0
	v_ashrrev_i32_e32 v5, 31, v0
	v_ashrrev_i32_e32 v2, 31, v1
	s_delay_alu instid0(VALU_DEP_3) | instskip(NEXT) | instid1(VALU_DEP_3)
	v_max_i32_e32 v7, v0, v4
	v_xor_b32_e32 v23, s1, v5
	s_delay_alu instid0(VALU_DEP_3) | instskip(SKIP_1) | instid1(VALU_DEP_3)
	v_lshlrev_b64_e32 v[4:5], 3, v[1:2]
	s_wait_alu 0xfffe
	v_mul_hi_u32 v2, v7, s22
	s_delay_alu instid0(VALU_DEP_3) | instskip(NEXT) | instid1(VALU_DEP_3)
	v_lshlrev_b32_e32 v8, 2, v23
	v_add_co_u32 v4, vcc_lo, s4, v4
	s_wait_alu 0xfffd
	v_add_co_ci_u32_e64 v5, null, s5, v5, vcc_lo
	global_load_b64 v[5:6], v[4:5], off
	v_mul_lo_u32 v4, v2, s14
	s_delay_alu instid0(VALU_DEP_1) | instskip(NEXT) | instid1(VALU_DEP_1)
	v_sub_nc_u32_e32 v4, v7, v4
	v_subrev_nc_u32_e32 v7, s14, v4
	v_cmp_le_u32_e32 vcc_lo, s14, v4
	s_wait_alu 0xfffd
	s_delay_alu instid0(VALU_DEP_2) | instskip(NEXT) | instid1(VALU_DEP_1)
	v_dual_cndmask_b32 v4, v4, v7 :: v_dual_add_nc_u32 v9, 1, v2
	v_cndmask_b32_e32 v2, v2, v9, vcc_lo
	s_delay_alu instid0(VALU_DEP_2) | instskip(NEXT) | instid1(VALU_DEP_2)
	v_cmp_le_u32_e32 vcc_lo, s14, v4
	v_add_nc_u32_e32 v7, 1, v2
	s_wait_alu 0xfffd
	s_delay_alu instid0(VALU_DEP_1) | instskip(NEXT) | instid1(VALU_DEP_1)
	v_cndmask_b32_e32 v2, v2, v7, vcc_lo
	v_xor_b32_e32 v2, v2, v23
	s_delay_alu instid0(VALU_DEP_1) | instskip(SKIP_2) | instid1(VALU_DEP_3)
	v_lshlrev_b32_e32 v4, 2, v2
	v_sub_nc_u32_e32 v24, v2, v23
	v_lshlrev_b32_e32 v2, 1, v2
	v_sub_nc_u32_e32 v4, v4, v8
	s_delay_alu instid0(VALU_DEP_3) | instskip(NEXT) | instid1(VALU_DEP_2)
	v_mad_co_u64_u32 v[7:8], null, s18, v24, v[0:1]
	v_or_b32_e32 v8, 1, v4
	v_or_b32_e32 v11, 2, v4
	v_or_b32_e32 v13, 3, v4
	v_add_nc_u32_e32 v4, 4, v4
	v_mul_lo_u32 v7, v7, s0
	v_mad_co_u64_u32 v[9:10], null, s2, v8, v[0:1]
	v_mad_co_u64_u32 v[11:12], null, s2, v11, v[0:1]
	;; [unrolled: 1-line block ×4, first 2 shown]
	s_delay_alu instid0(VALU_DEP_4)
	v_mul_lo_u32 v9, v9, s0
	v_ashrrev_i32_e32 v8, 31, v7
	v_mul_lo_u32 v11, v11, s0
	v_ashrrev_i32_e32 v4, 31, v3
	v_mul_lo_u32 v13, v13, s0
	v_add_nc_u32_e32 v1, s21, v1
	v_lshlrev_b64_e32 v[7:8], 3, v[7:8]
	v_mul_lo_u32 v15, v15, s0
	v_ashrrev_i32_e32 v10, 31, v9
	v_ashrrev_i32_e32 v12, 31, v11
	s_delay_alu instid0(VALU_DEP_4) | instskip(NEXT) | instid1(VALU_DEP_3)
	v_add_co_u32 v7, vcc_lo, s12, v7
	v_lshlrev_b64_e32 v[9:10], 3, v[9:10]
	s_wait_alu 0xfffd
	v_add_co_ci_u32_e64 v8, null, s13, v8, vcc_lo
	v_lshlrev_b64_e32 v[11:12], 3, v[11:12]
	v_ashrrev_i32_e32 v14, 31, v13
	v_ashrrev_i32_e32 v16, 31, v15
	v_add_co_u32 v9, vcc_lo, s12, v9
	s_wait_alu 0xfffd
	v_add_co_ci_u32_e64 v10, null, s13, v10, vcc_lo
	global_load_b64 v[7:8], v[7:8], off
	v_add_co_u32 v11, vcc_lo, s12, v11
	global_load_b64 v[9:10], v[9:10], off
	s_wait_alu 0xfffd
	v_add_co_ci_u32_e64 v12, null, s13, v12, vcc_lo
	v_lshlrev_b64_e32 v[13:14], 3, v[13:14]
	v_lshlrev_b64_e32 v[15:16], 3, v[15:16]
	global_load_b64 v[11:12], v[11:12], off
	v_add_co_u32 v13, vcc_lo, s12, v13
	s_wait_alu 0xfffd
	v_add_co_ci_u32_e64 v14, null, s13, v14, vcc_lo
	v_add_co_u32 v15, vcc_lo, s12, v15
	s_wait_alu 0xfffd
	v_add_co_ci_u32_e64 v16, null, s13, v16, vcc_lo
	s_clause 0x1
	global_load_b64 v[13:14], v[13:14], off
	global_load_b64 v[15:16], v[15:16], off
	s_wait_loadcnt 0x3
	v_add_f64_e64 v[17:18], -v[9:10], 1.0
	v_mul_f64_e32 v[29:30], v[9:10], v[5:6]
	s_wait_loadcnt 0x2
	v_fma_f64 v[19:20], -v[11:12], v[11:12], 1.0
	s_wait_loadcnt 0x1
	v_add_f64_e64 v[11:12], v[13:14], -v[11:12]
	s_delay_alu instid0(VALU_DEP_4) | instskip(NEXT) | instid1(VALU_DEP_2)
	v_mul_f64_e32 v[21:22], v[17:18], v[5:6]
	v_mul_f64_e32 v[11:12], v[11:12], v[5:6]
	s_delay_alu instid0(VALU_DEP_2)
	v_mul_f64_e32 v[13:14], v[19:20], v[21:22]
	v_add_f64_e64 v[19:20], -v[7:8], 1.0
	v_lshlrev_b64_e32 v[21:22], 3, v[3:4]
	v_lshlrev_b32_e32 v4, 1, v23
	v_mad_co_u64_u32 v[23:24], null, s19, v24, v[0:1]
	v_add_nc_u32_e32 v3, s23, v3
	s_delay_alu instid0(VALU_DEP_3) | instskip(SKIP_3) | instid1(VALU_DEP_3)
	v_sub_nc_u32_e32 v2, v2, v4
	v_add_co_u32 v21, vcc_lo, s6, v21
	s_wait_alu 0xfffd
	v_add_co_ci_u32_e64 v22, null, s7, v22, vcc_lo
	v_or_b32_e32 v4, 1, v2
	v_add_nc_u32_e32 v2, 2, v2
	v_mul_f64_e32 v[11:12], v[17:18], v[11:12]
	v_mul_lo_u32 v17, v23, s15
	s_delay_alu instid0(VALU_DEP_1) | instskip(NEXT) | instid1(VALU_DEP_1)
	v_ashrrev_i32_e32 v18, 31, v17
	v_lshlrev_b64_e32 v[17:18], 3, v[17:18]
	s_wait_loadcnt 0x0
	v_mul_f64_e32 v[15:16], v[15:16], v[13:14]
	v_mul_f64_e32 v[9:10], v[9:10], v[11:12]
	;; [unrolled: 1-line block ×3, first 2 shown]
	s_delay_alu instid0(VALU_DEP_3) | instskip(SKIP_4) | instid1(VALU_DEP_4)
	v_mul_f64_e32 v[15:16], v[19:20], v[15:16]
	v_mul_lo_u32 v19, v23, s16
	v_mad_co_u64_u32 v[23:24], null, s2, v4, v[0:1]
	v_mad_co_u64_u32 v[24:25], null, s2, v2, v[0:1]
	v_add_nc_u32_e32 v0, s20, v0
	v_ashrrev_i32_e32 v20, 31, v19
	s_delay_alu instid0(VALU_DEP_4) | instskip(NEXT) | instid1(VALU_DEP_3)
	v_mul_lo_u32 v25, v23, s15
	v_cmp_le_i32_e32 vcc_lo, s3, v0
	v_mul_lo_u32 v27, v24, s15
	v_mul_lo_u32 v4, v23, s16
	v_lshlrev_b64_e32 v[19:20], 3, v[19:20]
	v_mul_lo_u32 v23, v24, s16
	s_or_b32 s17, vcc_lo, s17
	v_ashrrev_i32_e32 v26, 31, v25
	v_ashrrev_i32_e32 v28, 31, v27
	;; [unrolled: 1-line block ×3, first 2 shown]
	s_delay_alu instid0(VALU_DEP_4) | instskip(NEXT) | instid1(VALU_DEP_2)
	v_ashrrev_i32_e32 v24, 31, v23
	v_lshlrev_b64_e32 v[4:5], 3, v[4:5]
	s_delay_alu instid0(VALU_DEP_2)
	v_lshlrev_b64_e32 v[23:24], 3, v[23:24]
	v_mul_f64_e32 v[6:7], v[7:8], v[15:16]
	v_add_co_u32 v15, vcc_lo, s8, v17
	s_wait_alu 0xfffd
	v_add_co_ci_u32_e64 v16, null, s9, v18, vcc_lo
	v_add_co_u32 v17, vcc_lo, s10, v19
	s_wait_alu 0xfffd
	v_add_co_ci_u32_e64 v18, null, s11, v20, vcc_lo
	v_lshlrev_b64_e32 v[19:20], 3, v[25:26]
	v_lshlrev_b64_e32 v[25:26], 3, v[27:28]
	s_delay_alu instid0(VALU_DEP_2) | instskip(SKIP_1) | instid1(VALU_DEP_3)
	v_add_co_u32 v19, vcc_lo, s8, v19
	s_wait_alu 0xfffd
	v_add_co_ci_u32_e64 v20, null, s9, v20, vcc_lo
	s_delay_alu instid0(VALU_DEP_3)
	v_add_co_u32 v25, vcc_lo, s8, v25
	s_wait_alu 0xfffd
	v_add_co_ci_u32_e64 v26, null, s9, v26, vcc_lo
	v_add_co_u32 v4, vcc_lo, s10, v4
	s_wait_alu 0xfffd
	v_add_co_ci_u32_e64 v5, null, s11, v5, vcc_lo
	;; [unrolled: 3-line block ×3, first 2 shown]
	s_clause 0x2
	global_store_b64 v[15:16], v[6:7], off
	global_store_b64 v[19:20], v[9:10], off
	global_store_b64 v[25:26], v[13:14], off
	s_clause 0x2
	global_store_b64 v[17:18], v[6:7], off
	global_store_b64 v[4:5], v[9:10], off
	;; [unrolled: 1-line block ×4, first 2 shown]
	s_wait_alu 0xfffe
	s_and_not1_b32 exec_lo, exec_lo, s17
	s_cbranch_execnz .LBB48_2
.LBB48_3:
	s_endpgm
	.section	.rodata,"a",@progbits
	.p2align	6, 0x0
	.amdhsa_kernel _ZN2at6native12_GLOBAL__N_16kernel17gru_cell_backwardIddiLi1EEEvNS_4cuda6detail10TensorInfoIT_T1_EES9_S9_S9_S9_S8_S8_
		.amdhsa_group_segment_fixed_size 0
		.amdhsa_private_segment_fixed_size 0
		.amdhsa_kernarg_size 1344
		.amdhsa_user_sgpr_count 2
		.amdhsa_user_sgpr_dispatch_ptr 0
		.amdhsa_user_sgpr_queue_ptr 0
		.amdhsa_user_sgpr_kernarg_segment_ptr 1
		.amdhsa_user_sgpr_dispatch_id 0
		.amdhsa_user_sgpr_private_segment_size 0
		.amdhsa_wavefront_size32 1
		.amdhsa_uses_dynamic_stack 0
		.amdhsa_enable_private_segment 0
		.amdhsa_system_sgpr_workgroup_id_x 1
		.amdhsa_system_sgpr_workgroup_id_y 0
		.amdhsa_system_sgpr_workgroup_id_z 0
		.amdhsa_system_sgpr_workgroup_info 0
		.amdhsa_system_vgpr_workitem_id 0
		.amdhsa_next_free_vgpr 31
		.amdhsa_next_free_sgpr 26
		.amdhsa_reserve_vcc 1
		.amdhsa_float_round_mode_32 0
		.amdhsa_float_round_mode_16_64 0
		.amdhsa_float_denorm_mode_32 3
		.amdhsa_float_denorm_mode_16_64 3
		.amdhsa_fp16_overflow 0
		.amdhsa_workgroup_processor_mode 1
		.amdhsa_memory_ordered 1
		.amdhsa_forward_progress 1
		.amdhsa_inst_pref_size 11
		.amdhsa_round_robin_scheduling 0
		.amdhsa_exception_fp_ieee_invalid_op 0
		.amdhsa_exception_fp_denorm_src 0
		.amdhsa_exception_fp_ieee_div_zero 0
		.amdhsa_exception_fp_ieee_overflow 0
		.amdhsa_exception_fp_ieee_underflow 0
		.amdhsa_exception_fp_ieee_inexact 0
		.amdhsa_exception_int_div_zero 0
	.end_amdhsa_kernel
	.section	.text._ZN2at6native12_GLOBAL__N_16kernel17gru_cell_backwardIddiLi1EEEvNS_4cuda6detail10TensorInfoIT_T1_EES9_S9_S9_S9_S8_S8_,"axG",@progbits,_ZN2at6native12_GLOBAL__N_16kernel17gru_cell_backwardIddiLi1EEEvNS_4cuda6detail10TensorInfoIT_T1_EES9_S9_S9_S9_S8_S8_,comdat
.Lfunc_end48:
	.size	_ZN2at6native12_GLOBAL__N_16kernel17gru_cell_backwardIddiLi1EEEvNS_4cuda6detail10TensorInfoIT_T1_EES9_S9_S9_S9_S8_S8_, .Lfunc_end48-_ZN2at6native12_GLOBAL__N_16kernel17gru_cell_backwardIddiLi1EEEvNS_4cuda6detail10TensorInfoIT_T1_EES9_S9_S9_S9_S8_S8_
                                        ; -- End function
	.set _ZN2at6native12_GLOBAL__N_16kernel17gru_cell_backwardIddiLi1EEEvNS_4cuda6detail10TensorInfoIT_T1_EES9_S9_S9_S9_S8_S8_.num_vgpr, 31
	.set _ZN2at6native12_GLOBAL__N_16kernel17gru_cell_backwardIddiLi1EEEvNS_4cuda6detail10TensorInfoIT_T1_EES9_S9_S9_S9_S8_S8_.num_agpr, 0
	.set _ZN2at6native12_GLOBAL__N_16kernel17gru_cell_backwardIddiLi1EEEvNS_4cuda6detail10TensorInfoIT_T1_EES9_S9_S9_S9_S8_S8_.numbered_sgpr, 26
	.set _ZN2at6native12_GLOBAL__N_16kernel17gru_cell_backwardIddiLi1EEEvNS_4cuda6detail10TensorInfoIT_T1_EES9_S9_S9_S9_S8_S8_.num_named_barrier, 0
	.set _ZN2at6native12_GLOBAL__N_16kernel17gru_cell_backwardIddiLi1EEEvNS_4cuda6detail10TensorInfoIT_T1_EES9_S9_S9_S9_S8_S8_.private_seg_size, 0
	.set _ZN2at6native12_GLOBAL__N_16kernel17gru_cell_backwardIddiLi1EEEvNS_4cuda6detail10TensorInfoIT_T1_EES9_S9_S9_S9_S8_S8_.uses_vcc, 1
	.set _ZN2at6native12_GLOBAL__N_16kernel17gru_cell_backwardIddiLi1EEEvNS_4cuda6detail10TensorInfoIT_T1_EES9_S9_S9_S9_S8_S8_.uses_flat_scratch, 0
	.set _ZN2at6native12_GLOBAL__N_16kernel17gru_cell_backwardIddiLi1EEEvNS_4cuda6detail10TensorInfoIT_T1_EES9_S9_S9_S9_S8_S8_.has_dyn_sized_stack, 0
	.set _ZN2at6native12_GLOBAL__N_16kernel17gru_cell_backwardIddiLi1EEEvNS_4cuda6detail10TensorInfoIT_T1_EES9_S9_S9_S9_S8_S8_.has_recursion, 0
	.set _ZN2at6native12_GLOBAL__N_16kernel17gru_cell_backwardIddiLi1EEEvNS_4cuda6detail10TensorInfoIT_T1_EES9_S9_S9_S9_S8_S8_.has_indirect_call, 0
	.section	.AMDGPU.csdata,"",@progbits
; Kernel info:
; codeLenInByte = 1296
; TotalNumSgprs: 28
; NumVgprs: 31
; ScratchSize: 0
; MemoryBound: 0
; FloatMode: 240
; IeeeMode: 1
; LDSByteSize: 0 bytes/workgroup (compile time only)
; SGPRBlocks: 0
; VGPRBlocks: 3
; NumSGPRsForWavesPerEU: 28
; NumVGPRsForWavesPerEU: 31
; Occupancy: 16
; WaveLimiterHint : 1
; COMPUTE_PGM_RSRC2:SCRATCH_EN: 0
; COMPUTE_PGM_RSRC2:USER_SGPR: 2
; COMPUTE_PGM_RSRC2:TRAP_HANDLER: 0
; COMPUTE_PGM_RSRC2:TGID_X_EN: 1
; COMPUTE_PGM_RSRC2:TGID_Y_EN: 0
; COMPUTE_PGM_RSRC2:TGID_Z_EN: 0
; COMPUTE_PGM_RSRC2:TIDIG_COMP_CNT: 0
	.section	.text._ZN2at6native12_GLOBAL__N_16kernel17gru_cell_backwardIddiLi2EEEvNS_4cuda6detail10TensorInfoIT_T1_EES9_S9_S9_S9_S8_S8_,"axG",@progbits,_ZN2at6native12_GLOBAL__N_16kernel17gru_cell_backwardIddiLi2EEEvNS_4cuda6detail10TensorInfoIT_T1_EES9_S9_S9_S9_S8_S8_,comdat
	.globl	_ZN2at6native12_GLOBAL__N_16kernel17gru_cell_backwardIddiLi2EEEvNS_4cuda6detail10TensorInfoIT_T1_EES9_S9_S9_S9_S8_S8_ ; -- Begin function _ZN2at6native12_GLOBAL__N_16kernel17gru_cell_backwardIddiLi2EEEvNS_4cuda6detail10TensorInfoIT_T1_EES9_S9_S9_S9_S8_S8_
	.p2align	8
	.type	_ZN2at6native12_GLOBAL__N_16kernel17gru_cell_backwardIddiLi2EEEvNS_4cuda6detail10TensorInfoIT_T1_EES9_S9_S9_S9_S8_S8_,@function
_ZN2at6native12_GLOBAL__N_16kernel17gru_cell_backwardIddiLi2EEEvNS_4cuda6detail10TensorInfoIT_T1_EES9_S9_S9_S9_S8_S8_: ; @_ZN2at6native12_GLOBAL__N_16kernel17gru_cell_backwardIddiLi2EEEvNS_4cuda6detail10TensorInfoIT_T1_EES9_S9_S9_S9_S8_S8_
; %bb.0:
	s_clause 0x1
	s_load_b32 s2, s[0:1], 0x44c
	s_load_b64 s[4:5], s[0:1], 0x438
	s_mov_b32 s3, exec_lo
	s_wait_kmcnt 0x0
	s_and_b32 s2, s2, 0xffff
	s_delay_alu instid0(SALU_CYCLE_1) | instskip(NEXT) | instid1(VALU_DEP_1)
	v_mad_co_u64_u32 v[0:1], null, ttmp9, s2, v[0:1]
	v_cmpx_gt_i32_e64 s5, v0
	s_cbranch_execz .LBB49_3
; %bb.1:
	s_clause 0x4
	s_load_b32 s3, s[0:1], 0x36c
	s_load_b32 s27, s[0:1], 0xe4
	s_load_b64 s[6:7], s[0:1], 0x144
	s_load_b64 s[8:9], s[0:1], 0x1b0
	s_load_b32 s51, s[0:1], 0x1bc
	s_abs_i32 s26, s4
	s_add_nc_u64 s[16:17], s[0:1], 0x440
	s_cvt_f32_u32 s18, s26
	s_clause 0x4
	s_load_b64 s[10:11], s[0:1], 0x0
	s_load_b32 s28, s[0:1], 0xc
	s_load_b64 s[12:13], s[0:1], 0x6c
	s_load_b64 s[14:15], s[0:1], 0xd8
	s_load_b32 s52, s[0:1], 0x294
	s_load_b32 s38, s[16:17], 0x0
	s_ashr_i32 s30, s4, 31
	s_mov_b32 s31, 0
	v_rcp_iflag_f32_e32 v1, s18
	s_clause 0x4
	s_load_b64 s[16:17], s[0:1], 0x21c
	s_load_b64 s[18:19], s[0:1], 0x288
	;; [unrolled: 1-line block ×5, first 2 shown]
	s_sub_co_i32 s1, 0, s26
	s_lshl_b32 s49, s4, 2
	s_lshl_b32 s50, s4, 1
	v_readfirstlane_b32 s39, v1
	s_wait_kmcnt 0x0
	s_abs_i32 s36, s27
	s_abs_i32 s29, s3
	;; [unrolled: 1-line block ×3, first 2 shown]
	s_cvt_f32_u32 s0, s29
	s_abs_i32 s35, s28
	s_mul_f32 s39, s39, 0x4f7ffffe
	s_cvt_f32_u32 s40, s35
	s_wait_alu 0xfffe
	v_rcp_iflag_f32_e32 v1, s0
	s_cvt_f32_u32 s0, s34
	s_cvt_u32_f32 s39, s39
	s_abs_i32 s37, s52
	s_cvt_f32_u32 s41, s36
	s_wait_alu 0xfffe
	v_rcp_iflag_f32_e32 v2, s0
	s_mul_i32 s1, s1, s39
	s_mul_i32 s38, s38, s2
	s_sub_co_i32 s2, 0, s29
	s_wait_alu 0xfffe
	s_mul_hi_u32 s1, s39, s1
	v_readfirstlane_b32 s0, v1
	v_rcp_iflag_f32_e32 v1, s40
	s_cvt_f32_u32 s42, s37
	s_wait_alu 0xfffe
	s_add_co_i32 s39, s39, s1
	s_sub_co_i32 s46, 0, s37
	s_mul_f32 s0, s0, 0x4f7ffffe
	v_readfirstlane_b32 s40, v2
	v_rcp_iflag_f32_e32 v2, s42
	s_ashr_i32 s33, s3, 31
	s_wait_alu 0xfffe
	s_cvt_u32_f32 s0, s0
	s_mul_f32 s1, s40, 0x4f7ffffe
	v_readfirstlane_b32 s43, v1
	s_wait_alu 0xfffe
	s_mul_i32 s2, s2, s0
	v_rcp_iflag_f32_e32 v1, s41
	s_wait_alu 0xfffe
	s_mul_hi_u32 s2, s0, s2
	s_ashr_i32 s41, s51, 31
	s_wait_alu 0xfffe
	s_add_co_i32 s40, s0, s2
	s_cvt_u32_f32 s0, s1
	s_sub_co_i32 s1, 0, s34
	s_mul_f32 s2, s43, 0x4f7ffffe
	s_sub_co_i32 s43, 0, s35
	s_wait_alu 0xfffe
	s_mul_i32 s1, s1, s0
	s_sub_co_i32 s51, 0, s51
	s_wait_alu 0xfffe
	s_mul_hi_u32 s1, s0, s1
	v_readfirstlane_b32 s44, v1
	s_cvt_u32_f32 s2, s2
	s_wait_alu 0xfffe
	s_add_co_i32 s42, s0, s1
	v_readfirstlane_b32 s0, v2
	s_mul_i32 s43, s43, s2
	s_mul_f32 s45, s44, 0x4f7ffffe
	s_wait_alu 0xfffe
	s_mul_hi_u32 s1, s2, s43
	s_mul_f32 s0, s0, 0x4f7ffffe
	s_wait_alu 0xfffe
	s_add_co_i32 s44, s2, s1
	s_cvt_u32_f32 s1, s45
	s_sub_co_i32 s2, 0, s36
	s_cvt_u32_f32 s0, s0
	s_ashr_i32 s43, s28, 31
	s_wait_alu 0xfffe
	s_mul_i32 s2, s2, s1
	s_ashr_i32 s45, s27, 31
	s_wait_alu 0xfffe
	s_mul_hi_u32 s2, s1, s2
	s_mul_i32 s47, s46, s0
	s_wait_alu 0xfffe
	s_add_co_i32 s46, s1, s2
	s_mul_hi_u32 s1, s0, s47
	s_ashr_i32 s47, s52, 31
	s_wait_alu 0xfffe
	s_add_co_i32 s48, s0, s1
	s_sub_co_i32 s52, 0, s52
.LBB49_2:                               ; =>This Inner Loop Header: Depth=1
	v_sub_nc_u32_e32 v1, 0, v0
	v_ashrrev_i32_e32 v2, 31, v0
	s_delay_alu instid0(VALU_DEP_2) | instskip(NEXT) | instid1(VALU_DEP_2)
	v_max_i32_e32 v1, v0, v1
	v_xor_b32_e32 v3, s30, v2
	v_xor_b32_e32 v4, s41, v2
	;; [unrolled: 1-line block ×3, first 2 shown]
	s_delay_alu instid0(VALU_DEP_4) | instskip(SKIP_1) | instid1(VALU_DEP_2)
	v_mul_hi_u32 v5, v1, s39
	v_mul_hi_u32 v6, v1, s42
	v_mul_lo_u32 v8, v5, s26
	s_delay_alu instid0(VALU_DEP_2) | instskip(SKIP_2) | instid1(VALU_DEP_4)
	v_mul_lo_u32 v9, v6, s34
	v_add_nc_u32_e32 v10, 1, v5
	v_add_nc_u32_e32 v11, 1, v6
	v_sub_nc_u32_e32 v8, v1, v8
	s_delay_alu instid0(VALU_DEP_4) | instskip(NEXT) | instid1(VALU_DEP_2)
	v_sub_nc_u32_e32 v9, v1, v9
	v_subrev_nc_u32_e32 v12, s26, v8
	v_cmp_le_u32_e32 vcc_lo, s26, v8
	s_delay_alu instid0(VALU_DEP_3) | instskip(SKIP_1) | instid1(VALU_DEP_3)
	v_cmp_le_u32_e64 s0, s34, v9
	s_wait_alu 0xfffd
	v_dual_cndmask_b32 v8, v8, v12 :: v_dual_lshlrev_b32 v7, 2, v3
	v_cndmask_b32_e32 v5, v5, v10, vcc_lo
	v_subrev_nc_u32_e32 v10, s34, v9
	s_wait_alu 0xf1ff
	v_cndmask_b32_e64 v6, v6, v11, s0
	v_cmp_le_u32_e32 vcc_lo, s26, v8
	s_delay_alu instid0(VALU_DEP_3) | instskip(NEXT) | instid1(VALU_DEP_3)
	v_cndmask_b32_e64 v9, v9, v10, s0
	v_add_nc_u32_e32 v10, 1, v6
	v_add_nc_u32_e32 v11, 1, v5
	s_wait_alu 0xfffd
	s_delay_alu instid0(VALU_DEP_1) | instskip(SKIP_1) | instid1(VALU_DEP_2)
	v_cndmask_b32_e32 v5, v5, v11, vcc_lo
	v_cmp_le_u32_e32 vcc_lo, s34, v9
	v_xor_b32_e32 v16, v5, v3
	s_wait_alu 0xfffd
	v_cndmask_b32_e32 v6, v6, v10, vcc_lo
	s_delay_alu instid0(VALU_DEP_2) | instskip(NEXT) | instid1(VALU_DEP_2)
	v_sub_nc_u32_e32 v17, v16, v3
	v_xor_b32_e32 v5, v6, v4
	v_lshlrev_b32_e32 v6, 2, v16
	v_lshlrev_b32_e32 v3, 1, v3
	;; [unrolled: 1-line block ×3, first 2 shown]
	v_mul_lo_u32 v9, s49, v17
	v_sub_nc_u32_e32 v8, v5, v4
	v_sub_nc_u32_e32 v6, v6, v7
	s_delay_alu instid0(VALU_DEP_4) | instskip(NEXT) | instid1(VALU_DEP_3)
	v_sub_nc_u32_e32 v3, v16, v3
	v_mad_co_u64_u32 v[4:5], null, s51, v8, v[0:1]
	s_delay_alu instid0(VALU_DEP_3)
	v_or_b32_e32 v5, 1, v6
	v_or_b32_e32 v10, 3, v6
	;; [unrolled: 1-line block ×3, first 2 shown]
	v_add_nc_u32_e32 v6, 4, v6
	v_add_nc_u32_e32 v11, v0, v9
	v_mul_lo_u32 v12, s4, v5
	v_mul_lo_u32 v10, s4, v10
	;; [unrolled: 1-line block ×4, first 2 shown]
	v_ashrrev_i32_e32 v6, 31, v11
	v_mul_lo_u32 v7, s4, v7
	v_add_nc_u32_e32 v11, v0, v12
	v_add_nc_u32_e32 v15, v0, v10
	v_mad_co_u64_u32 v[4:5], null, v8, s16, v[4:5]
	v_add3_u32 v5, v6, v9, v0
	s_delay_alu instid0(VALU_DEP_4) | instskip(NEXT) | instid1(VALU_DEP_4)
	v_ashrrev_i32_e32 v11, 31, v11
	v_ashrrev_i32_e32 v15, 31, v15
	v_xor_b32_e32 v8, s33, v6
	v_add_nc_u32_e32 v18, v0, v13
	v_xor_b32_e32 v6, v5, v6
	v_add3_u32 v21, v11, v12, v0
	v_xor_b32_e32 v20, s33, v11
	v_add3_u32 v25, v15, v10, v0
	v_xor_b32_e32 v24, s33, v15
	v_mul_hi_u32 v19, v6, s40
	v_xor_b32_e32 v11, v21, v11
	v_ashrrev_i32_e32 v5, 31, v4
	v_xor_b32_e32 v15, v25, v15
	v_ashrrev_i32_e32 v18, 31, v18
	s_delay_alu instid0(VALU_DEP_4) | instskip(NEXT) | instid1(VALU_DEP_4)
	v_mul_hi_u32 v25, v11, s40
	v_lshlrev_b64_e32 v[4:5], 3, v[4:5]
	v_mul_lo_u32 v21, v19, s29
	s_delay_alu instid0(VALU_DEP_4)
	v_add3_u32 v27, v18, v13, v0
	v_xor_b32_e32 v26, s33, v18
	v_mul_hi_u32 v28, v15, s40
	v_add_co_u32 v4, vcc_lo, s8, v4
	v_add_nc_u32_e32 v30, 1, v25
	v_add_nc_u32_e32 v14, v0, v7
	v_sub_nc_u32_e32 v6, v6, v21
	v_xor_b32_e32 v18, v27, v18
	s_wait_alu 0xfffd
	v_add_co_ci_u32_e64 v5, null, s9, v5, vcc_lo
	v_ashrrev_i32_e32 v14, 31, v14
	v_subrev_nc_u32_e32 v37, s29, v6
	v_cmp_le_u32_e32 vcc_lo, s29, v6
	v_mul_lo_u32 v21, v25, s29
	v_mul_lo_u32 v33, v28, s29
	v_add3_u32 v23, v14, v7, v0
	v_xor_b32_e32 v22, s33, v14
	s_wait_alu 0xfffd
	v_cndmask_b32_e32 v6, v6, v37, vcc_lo
	v_mul_hi_u32 v29, v18, s40
	v_add_nc_u32_e32 v34, 1, v28
	v_xor_b32_e32 v14, v23, v14
	v_add_nc_u32_e32 v23, 1, v19
	v_sub_nc_u32_e32 v11, v11, v21
	v_sub_nc_u32_e32 v15, v15, v33
	global_load_b64 v[4:5], v[4:5], off
	v_mul_hi_u32 v27, v14, s40
	v_cndmask_b32_e32 v19, v19, v23, vcc_lo
	v_cmp_le_u32_e32 vcc_lo, s29, v6
	v_subrev_nc_u32_e32 v21, s29, v11
	v_mul_lo_u32 v35, v29, s29
	v_cmp_le_u32_e64 s1, s29, v15
	v_add_nc_u32_e32 v23, 1, v19
	v_add_nc_u32_e32 v36, 1, v29
	v_mul_lo_u32 v31, v27, s29
	s_wait_alu 0xfffd
	s_delay_alu instid0(VALU_DEP_3) | instskip(SKIP_2) | instid1(VALU_DEP_4)
	v_cndmask_b32_e32 v6, v19, v23, vcc_lo
	v_cmp_le_u32_e32 vcc_lo, s29, v11
	v_sub_nc_u32_e32 v18, v18, v35
	v_sub_nc_u32_e32 v14, v14, v31
	s_wait_alu 0xfffd
	v_cndmask_b32_e32 v19, v25, v30, vcc_lo
	v_cndmask_b32_e32 v11, v11, v21, vcc_lo
	v_xor_b32_e32 v6, v6, v8
	v_cmp_le_u32_e64 s2, s29, v18
	v_cmp_le_u32_e64 s0, s29, v14
	v_subrev_nc_u32_e32 v25, s29, v14
	v_add_nc_u32_e32 v21, 1, v19
	v_cmp_le_u32_e32 vcc_lo, s29, v11
	v_sub_nc_u32_e32 v8, v6, v8
	v_subrev_nc_u32_e32 v30, s29, v18
	s_wait_alu 0xf1ff
	v_cndmask_b32_e64 v14, v14, v25, s0
	v_cndmask_b32_e64 v29, v29, v36, s2
	s_wait_alu 0xfffd
	v_cndmask_b32_e32 v6, v19, v21, vcc_lo
	v_cndmask_b32_e64 v18, v18, v30, s2
	v_cmp_le_u32_e32 vcc_lo, s29, v14
	v_add_nc_u32_e32 v32, 1, v27
	v_add_nc_u32_e32 v30, 1, v29
	v_xor_b32_e32 v6, v6, v20
	s_delay_alu instid0(VALU_DEP_3) | instskip(SKIP_2) | instid1(VALU_DEP_4)
	v_cndmask_b32_e64 v23, v27, v32, s0
	v_cndmask_b32_e64 v27, v28, v34, s1
	v_subrev_nc_u32_e32 v28, s29, v15
	v_sub_nc_u32_e32 v19, v6, v20
	s_delay_alu instid0(VALU_DEP_4) | instskip(NEXT) | instid1(VALU_DEP_3)
	v_add_nc_u32_e32 v25, 1, v23
	v_cndmask_b32_e64 v15, v15, v28, s1
	s_wait_alu 0xfffd
	s_delay_alu instid0(VALU_DEP_2) | instskip(NEXT) | instid1(VALU_DEP_2)
	v_dual_cndmask_b32 v11, v23, v25 :: v_dual_add_nc_u32 v28, 1, v27
	v_cmp_le_u32_e32 vcc_lo, s29, v15
	s_delay_alu instid0(VALU_DEP_2) | instskip(SKIP_1) | instid1(VALU_DEP_3)
	v_xor_b32_e32 v11, v11, v22
	s_wait_alu 0xfffd
	v_cndmask_b32_e32 v14, v27, v28, vcc_lo
	v_cmp_le_u32_e32 vcc_lo, s29, v18
	v_mul_lo_u32 v18, v8, s3
	v_sub_nc_u32_e32 v11, v11, v22
	v_mul_lo_u32 v22, s50, v17
	v_xor_b32_e32 v14, v14, v24
	s_wait_alu 0xfffd
	v_cndmask_b32_e32 v15, v29, v30, vcc_lo
	v_sub_nc_u32_e32 v6, v9, v18
	s_delay_alu instid0(VALU_DEP_2)
	v_xor_b32_e32 v15, v15, v26
	v_mul_lo_u32 v9, v19, s3
	v_mul_lo_u32 v18, v11, s3
	v_sub_nc_u32_e32 v14, v14, v24
	v_add_nc_u32_e32 v6, v0, v6
	v_sub_nc_u32_e32 v15, v15, v26
	v_add_nc_u32_e32 v16, v0, v22
	s_delay_alu instid0(VALU_DEP_4) | instskip(SKIP_1) | instid1(VALU_DEP_4)
	v_mul_lo_u32 v20, v14, s3
	v_sub_nc_u32_e32 v9, v12, v9
	v_mul_lo_u32 v21, v15, s3
	v_mul_lo_u32 v6, v6, s25
	v_sub_nc_u32_e32 v7, v7, v18
	s_delay_alu instid0(VALU_DEP_4) | instskip(SKIP_2) | instid1(VALU_DEP_4)
	v_add_nc_u32_e32 v9, v0, v9
	v_sub_nc_u32_e32 v10, v10, v20
	v_sub_nc_u32_e32 v12, v13, v21
	v_add_nc_u32_e32 v13, v0, v7
	v_mad_co_u64_u32 v[6:7], null, v8, s24, v[6:7]
	v_mul_lo_u32 v8, v9, s25
	v_add_nc_u32_e32 v18, v0, v10
	s_delay_alu instid0(VALU_DEP_4) | instskip(SKIP_2) | instid1(VALU_DEP_4)
	v_mul_lo_u32 v10, v13, s25
	v_add_nc_u32_e32 v20, v0, v12
	v_ashrrev_i32_e32 v7, 31, v6
	v_mul_lo_u32 v12, v18, s25
	v_mad_co_u64_u32 v[8:9], null, v19, s24, v[8:9]
	v_mad_co_u64_u32 v[10:11], null, v11, s24, v[10:11]
	s_delay_alu instid0(VALU_DEP_4) | instskip(SKIP_3) | instid1(VALU_DEP_4)
	v_lshlrev_b64_e32 v[6:7], 3, v[6:7]
	v_mul_hi_u32 v18, v1, s48
	v_mad_co_u64_u32 v[12:13], null, v14, s24, v[12:13]
	v_ashrrev_i32_e32 v9, 31, v8
	v_add_co_u32 v6, vcc_lo, s22, v6
	s_wait_alu 0xfffd
	v_add_co_ci_u32_e64 v7, null, s23, v7, vcc_lo
	s_delay_alu instid0(VALU_DEP_3)
	v_lshlrev_b64_e32 v[8:9], 3, v[8:9]
	v_ashrrev_i32_e32 v11, 31, v10
	v_ashrrev_i32_e32 v13, 31, v12
	global_load_b64 v[6:7], v[6:7], off
	v_mul_lo_u32 v14, v20, s25
	v_mul_lo_u32 v19, v18, s37
	v_add_co_u32 v8, vcc_lo, s22, v8
	s_wait_alu 0xfffd
	v_add_co_ci_u32_e64 v9, null, s23, v9, vcc_lo
	v_lshlrev_b64_e32 v[10:11], 3, v[10:11]
	v_lshlrev_b64_e32 v[12:13], 3, v[12:13]
	v_mad_co_u64_u32 v[14:15], null, v15, s24, v[14:15]
	global_load_b64 v[8:9], v[8:9], off
	v_sub_nc_u32_e32 v1, v1, v19
	v_add_co_u32 v10, vcc_lo, s22, v10
	s_wait_alu 0xfffd
	v_add_co_ci_u32_e64 v11, null, s23, v11, vcc_lo
	v_add_co_u32 v12, vcc_lo, s22, v12
	s_wait_alu 0xfffd
	v_add_co_ci_u32_e64 v13, null, s23, v13, vcc_lo
	global_load_b64 v[10:11], v[10:11], off
	v_ashrrev_i32_e32 v15, 31, v14
	v_add_nc_u32_e32 v20, 1, v18
	global_load_b64 v[12:13], v[12:13], off
	v_subrev_nc_u32_e32 v19, s37, v1
	v_lshlrev_b64_e32 v[14:15], 3, v[14:15]
	s_delay_alu instid0(VALU_DEP_1) | instskip(SKIP_1) | instid1(VALU_DEP_2)
	v_add_co_u32 v14, vcc_lo, s22, v14
	s_wait_alu 0xfffd
	v_add_co_ci_u32_e64 v15, null, s23, v15, vcc_lo
	v_cmp_le_u32_e32 vcc_lo, s37, v1
	global_load_b64 v[14:15], v[14:15], off
	s_wait_alu 0xfffd
	v_dual_cndmask_b32 v18, v18, v20 :: v_dual_cndmask_b32 v1, v1, v19
	s_delay_alu instid0(VALU_DEP_1) | instskip(NEXT) | instid1(VALU_DEP_2)
	v_add_nc_u32_e32 v19, 1, v18
	v_cmp_le_u32_e32 vcc_lo, s37, v1
	s_wait_alu 0xfffd
	s_delay_alu instid0(VALU_DEP_2) | instskip(NEXT) | instid1(VALU_DEP_1)
	v_cndmask_b32_e32 v1, v18, v19, vcc_lo
	v_xor_b32_e32 v1, v1, v2
	s_delay_alu instid0(VALU_DEP_1) | instskip(NEXT) | instid1(VALU_DEP_1)
	v_sub_nc_u32_e32 v18, v1, v2
	v_mad_co_u64_u32 v[1:2], null, s52, v18, v[0:1]
	v_or_b32_e32 v2, 1, v3
	v_add_nc_u32_e32 v3, 2, v3
	s_delay_alu instid0(VALU_DEP_2) | instskip(NEXT) | instid1(VALU_DEP_2)
	v_mul_lo_u32 v23, s4, v2
	v_mul_lo_u32 v24, s4, v3
	;; [unrolled: 1-line block ×3, first 2 shown]
	v_ashrrev_i32_e32 v3, 31, v16
	s_delay_alu instid0(VALU_DEP_4) | instskip(NEXT) | instid1(VALU_DEP_4)
	v_add_nc_u32_e32 v16, v0, v23
	v_add_nc_u32_e32 v17, v0, v24
	s_delay_alu instid0(VALU_DEP_4) | instskip(NEXT) | instid1(VALU_DEP_4)
	v_mad_co_u64_u32 v[1:2], null, v18, s20, v[1:2]
	v_add3_u32 v2, v3, v22, v0
	s_delay_alu instid0(VALU_DEP_4) | instskip(NEXT) | instid1(VALU_DEP_4)
	v_ashrrev_i32_e32 v18, 31, v16
	v_ashrrev_i32_e32 v19, 31, v17
	v_xor_b32_e32 v25, s43, v3
	v_xor_b32_e32 v26, s45, v3
	;; [unrolled: 1-line block ×3, first 2 shown]
	v_add3_u32 v20, v18, v23, v0
	v_add3_u32 v21, v19, v24, v0
	v_xor_b32_e32 v28, s43, v18
	v_xor_b32_e32 v29, s43, v19
	v_mul_hi_u32 v27, v3, s44
	v_mul_hi_u32 v30, v3, s46
	v_xor_b32_e32 v31, s45, v18
	v_xor_b32_e32 v32, s45, v19
	;; [unrolled: 1-line block ×4, first 2 shown]
	v_ashrrev_i32_e32 v2, 31, v1
	v_mul_lo_u32 v18, v27, s35
	v_mul_lo_u32 v19, v30, s36
	v_mul_hi_u32 v37, v33, s44
	s_delay_alu instid0(VALU_DEP_4)
	v_lshlrev_b64_e32 v[1:2], 3, v[1:2]
	v_add_nc_u32_e32 v35, 1, v27
	v_add_nc_u32_e32 v36, 1, v30
	v_mul_hi_u32 v38, v34, s44
	v_mul_hi_u32 v39, v33, s46
	v_sub_nc_u32_e32 v41, v3, v18
	v_sub_nc_u32_e32 v3, v3, v19
	v_add_co_u32 v1, vcc_lo, s18, v1
	s_wait_alu 0xfffd
	v_add_co_ci_u32_e64 v2, null, s19, v2, vcc_lo
	v_subrev_nc_u32_e32 v50, s35, v41
	v_cmp_le_u32_e32 vcc_lo, s35, v41
	v_cmp_le_u32_e64 s0, s36, v3
	v_mul_lo_u32 v42, v37, s35
	v_mul_lo_u32 v44, v38, s35
	v_add_nc_u32_e32 v43, 1, v37
	s_wait_alu 0xfffd
	v_cndmask_b32_e32 v27, v27, v35, vcc_lo
	s_wait_alu 0xf1ff
	v_cndmask_b32_e64 v30, v30, v36, s0
	v_cndmask_b32_e32 v36, v41, v50, vcc_lo
	v_subrev_nc_u32_e32 v35, s36, v3
	v_mul_lo_u32 v46, v39, s36
	v_add_nc_u32_e32 v41, 1, v27
	v_sub_nc_u32_e32 v42, v33, v42
	v_cmp_le_u32_e32 vcc_lo, s35, v36
	v_cndmask_b32_e64 v3, v3, v35, s0
	v_sub_nc_u32_e32 v44, v34, v44
	v_add_nc_u32_e32 v35, 1, v30
	v_add_nc_u32_e32 v45, 1, v38
	s_wait_alu 0xfffd
	v_cndmask_b32_e32 v27, v27, v41, vcc_lo
	v_cmp_le_u32_e32 vcc_lo, s35, v42
	v_cmp_le_u32_e64 s1, s36, v3
	v_sub_nc_u32_e32 v33, v33, v46
	v_cmp_le_u32_e64 s0, s35, v44
	v_subrev_nc_u32_e32 v41, s35, v44
	s_wait_alu 0xfffd
	v_cndmask_b32_e32 v36, v37, v43, vcc_lo
	v_subrev_nc_u32_e32 v37, s35, v42
	s_wait_alu 0xf1ff
	v_cndmask_b32_e64 v3, v30, v35, s1
	v_add_nc_u32_e32 v47, 1, v39
	v_cndmask_b32_e64 v38, v38, v45, s0
	v_cmp_le_u32_e64 s1, s36, v33
	v_cndmask_b32_e32 v30, v42, v37, vcc_lo
	v_xor_b32_e32 v27, v27, v25
	v_add_nc_u32_e32 v35, 1, v36
	v_cndmask_b32_e64 v37, v44, v41, s0
	v_xor_b32_e32 v3, v3, v26
	v_cmp_le_u32_e32 vcc_lo, s35, v30
	v_sub_nc_u32_e32 v25, v27, v25
	v_mul_hi_u32 v40, v34, s46
	s_delay_alu instid0(VALU_DEP_4) | instskip(SKIP_3) | instid1(VALU_DEP_4)
	v_sub_nc_u32_e32 v26, v3, v26
	s_wait_alu 0xfffd
	v_cndmask_b32_e32 v27, v36, v35, vcc_lo
	v_cmp_le_u32_e32 vcc_lo, s35, v37
	v_mul_lo_u32 v48, v40, s36
	v_add_nc_u32_e32 v49, 1, v40
	s_delay_alu instid0(VALU_DEP_4) | instskip(NEXT) | instid1(VALU_DEP_1)
	v_xor_b32_e32 v27, v27, v28
	v_sub_nc_u32_e32 v27, v27, v28
	s_delay_alu instid0(VALU_DEP_4) | instskip(NEXT) | instid1(VALU_DEP_1)
	v_sub_nc_u32_e32 v34, v34, v48
	v_cmp_le_u32_e64 s2, s36, v34
	s_wait_loadcnt 0x3
	v_add_f64_e64 v[16:17], -v[8:9], 1.0
	s_wait_loadcnt 0x2
	v_fma_f64 v[18:19], -v[10:11], v[10:11], 1.0
	s_wait_loadcnt 0x1
	v_add_f64_e64 v[10:11], v[12:13], -v[10:11]
	s_delay_alu instid0(VALU_DEP_3) | instskip(NEXT) | instid1(VALU_DEP_2)
	v_mul_f64_e32 v[20:21], v[16:17], v[4:5]
	v_mul_f64_e32 v[10:11], v[10:11], v[4:5]
	s_delay_alu instid0(VALU_DEP_2)
	v_mul_f64_e32 v[12:13], v[18:19], v[20:21]
	v_subrev_nc_u32_e32 v19, s36, v33
	s_wait_alu 0xf1ff
	v_cndmask_b32_e64 v18, v39, v47, s1
	v_add_nc_u32_e32 v39, 1, v38
	v_subrev_nc_u32_e32 v21, s36, v34
	v_cndmask_b32_e64 v20, v40, v49, s2
	v_cndmask_b32_e64 v19, v33, v19, s1
	s_wait_alu 0xfffd
	v_dual_cndmask_b32 v30, v38, v39 :: v_dual_add_nc_u32 v33, 1, v18
	v_cndmask_b32_e64 v21, v34, v21, s2
	v_add_nc_u32_e32 v34, 1, v20
	v_cmp_le_u32_e32 vcc_lo, s36, v19
	v_mul_f64_e32 v[10:11], v[16:17], v[10:11]
	v_xor_b32_e32 v30, v30, v29
	s_wait_alu 0xfffd
	v_cndmask_b32_e32 v3, v18, v33, vcc_lo
	v_add_f64_e64 v[18:19], -v[6:7], 1.0
	v_cmp_le_u32_e32 vcc_lo, s36, v21
	v_mul_lo_u32 v21, v25, s28
	v_mul_lo_u32 v33, v26, s27
	v_xor_b32_e32 v3, v3, v31
	v_sub_nc_u32_e32 v28, v30, v29
	s_wait_alu 0xfffd
	v_cndmask_b32_e32 v20, v20, v34, vcc_lo
	s_delay_alu instid0(VALU_DEP_3) | instskip(SKIP_1) | instid1(VALU_DEP_3)
	v_sub_nc_u32_e32 v29, v3, v31
	v_sub_nc_u32_e32 v3, v22, v21
	v_xor_b32_e32 v20, v20, v32
	v_mul_lo_u32 v21, v27, s28
	s_delay_alu instid0(VALU_DEP_4) | instskip(NEXT) | instid1(VALU_DEP_4)
	v_mul_lo_u32 v31, v29, s27
	v_add_nc_u32_e32 v3, v0, v3
	s_delay_alu instid0(VALU_DEP_4)
	v_sub_nc_u32_e32 v30, v20, v32
	v_sub_nc_u32_e32 v20, v22, v33
	v_mul_lo_u32 v22, v28, s28
	v_sub_nc_u32_e32 v21, v23, v21
	s_wait_loadcnt 0x0
	v_mul_f64_e32 v[14:15], v[14:15], v[12:13]
	v_mul_lo_u32 v32, v30, s27
	v_mul_lo_u32 v3, v3, s13
	v_add_nc_u32_e32 v20, v0, v20
	v_add_nc_u32_e32 v21, v0, v21
	v_sub_nc_u32_e32 v22, v24, v22
	v_sub_nc_u32_e32 v23, v23, v31
	s_delay_alu instid0(VALU_DEP_4)
	v_mul_lo_u32 v20, v20, s7
	v_sub_nc_u32_e32 v24, v24, v32
	v_mad_co_u64_u32 v[16:17], null, v25, s12, v[3:4]
	v_mul_lo_u32 v3, v21, s13
	v_add_nc_u32_e32 v22, v0, v22
	v_add_nc_u32_e32 v23, v0, v23
	;; [unrolled: 1-line block ×4, first 2 shown]
	v_ashrrev_i32_e32 v17, 31, v16
	s_delay_alu instid0(VALU_DEP_2) | instskip(NEXT) | instid1(VALU_DEP_2)
	v_cmp_le_i32_e32 vcc_lo, s5, v0
	v_lshlrev_b64_e32 v[16:17], 3, v[16:17]
	s_or_b32 s31, vcc_lo, s31
	v_mul_f64_e32 v[14:15], v[18:19], v[14:15]
	v_mad_co_u64_u32 v[18:19], null, v26, s6, v[20:21]
	v_mul_lo_u32 v20, v22, s13
	v_mul_lo_u32 v21, v23, s7
	;; [unrolled: 1-line block ×3, first 2 shown]
	v_mad_co_u64_u32 v[23:24], null, v27, s12, v[3:4]
	v_mul_f64_e32 v[3:4], v[8:9], v[4:5]
	v_mul_f64_e32 v[8:9], v[8:9], v[10:11]
	;; [unrolled: 1-line block ×3, first 2 shown]
	v_ashrrev_i32_e32 v19, 31, v18
	v_mad_co_u64_u32 v[25:26], null, v28, s12, v[20:21]
	v_mad_co_u64_u32 v[20:21], null, v29, s6, v[21:22]
	s_delay_alu instid0(VALU_DEP_3) | instskip(SKIP_4) | instid1(VALU_DEP_4)
	v_lshlrev_b64_e32 v[18:19], 3, v[18:19]
	v_mad_co_u64_u32 v[27:28], null, v30, s6, v[22:23]
	v_ashrrev_i32_e32 v24, 31, v23
	v_ashrrev_i32_e32 v26, 31, v25
	;; [unrolled: 1-line block ×4, first 2 shown]
	s_delay_alu instid0(VALU_DEP_2)
	v_lshlrev_b64_e32 v[20:21], 3, v[20:21]
	v_mul_f64_e32 v[5:6], v[6:7], v[14:15]
	v_add_co_u32 v14, vcc_lo, s10, v16
	s_wait_alu 0xfffd
	v_add_co_ci_u32_e64 v15, null, s11, v17, vcc_lo
	v_add_co_u32 v16, vcc_lo, s14, v18
	s_wait_alu 0xfffd
	v_add_co_ci_u32_e64 v17, null, s15, v19, vcc_lo
	v_lshlrev_b64_e32 v[18:19], 3, v[23:24]
	v_lshlrev_b64_e32 v[22:23], 3, v[25:26]
	;; [unrolled: 1-line block ×3, first 2 shown]
	s_delay_alu instid0(VALU_DEP_3) | instskip(SKIP_1) | instid1(VALU_DEP_4)
	v_add_co_u32 v18, vcc_lo, s10, v18
	s_wait_alu 0xfffd
	v_add_co_ci_u32_e64 v19, null, s11, v19, vcc_lo
	s_delay_alu instid0(VALU_DEP_4)
	v_add_co_u32 v22, vcc_lo, s10, v22
	s_wait_alu 0xfffd
	v_add_co_ci_u32_e64 v23, null, s11, v23, vcc_lo
	v_add_co_u32 v20, vcc_lo, s14, v20
	s_wait_alu 0xfffd
	v_add_co_ci_u32_e64 v21, null, s15, v21, vcc_lo
	;; [unrolled: 3-line block ×3, first 2 shown]
	s_clause 0x2
	global_store_b64 v[14:15], v[5:6], off
	global_store_b64 v[18:19], v[8:9], off
	;; [unrolled: 1-line block ×3, first 2 shown]
	s_clause 0x2
	global_store_b64 v[16:17], v[5:6], off
	global_store_b64 v[20:21], v[8:9], off
	;; [unrolled: 1-line block ×4, first 2 shown]
	s_wait_alu 0xfffe
	s_and_not1_b32 exec_lo, exec_lo, s31
	s_cbranch_execnz .LBB49_2
.LBB49_3:
	s_endpgm
	.section	.rodata,"a",@progbits
	.p2align	6, 0x0
	.amdhsa_kernel _ZN2at6native12_GLOBAL__N_16kernel17gru_cell_backwardIddiLi2EEEvNS_4cuda6detail10TensorInfoIT_T1_EES9_S9_S9_S9_S8_S8_
		.amdhsa_group_segment_fixed_size 0
		.amdhsa_private_segment_fixed_size 0
		.amdhsa_kernarg_size 1344
		.amdhsa_user_sgpr_count 2
		.amdhsa_user_sgpr_dispatch_ptr 0
		.amdhsa_user_sgpr_queue_ptr 0
		.amdhsa_user_sgpr_kernarg_segment_ptr 1
		.amdhsa_user_sgpr_dispatch_id 0
		.amdhsa_user_sgpr_private_segment_size 0
		.amdhsa_wavefront_size32 1
		.amdhsa_uses_dynamic_stack 0
		.amdhsa_enable_private_segment 0
		.amdhsa_system_sgpr_workgroup_id_x 1
		.amdhsa_system_sgpr_workgroup_id_y 0
		.amdhsa_system_sgpr_workgroup_id_z 0
		.amdhsa_system_sgpr_workgroup_info 0
		.amdhsa_system_vgpr_workitem_id 0
		.amdhsa_next_free_vgpr 51
		.amdhsa_next_free_sgpr 53
		.amdhsa_reserve_vcc 1
		.amdhsa_float_round_mode_32 0
		.amdhsa_float_round_mode_16_64 0
		.amdhsa_float_denorm_mode_32 3
		.amdhsa_float_denorm_mode_16_64 3
		.amdhsa_fp16_overflow 0
		.amdhsa_workgroup_processor_mode 1
		.amdhsa_memory_ordered 1
		.amdhsa_forward_progress 1
		.amdhsa_inst_pref_size 26
		.amdhsa_round_robin_scheduling 0
		.amdhsa_exception_fp_ieee_invalid_op 0
		.amdhsa_exception_fp_denorm_src 0
		.amdhsa_exception_fp_ieee_div_zero 0
		.amdhsa_exception_fp_ieee_overflow 0
		.amdhsa_exception_fp_ieee_underflow 0
		.amdhsa_exception_fp_ieee_inexact 0
		.amdhsa_exception_int_div_zero 0
	.end_amdhsa_kernel
	.section	.text._ZN2at6native12_GLOBAL__N_16kernel17gru_cell_backwardIddiLi2EEEvNS_4cuda6detail10TensorInfoIT_T1_EES9_S9_S9_S9_S8_S8_,"axG",@progbits,_ZN2at6native12_GLOBAL__N_16kernel17gru_cell_backwardIddiLi2EEEvNS_4cuda6detail10TensorInfoIT_T1_EES9_S9_S9_S9_S8_S8_,comdat
.Lfunc_end49:
	.size	_ZN2at6native12_GLOBAL__N_16kernel17gru_cell_backwardIddiLi2EEEvNS_4cuda6detail10TensorInfoIT_T1_EES9_S9_S9_S9_S8_S8_, .Lfunc_end49-_ZN2at6native12_GLOBAL__N_16kernel17gru_cell_backwardIddiLi2EEEvNS_4cuda6detail10TensorInfoIT_T1_EES9_S9_S9_S9_S8_S8_
                                        ; -- End function
	.set _ZN2at6native12_GLOBAL__N_16kernel17gru_cell_backwardIddiLi2EEEvNS_4cuda6detail10TensorInfoIT_T1_EES9_S9_S9_S9_S8_S8_.num_vgpr, 51
	.set _ZN2at6native12_GLOBAL__N_16kernel17gru_cell_backwardIddiLi2EEEvNS_4cuda6detail10TensorInfoIT_T1_EES9_S9_S9_S9_S8_S8_.num_agpr, 0
	.set _ZN2at6native12_GLOBAL__N_16kernel17gru_cell_backwardIddiLi2EEEvNS_4cuda6detail10TensorInfoIT_T1_EES9_S9_S9_S9_S8_S8_.numbered_sgpr, 53
	.set _ZN2at6native12_GLOBAL__N_16kernel17gru_cell_backwardIddiLi2EEEvNS_4cuda6detail10TensorInfoIT_T1_EES9_S9_S9_S9_S8_S8_.num_named_barrier, 0
	.set _ZN2at6native12_GLOBAL__N_16kernel17gru_cell_backwardIddiLi2EEEvNS_4cuda6detail10TensorInfoIT_T1_EES9_S9_S9_S9_S8_S8_.private_seg_size, 0
	.set _ZN2at6native12_GLOBAL__N_16kernel17gru_cell_backwardIddiLi2EEEvNS_4cuda6detail10TensorInfoIT_T1_EES9_S9_S9_S9_S8_S8_.uses_vcc, 1
	.set _ZN2at6native12_GLOBAL__N_16kernel17gru_cell_backwardIddiLi2EEEvNS_4cuda6detail10TensorInfoIT_T1_EES9_S9_S9_S9_S8_S8_.uses_flat_scratch, 0
	.set _ZN2at6native12_GLOBAL__N_16kernel17gru_cell_backwardIddiLi2EEEvNS_4cuda6detail10TensorInfoIT_T1_EES9_S9_S9_S9_S8_S8_.has_dyn_sized_stack, 0
	.set _ZN2at6native12_GLOBAL__N_16kernel17gru_cell_backwardIddiLi2EEEvNS_4cuda6detail10TensorInfoIT_T1_EES9_S9_S9_S9_S8_S8_.has_recursion, 0
	.set _ZN2at6native12_GLOBAL__N_16kernel17gru_cell_backwardIddiLi2EEEvNS_4cuda6detail10TensorInfoIT_T1_EES9_S9_S9_S9_S8_S8_.has_indirect_call, 0
	.section	.AMDGPU.csdata,"",@progbits
; Kernel info:
; codeLenInByte = 3204
; TotalNumSgprs: 55
; NumVgprs: 51
; ScratchSize: 0
; MemoryBound: 0
; FloatMode: 240
; IeeeMode: 1
; LDSByteSize: 0 bytes/workgroup (compile time only)
; SGPRBlocks: 0
; VGPRBlocks: 6
; NumSGPRsForWavesPerEU: 55
; NumVGPRsForWavesPerEU: 51
; Occupancy: 16
; WaveLimiterHint : 1
; COMPUTE_PGM_RSRC2:SCRATCH_EN: 0
; COMPUTE_PGM_RSRC2:USER_SGPR: 2
; COMPUTE_PGM_RSRC2:TRAP_HANDLER: 0
; COMPUTE_PGM_RSRC2:TGID_X_EN: 1
; COMPUTE_PGM_RSRC2:TGID_Y_EN: 0
; COMPUTE_PGM_RSRC2:TGID_Z_EN: 0
; COMPUTE_PGM_RSRC2:TIDIG_COMP_CNT: 0
	.section	.text._ZN2at6native12_GLOBAL__N_16kernel17gru_cell_backwardIddlLi1EEEvNS_4cuda6detail10TensorInfoIT_T1_EES9_S9_S9_S9_S8_S8_,"axG",@progbits,_ZN2at6native12_GLOBAL__N_16kernel17gru_cell_backwardIddlLi1EEEvNS_4cuda6detail10TensorInfoIT_T1_EES9_S9_S9_S9_S8_S8_,comdat
	.globl	_ZN2at6native12_GLOBAL__N_16kernel17gru_cell_backwardIddlLi1EEEvNS_4cuda6detail10TensorInfoIT_T1_EES9_S9_S9_S9_S8_S8_ ; -- Begin function _ZN2at6native12_GLOBAL__N_16kernel17gru_cell_backwardIddlLi1EEEvNS_4cuda6detail10TensorInfoIT_T1_EES9_S9_S9_S9_S8_S8_
	.p2align	8
	.type	_ZN2at6native12_GLOBAL__N_16kernel17gru_cell_backwardIddlLi1EEEvNS_4cuda6detail10TensorInfoIT_T1_EES9_S9_S9_S9_S8_S8_,@function
_ZN2at6native12_GLOBAL__N_16kernel17gru_cell_backwardIddlLi1EEEvNS_4cuda6detail10TensorInfoIT_T1_EES9_S9_S9_S9_S8_S8_: ; @_ZN2at6native12_GLOBAL__N_16kernel17gru_cell_backwardIddlLi1EEEvNS_4cuda6detail10TensorInfoIT_T1_EES9_S9_S9_S9_S8_S8_
; %bb.0:
	s_clause 0x1
	s_load_b32 s2, s[0:1], 0x83c
	s_load_b128 s[4:7], s[0:1], 0x820
	v_mov_b32_e32 v1, 0
	s_wait_kmcnt 0x0
	s_and_b32 s20, s2, 0xffff
	s_mov_b32 s2, exec_lo
	s_delay_alu instid0(VALU_DEP_1) | instskip(SKIP_1) | instid1(VALU_DEP_1)
	v_mad_co_u64_u32 v[3:4], null, ttmp9, s20, v[0:1]
	v_mov_b32_e32 v4, v1
	v_cmpx_gt_i64_e64 s[6:7], v[3:4]
	s_cbranch_execz .LBB50_7
; %bb.1:
	s_clause 0x1
	s_load_b64 s[24:25], s[0:1], 0x410
	s_load_b64 s[26:27], s[0:1], 0x5b0
	v_cvt_f32_u32_e32 v0, s4
	s_clause 0x1
	s_load_b64 s[28:29], s[0:1], 0x340
	s_load_b64 s[30:31], s[0:1], 0x4e0
	s_add_nc_u64 s[14:15], s[0:1], 0x830
	s_clause 0x3
	s_load_b64 s[2:3], s[0:1], 0x0
	s_load_b64 s[8:9], s[0:1], 0xd0
	;; [unrolled: 1-line block ×4, first 2 shown]
	s_load_b32 s22, s[14:15], 0x0
	s_clause 0x1
	s_load_b64 s[14:15], s[0:1], 0x680
	s_load_b64 s[16:17], s[0:1], 0x750
	s_sub_co_i32 s0, 0, s4
	v_rcp_iflag_f32_e32 v0, v0
	s_mov_b32 s1, 0
	s_lshl_b64 s[18:19], s[4:5], 2
	s_wait_alu 0xfffe
	s_mov_b32 s21, s1
	s_delay_alu instid0(TRANS32_DEP_1)
	v_mul_f32_e32 v0, 0x4f7ffffe, v0
	s_wait_kmcnt 0x0
	v_mul_lo_u32 v2, 0, s24
	v_mul_lo_u32 v9, v3, s25
	v_mad_co_u64_u32 v[5:6], null, v3, s24, 0
	v_mul_lo_u32 v10, 0, s26
	v_mul_lo_u32 v11, v3, s27
	v_mad_co_u64_u32 v[7:8], null, v3, s26, 0
	v_cvt_u32_f32_e32 v0, v0
	s_mul_i32 s20, s22, s20
	v_add3_u32 v6, v6, v9, v2
	s_wait_alu 0xfffe
	s_mul_u64 s[24:25], s[20:21], s[24:25]
	s_mul_u64 s[26:27], s[20:21], s[26:27]
	v_mul_lo_u32 v2, s0, v0
	v_add3_u32 v8, v8, v11, v10
	v_lshlrev_b64_e32 v[5:6], 3, v[5:6]
	s_lshl_b64 s[22:23], s[4:5], 1
	s_wait_alu 0xfffe
	s_lshl_b64 s[24:25], s[24:25], 3
	s_lshl_b64 s[26:27], s[26:27], 3
	v_lshlrev_b64_e32 v[7:8], 3, v[7:8]
	s_mov_b32 s21, 0
	v_mul_hi_u32 v2, v0, v2
	v_add_co_u32 v5, vcc_lo, s28, v5
	s_delay_alu instid0(VALU_DEP_1) | instskip(NEXT) | instid1(VALU_DEP_4)
	v_add_co_ci_u32_e64 v6, null, s29, v6, vcc_lo
	v_add_co_u32 v7, vcc_lo, s30, v7
	s_wait_alu 0xfffd
	v_add_co_ci_u32_e64 v8, null, s31, v8, vcc_lo
	v_add_nc_u32_e32 v0, v0, v2
	s_ashr_i32 s28, s5, 31
	s_branch .LBB50_3
.LBB50_2:                               ;   in Loop: Header=BB50_3 Depth=1
	s_wait_alu 0xfffe
	s_or_b32 exec_lo, exec_lo, s0
	s_delay_alu instid0(VALU_DEP_1) | instskip(SKIP_3) | instid1(VALU_DEP_4)
	v_lshlrev_b64_e32 v[11:12], 2, v[9:10]
	v_mul_lo_u32 v23, s18, v10
	v_mul_lo_u32 v24, s19, v9
	v_lshlrev_b64_e32 v[29:30], 1, v[9:10]
	v_or_b32_e32 v2, 1, v11
	v_mul_lo_u32 v21, s4, v12
	s_delay_alu instid0(VALU_DEP_3) | instskip(NEXT) | instid1(VALU_DEP_4)
	v_or_b32_e32 v31, 1, v29
	v_mul_lo_u32 v32, s4, v30
	s_delay_alu instid0(VALU_DEP_4) | instskip(SKIP_1) | instid1(VALU_DEP_4)
	v_mul_lo_u32 v15, s5, v2
	v_mad_co_u64_u32 v[13:14], null, s4, v2, v[3:4]
	v_mul_lo_u32 v35, s5, v31
	s_delay_alu instid0(VALU_DEP_2) | instskip(NEXT) | instid1(VALU_DEP_3)
	v_add3_u32 v2, v15, v14, v21
	v_mul_lo_u32 v15, v13, s17
	v_mad_co_u64_u32 v[13:14], null, v13, s16, 0
	s_delay_alu instid0(VALU_DEP_3) | instskip(NEXT) | instid1(VALU_DEP_1)
	v_mul_lo_u32 v2, v2, s16
	v_add3_u32 v14, v14, v15, v2
	v_or_b32_e32 v2, 2, v11
	s_delay_alu instid0(VALU_DEP_2) | instskip(NEXT) | instid1(VALU_DEP_2)
	v_lshlrev_b64_e32 v[13:14], 3, v[13:14]
	v_mul_lo_u32 v17, s5, v2
	v_mad_co_u64_u32 v[15:16], null, s4, v2, v[3:4]
	s_delay_alu instid0(VALU_DEP_3) | instskip(SKIP_1) | instid1(VALU_DEP_4)
	v_add_co_u32 v13, vcc_lo, s14, v13
	s_wait_alu 0xfffd
	v_add_co_ci_u32_e64 v14, null, s15, v14, vcc_lo
	s_delay_alu instid0(VALU_DEP_3) | instskip(NEXT) | instid1(VALU_DEP_4)
	v_add3_u32 v2, v17, v16, v21
	v_mul_lo_u32 v17, v15, s17
	v_mad_co_u64_u32 v[15:16], null, v15, s16, 0
	global_load_b64 v[13:14], v[13:14], off
	v_mul_lo_u32 v2, v2, s16
	s_delay_alu instid0(VALU_DEP_1) | instskip(SKIP_1) | instid1(VALU_DEP_2)
	v_add3_u32 v16, v16, v17, v2
	v_or_b32_e32 v2, 3, v11
	v_lshlrev_b64_e32 v[15:16], 3, v[15:16]
	s_delay_alu instid0(VALU_DEP_2) | instskip(SKIP_1) | instid1(VALU_DEP_3)
	v_mul_lo_u32 v22, s5, v2
	v_mad_co_u64_u32 v[17:18], null, s4, v2, v[3:4]
	v_add_co_u32 v15, vcc_lo, s14, v15
	s_wait_alu 0xfffd
	s_delay_alu instid0(VALU_DEP_4)
	v_add_co_ci_u32_e64 v16, null, s15, v16, vcc_lo
	global_load_b64 v[15:16], v[15:16], off
	global_load_b64 v[19:20], v[5:6], off
	v_add3_u32 v2, v22, v18, v21
	v_mul_lo_u32 v21, v17, s17
	v_mad_co_u64_u32 v[17:18], null, v17, s16, 0
	s_delay_alu instid0(VALU_DEP_3) | instskip(NEXT) | instid1(VALU_DEP_1)
	v_mul_lo_u32 v2, v2, s16
	v_add3_u32 v18, v18, v21, v2
	v_add_co_u32 v2, vcc_lo, v11, 4
	s_wait_alu 0xfffd
	v_add_co_ci_u32_e64 v21, null, 0, v12, vcc_lo
	s_delay_alu instid0(VALU_DEP_3) | instskip(SKIP_1) | instid1(VALU_DEP_3)
	v_lshlrev_b64_e32 v[11:12], 3, v[17:18]
	v_mad_co_u64_u32 v[17:18], null, s18, v9, v[3:4]
	v_mul_lo_u32 v25, s4, v21
	v_mul_lo_u32 v26, s5, v2
	v_mad_co_u64_u32 v[21:22], null, s4, v2, v[3:4]
	v_add_co_u32 v11, vcc_lo, s14, v11
	s_wait_alu 0xfffd
	v_add_co_ci_u32_e64 v12, null, s15, v12, vcc_lo
	v_add3_u32 v2, v24, v18, v23
	v_mul_lo_u32 v23, v17, s17
	v_add3_u32 v24, v26, v22, v25
	global_load_b64 v[11:12], v[11:12], off
	v_mad_co_u64_u32 v[17:18], null, v17, s16, 0
	v_mul_lo_u32 v2, v2, s16
	v_mul_lo_u32 v25, v21, s17
	v_mad_co_u64_u32 v[21:22], null, v21, s16, 0
	v_mul_lo_u32 v24, v24, s16
	s_delay_alu instid0(VALU_DEP_4) | instskip(SKIP_1) | instid1(VALU_DEP_3)
	v_add3_u32 v18, v18, v23, v2
	v_mul_lo_u32 v2, s22, v10
	v_add3_u32 v22, v22, v25, v24
	s_delay_alu instid0(VALU_DEP_3) | instskip(NEXT) | instid1(VALU_DEP_2)
	v_lshlrev_b64_e32 v[17:18], 3, v[17:18]
	v_lshlrev_b64_e32 v[21:22], 3, v[21:22]
	s_delay_alu instid0(VALU_DEP_2) | instskip(SKIP_1) | instid1(VALU_DEP_3)
	v_add_co_u32 v17, vcc_lo, s14, v17
	s_wait_alu 0xfffd
	v_add_co_ci_u32_e64 v18, null, s15, v18, vcc_lo
	s_delay_alu instid0(VALU_DEP_3)
	v_add_co_u32 v21, vcc_lo, s14, v21
	s_wait_alu 0xfffd
	v_add_co_ci_u32_e64 v22, null, s15, v22, vcc_lo
	s_clause 0x1
	global_load_b64 v[17:18], v[17:18], off
	global_load_b64 v[21:22], v[21:22], off
	v_add_co_u32 v5, vcc_lo, v5, s24
	s_wait_alu 0xfffd
	v_add_co_ci_u32_e64 v6, null, s25, v6, vcc_lo
	v_add_co_u32 v29, vcc_lo, v29, 2
	s_wait_alu 0xfffd
	v_add_co_ci_u32_e64 v30, null, 0, v30, vcc_lo
	s_delay_alu instid0(VALU_DEP_2)
	v_mul_lo_u32 v36, s5, v29
	s_wait_loadcnt 0x5
	v_add_f64_e64 v[23:24], -v[13:14], 1.0
	s_wait_loadcnt 0x4
	v_fma_f64 v[25:26], -v[15:16], v[15:16], 1.0
	s_wait_loadcnt 0x3
	s_delay_alu instid0(VALU_DEP_2) | instskip(SKIP_2) | instid1(VALU_DEP_2)
	v_mul_f64_e32 v[27:28], v[23:24], v[19:20]
	s_wait_loadcnt 0x2
	v_add_f64_e64 v[11:12], v[11:12], -v[15:16]
	v_mul_f64_e32 v[25:26], v[25:26], v[27:28]
	v_mad_co_u64_u32 v[27:28], null, s22, v9, v[3:4]
	v_mul_lo_u32 v9, s23, v9
	s_delay_alu instid0(VALU_DEP_2) | instskip(SKIP_1) | instid1(VALU_DEP_3)
	v_mul_lo_u32 v33, v27, s9
	v_mul_lo_u32 v34, v27, s13
	v_add3_u32 v2, v9, v28, v2
	v_mad_co_u64_u32 v[9:10], null, v27, s8, 0
	s_wait_loadcnt 0x1
	v_add_f64_e64 v[15:16], -v[17:18], 1.0
	s_delay_alu instid0(VALU_DEP_3) | instskip(SKIP_2) | instid1(VALU_DEP_3)
	v_mul_lo_u32 v37, v2, s8
	v_mul_lo_u32 v2, v2, s12
	v_mul_f64_e32 v[11:12], v[11:12], v[19:20]
	v_add3_u32 v10, v10, v33, v37
	s_delay_alu instid0(VALU_DEP_1) | instskip(NEXT) | instid1(VALU_DEP_1)
	v_lshlrev_b64_e32 v[9:10], 3, v[9:10]
	v_add_co_u32 v9, s0, s2, v9
	s_wait_alu 0xf1ff
	s_delay_alu instid0(VALU_DEP_2)
	v_add_co_ci_u32_e64 v10, null, s3, v10, s0
	s_wait_loadcnt 0x0
	v_mul_f64_e32 v[21:22], v[21:22], v[25:26]
	v_mul_f64_e32 v[11:12], v[23:24], v[11:12]
	v_mad_co_u64_u32 v[23:24], null, s4, v31, v[3:4]
	v_mul_lo_u32 v31, s4, v30
	s_delay_alu instid0(VALU_DEP_2) | instskip(NEXT) | instid1(VALU_DEP_3)
	v_add3_u32 v35, v35, v24, v32
	v_mul_lo_u32 v38, v23, s9
	v_mul_lo_u32 v40, v23, s13
	v_mul_f64_e32 v[15:16], v[15:16], v[21:22]
	v_mad_co_u64_u32 v[21:22], null, v27, s12, 0
	v_mad_co_u64_u32 v[27:28], null, s4, v29, v[3:4]
	;; [unrolled: 1-line block ×4, first 2 shown]
	s_delay_alu instid0(VALU_DEP_4)
	v_add3_u32 v22, v22, v34, v2
	v_mul_lo_u32 v2, v35, s8
	v_add3_u32 v36, v36, v28, v31
	v_mul_lo_u32 v39, v27, s9
	v_mad_co_u64_u32 v[31:32], null, v27, s8, 0
	v_mul_lo_u32 v34, v35, s12
	s_delay_alu instid0(VALU_DEP_4)
	v_mul_lo_u32 v33, v36, s8
	v_mul_lo_u32 v41, v27, s13
	v_mad_co_u64_u32 v[27:28], null, v27, s12, 0
	v_mul_lo_u32 v35, v36, s12
	v_mul_f64_e32 v[11:12], v[13:14], v[11:12]
	v_mul_f64_e32 v[13:14], v[13:14], v[19:20]
	v_add3_u32 v30, v30, v38, v2
	v_add3_u32 v32, v32, v39, v33
	v_lshlrev_b64_e32 v[21:22], 3, v[21:22]
	v_add3_u32 v24, v24, v40, v34
	v_add_co_u32 v3, vcc_lo, v3, s20
	v_lshlrev_b64_e32 v[19:20], 3, v[29:30]
	v_add3_u32 v28, v28, v41, v35
	v_lshlrev_b64_e32 v[29:30], 3, v[31:32]
	v_add_co_u32 v21, s0, s10, v21
	v_lshlrev_b64_e32 v[23:24], 3, v[23:24]
	s_wait_alu 0xf1ff
	v_add_co_ci_u32_e64 v22, null, s11, v22, s0
	v_lshlrev_b64_e32 v[27:28], 3, v[27:28]
	v_mul_f64_e32 v[15:16], v[17:18], v[15:16]
	v_mul_f64_e32 v[17:18], v[17:18], v[25:26]
	v_add_co_u32 v19, s0, s2, v19
	s_wait_alu 0xfffd
	v_add_co_ci_u32_e64 v4, null, 0, v4, vcc_lo
	s_wait_alu 0xf1ff
	v_add_co_ci_u32_e64 v20, null, s3, v20, s0
	v_add_co_u32 v29, s0, s2, v29
	s_wait_alu 0xf1ff
	v_add_co_ci_u32_e64 v30, null, s3, v30, s0
	v_add_co_u32 v23, s0, s10, v23
	;; [unrolled: 3-line block ×3, first 2 shown]
	v_cmp_le_i64_e32 vcc_lo, s[6:7], v[3:4]
	s_wait_alu 0xf1ff
	v_add_co_ci_u32_e64 v28, null, s11, v28, s0
	s_clause 0x2
	global_store_b64 v[9:10], v[15:16], off
	global_store_b64 v[19:20], v[11:12], off
	;; [unrolled: 1-line block ×3, first 2 shown]
	s_clause 0x2
	global_store_b64 v[21:22], v[15:16], off
	global_store_b64 v[23:24], v[11:12], off
	;; [unrolled: 1-line block ×4, first 2 shown]
	v_add_co_u32 v7, s0, v7, s26
	s_wait_alu 0xf1ff
	v_add_co_ci_u32_e64 v8, null, s27, v8, s0
	s_or_b32 s21, vcc_lo, s21
	s_wait_alu 0xfffe
	s_and_not1_b32 exec_lo, exec_lo, s21
	s_cbranch_execz .LBB50_7
.LBB50_3:                               ; =>This Inner Loop Header: Depth=1
	v_or_b32_e32 v2, s5, v4
                                        ; implicit-def: $vgpr9_vgpr10
	s_mov_b32 s0, exec_lo
	s_delay_alu instid0(VALU_DEP_1)
	v_cmpx_ne_u64_e32 0, v[1:2]
	s_wait_alu 0xfffe
	s_xor_b32 s33, exec_lo, s0
	s_cbranch_execz .LBB50_5
; %bb.4:                                ;   in Loop: Header=BB50_3 Depth=1
	s_mov_b32 s29, s28
	v_ashrrev_i32_e32 v2, 31, v4
	s_wait_alu 0xfffe
	s_add_nc_u64 s[30:31], s[4:5], s[28:29]
	s_wait_alu 0xfffe
	s_xor_b64 s[30:31], s[30:31], s[28:29]
	v_add_co_u32 v9, vcc_lo, v3, v2
	s_wait_alu 0xfffe
	s_cvt_f32_u32 s0, s30
	s_cvt_f32_u32 s29, s31
	s_sub_nc_u64 s[36:37], 0, s[30:31]
	s_wait_alu 0xfffd
	v_add_co_ci_u32_e64 v10, null, v4, v2, vcc_lo
	s_wait_alu 0xfffe
	s_fmamk_f32 s0, s29, 0x4f800000, s0
	v_xor_b32_e32 v15, v9, v2
	s_delay_alu instid0(VALU_DEP_2) | instskip(SKIP_3) | instid1(TRANS32_DEP_1)
	v_xor_b32_e32 v16, v10, v2
	s_wait_alu 0xfffe
	v_s_rcp_f32 s0, s0
	v_xor_b32_e32 v2, s28, v2
	s_mul_f32 s0, s0, 0x5f7ffffc
	s_wait_alu 0xfffe
	s_delay_alu instid0(SALU_CYCLE_2) | instskip(SKIP_1) | instid1(SALU_CYCLE_2)
	s_mul_f32 s29, s0, 0x2f800000
	s_wait_alu 0xfffe
	s_trunc_f32 s29, s29
	s_wait_alu 0xfffe
	s_delay_alu instid0(SALU_CYCLE_2) | instskip(SKIP_2) | instid1(SALU_CYCLE_1)
	s_fmamk_f32 s0, s29, 0xcf800000, s0
	s_cvt_u32_f32 s35, s29
	s_wait_alu 0xfffe
	s_cvt_u32_f32 s34, s0
	s_delay_alu instid0(SALU_CYCLE_3) | instskip(NEXT) | instid1(SALU_CYCLE_1)
	s_mul_u64 s[38:39], s[36:37], s[34:35]
	s_mul_hi_u32 s41, s34, s39
	s_mul_i32 s40, s34, s39
	s_mul_hi_u32 s0, s34, s38
	s_mul_i32 s42, s35, s38
	s_wait_alu 0xfffe
	s_add_nc_u64 s[40:41], s[0:1], s[40:41]
	s_mul_hi_u32 s29, s35, s38
	s_mul_hi_u32 s43, s35, s39
	s_add_co_u32 s0, s40, s42
	s_wait_alu 0xfffe
	s_add_co_ci_u32 s0, s41, s29
	s_mul_i32 s38, s35, s39
	s_add_co_ci_u32 s39, s43, 0
	s_wait_alu 0xfffe
	s_add_nc_u64 s[38:39], s[0:1], s[38:39]
	s_delay_alu instid0(SALU_CYCLE_1) | instskip(SKIP_4) | instid1(SALU_CYCLE_1)
	s_add_co_u32 s34, s34, s38
	s_cselect_b32 s0, -1, 0
	s_wait_alu 0xfffe
	s_cmp_lg_u32 s0, 0
	s_add_co_ci_u32 s35, s35, s39
	s_mul_u64 s[36:37], s[36:37], s[34:35]
	s_delay_alu instid0(SALU_CYCLE_1)
	s_mul_hi_u32 s39, s34, s37
	s_mul_i32 s38, s34, s37
	s_mul_hi_u32 s0, s34, s36
	s_mul_i32 s40, s35, s36
	s_wait_alu 0xfffe
	s_add_nc_u64 s[38:39], s[0:1], s[38:39]
	s_mul_hi_u32 s29, s35, s36
	s_mul_hi_u32 s41, s35, s37
	s_add_co_u32 s0, s38, s40
	s_wait_alu 0xfffe
	s_add_co_ci_u32 s0, s39, s29
	s_mul_i32 s36, s35, s37
	s_add_co_ci_u32 s37, s41, 0
	s_wait_alu 0xfffe
	s_add_nc_u64 s[36:37], s[0:1], s[36:37]
	s_delay_alu instid0(SALU_CYCLE_1)
	s_add_co_u32 s0, s34, s36
	s_cselect_b32 s29, -1, 0
	s_wait_alu 0xfffe
	v_mul_hi_u32 v17, v15, s0
	s_cmp_lg_u32 s29, 0
	v_mad_co_u64_u32 v[11:12], null, v16, s0, 0
	s_add_co_ci_u32 s29, s35, s37
	s_wait_alu 0xfffe
	v_mad_co_u64_u32 v[9:10], null, v15, s29, 0
	v_mad_co_u64_u32 v[13:14], null, v16, s29, 0
	s_delay_alu instid0(VALU_DEP_2) | instskip(SKIP_1) | instid1(VALU_DEP_3)
	v_add_co_u32 v9, vcc_lo, v17, v9
	s_wait_alu 0xfffd
	v_add_co_ci_u32_e64 v10, null, 0, v10, vcc_lo
	s_delay_alu instid0(VALU_DEP_2) | instskip(SKIP_1) | instid1(VALU_DEP_2)
	v_add_co_u32 v9, vcc_lo, v9, v11
	s_wait_alu 0xfffd
	v_add_co_ci_u32_e32 v9, vcc_lo, v10, v12, vcc_lo
	s_wait_alu 0xfffd
	v_add_co_ci_u32_e32 v10, vcc_lo, 0, v14, vcc_lo
	s_delay_alu instid0(VALU_DEP_2) | instskip(SKIP_1) | instid1(VALU_DEP_2)
	v_add_co_u32 v11, vcc_lo, v9, v13
	s_wait_alu 0xfffd
	v_add_co_ci_u32_e64 v12, null, 0, v10, vcc_lo
	s_delay_alu instid0(VALU_DEP_2) | instskip(SKIP_1) | instid1(VALU_DEP_3)
	v_mul_lo_u32 v13, s31, v11
	v_mad_co_u64_u32 v[9:10], null, s30, v11, 0
	v_mul_lo_u32 v14, s30, v12
	s_delay_alu instid0(VALU_DEP_2) | instskip(NEXT) | instid1(VALU_DEP_2)
	v_sub_co_u32 v9, vcc_lo, v15, v9
	v_add3_u32 v10, v10, v14, v13
	v_add_co_u32 v14, s0, v11, 2
	s_wait_alu 0xf1ff
	v_add_co_ci_u32_e64 v15, null, 0, v12, s0
	s_delay_alu instid0(VALU_DEP_3) | instskip(SKIP_3) | instid1(VALU_DEP_3)
	v_sub_nc_u32_e32 v13, v16, v10
	v_sub_co_u32 v17, s0, v9, s30
	s_wait_alu 0xfffd
	v_sub_co_ci_u32_e64 v10, null, v16, v10, vcc_lo
	v_subrev_co_ci_u32_e64 v13, null, s31, v13, vcc_lo
	s_delay_alu instid0(VALU_DEP_3) | instskip(SKIP_1) | instid1(VALU_DEP_2)
	v_cmp_le_u32_e32 vcc_lo, s30, v17
	s_wait_alu 0xf1ff
	v_subrev_co_ci_u32_e64 v13, null, 0, v13, s0
	s_wait_alu 0xfffd
	v_cndmask_b32_e64 v16, 0, -1, vcc_lo
	s_delay_alu instid0(VALU_DEP_2)
	v_cmp_le_u32_e32 vcc_lo, s31, v13
	s_wait_alu 0xfffd
	v_cndmask_b32_e64 v17, 0, -1, vcc_lo
	v_cmp_le_u32_e32 vcc_lo, s30, v9
	s_wait_alu 0xfffd
	v_cndmask_b32_e64 v9, 0, -1, vcc_lo
	v_cmp_le_u32_e32 vcc_lo, s31, v10
	s_wait_alu 0xfffd
	v_cndmask_b32_e64 v18, 0, -1, vcc_lo
	v_cmp_eq_u32_e32 vcc_lo, s31, v13
	s_wait_alu 0xfffd
	v_cndmask_b32_e32 v13, v17, v16, vcc_lo
	v_add_co_u32 v16, vcc_lo, v11, 1
	s_wait_alu 0xfffd
	v_add_co_ci_u32_e64 v17, null, 0, v12, vcc_lo
	v_cmp_eq_u32_e32 vcc_lo, s31, v10
	s_wait_alu 0xfffd
	v_cndmask_b32_e32 v9, v18, v9, vcc_lo
	v_cmp_ne_u32_e32 vcc_lo, 0, v13
	s_wait_alu 0xfffd
	v_cndmask_b32_e32 v10, v17, v15, vcc_lo
	s_delay_alu instid0(VALU_DEP_3) | instskip(SKIP_2) | instid1(VALU_DEP_2)
	v_cmp_ne_u32_e64 s0, 0, v9
	v_cndmask_b32_e32 v9, v16, v14, vcc_lo
	s_wait_alu 0xf1ff
	v_cndmask_b32_e64 v10, v12, v10, s0
	s_delay_alu instid0(VALU_DEP_2) | instskip(NEXT) | instid1(VALU_DEP_2)
	v_cndmask_b32_e64 v9, v11, v9, s0
	v_xor_b32_e32 v10, v10, v2
	s_delay_alu instid0(VALU_DEP_2) | instskip(NEXT) | instid1(VALU_DEP_1)
	v_xor_b32_e32 v9, v9, v2
	v_sub_co_u32 v9, vcc_lo, v9, v2
	s_wait_alu 0xfffd
	s_delay_alu instid0(VALU_DEP_3)
	v_sub_co_ci_u32_e64 v10, null, v10, v2, vcc_lo
.LBB50_5:                               ;   in Loop: Header=BB50_3 Depth=1
	s_and_not1_saveexec_b32 s0, s33
	s_cbranch_execz .LBB50_2
; %bb.6:                                ;   in Loop: Header=BB50_3 Depth=1
	v_mul_hi_u32 v2, v3, v0
	s_delay_alu instid0(VALU_DEP_1) | instskip(NEXT) | instid1(VALU_DEP_1)
	v_mul_lo_u32 v9, v2, s4
	v_sub_nc_u32_e32 v9, v3, v9
	s_delay_alu instid0(VALU_DEP_1) | instskip(SKIP_2) | instid1(VALU_DEP_2)
	v_subrev_nc_u32_e32 v11, s4, v9
	v_cmp_le_u32_e32 vcc_lo, s4, v9
	s_wait_alu 0xfffd
	v_dual_cndmask_b32 v9, v9, v11 :: v_dual_add_nc_u32 v10, 1, v2
	s_delay_alu instid0(VALU_DEP_1) | instskip(NEXT) | instid1(VALU_DEP_2)
	v_cndmask_b32_e32 v2, v2, v10, vcc_lo
	v_cmp_le_u32_e32 vcc_lo, s4, v9
	s_delay_alu instid0(VALU_DEP_2) | instskip(SKIP_1) | instid1(VALU_DEP_1)
	v_add_nc_u32_e32 v10, 1, v2
	s_wait_alu 0xfffd
	v_dual_cndmask_b32 v9, v2, v10 :: v_dual_mov_b32 v10, v1
	s_branch .LBB50_2
.LBB50_7:
	s_endpgm
	.section	.rodata,"a",@progbits
	.p2align	6, 0x0
	.amdhsa_kernel _ZN2at6native12_GLOBAL__N_16kernel17gru_cell_backwardIddlLi1EEEvNS_4cuda6detail10TensorInfoIT_T1_EES9_S9_S9_S9_S8_S8_
		.amdhsa_group_segment_fixed_size 0
		.amdhsa_private_segment_fixed_size 0
		.amdhsa_kernarg_size 2352
		.amdhsa_user_sgpr_count 2
		.amdhsa_user_sgpr_dispatch_ptr 0
		.amdhsa_user_sgpr_queue_ptr 0
		.amdhsa_user_sgpr_kernarg_segment_ptr 1
		.amdhsa_user_sgpr_dispatch_id 0
		.amdhsa_user_sgpr_private_segment_size 0
		.amdhsa_wavefront_size32 1
		.amdhsa_uses_dynamic_stack 0
		.amdhsa_enable_private_segment 0
		.amdhsa_system_sgpr_workgroup_id_x 1
		.amdhsa_system_sgpr_workgroup_id_y 0
		.amdhsa_system_sgpr_workgroup_id_z 0
		.amdhsa_system_sgpr_workgroup_info 0
		.amdhsa_system_vgpr_workitem_id 0
		.amdhsa_next_free_vgpr 42
		.amdhsa_next_free_sgpr 44
		.amdhsa_reserve_vcc 1
		.amdhsa_float_round_mode_32 0
		.amdhsa_float_round_mode_16_64 0
		.amdhsa_float_denorm_mode_32 3
		.amdhsa_float_denorm_mode_16_64 3
		.amdhsa_fp16_overflow 0
		.amdhsa_workgroup_processor_mode 1
		.amdhsa_memory_ordered 1
		.amdhsa_forward_progress 1
		.amdhsa_inst_pref_size 21
		.amdhsa_round_robin_scheduling 0
		.amdhsa_exception_fp_ieee_invalid_op 0
		.amdhsa_exception_fp_denorm_src 0
		.amdhsa_exception_fp_ieee_div_zero 0
		.amdhsa_exception_fp_ieee_overflow 0
		.amdhsa_exception_fp_ieee_underflow 0
		.amdhsa_exception_fp_ieee_inexact 0
		.amdhsa_exception_int_div_zero 0
	.end_amdhsa_kernel
	.section	.text._ZN2at6native12_GLOBAL__N_16kernel17gru_cell_backwardIddlLi1EEEvNS_4cuda6detail10TensorInfoIT_T1_EES9_S9_S9_S9_S8_S8_,"axG",@progbits,_ZN2at6native12_GLOBAL__N_16kernel17gru_cell_backwardIddlLi1EEEvNS_4cuda6detail10TensorInfoIT_T1_EES9_S9_S9_S9_S8_S8_,comdat
.Lfunc_end50:
	.size	_ZN2at6native12_GLOBAL__N_16kernel17gru_cell_backwardIddlLi1EEEvNS_4cuda6detail10TensorInfoIT_T1_EES9_S9_S9_S9_S8_S8_, .Lfunc_end50-_ZN2at6native12_GLOBAL__N_16kernel17gru_cell_backwardIddlLi1EEEvNS_4cuda6detail10TensorInfoIT_T1_EES9_S9_S9_S9_S8_S8_
                                        ; -- End function
	.set _ZN2at6native12_GLOBAL__N_16kernel17gru_cell_backwardIddlLi1EEEvNS_4cuda6detail10TensorInfoIT_T1_EES9_S9_S9_S9_S8_S8_.num_vgpr, 42
	.set _ZN2at6native12_GLOBAL__N_16kernel17gru_cell_backwardIddlLi1EEEvNS_4cuda6detail10TensorInfoIT_T1_EES9_S9_S9_S9_S8_S8_.num_agpr, 0
	.set _ZN2at6native12_GLOBAL__N_16kernel17gru_cell_backwardIddlLi1EEEvNS_4cuda6detail10TensorInfoIT_T1_EES9_S9_S9_S9_S8_S8_.numbered_sgpr, 44
	.set _ZN2at6native12_GLOBAL__N_16kernel17gru_cell_backwardIddlLi1EEEvNS_4cuda6detail10TensorInfoIT_T1_EES9_S9_S9_S9_S8_S8_.num_named_barrier, 0
	.set _ZN2at6native12_GLOBAL__N_16kernel17gru_cell_backwardIddlLi1EEEvNS_4cuda6detail10TensorInfoIT_T1_EES9_S9_S9_S9_S8_S8_.private_seg_size, 0
	.set _ZN2at6native12_GLOBAL__N_16kernel17gru_cell_backwardIddlLi1EEEvNS_4cuda6detail10TensorInfoIT_T1_EES9_S9_S9_S9_S8_S8_.uses_vcc, 1
	.set _ZN2at6native12_GLOBAL__N_16kernel17gru_cell_backwardIddlLi1EEEvNS_4cuda6detail10TensorInfoIT_T1_EES9_S9_S9_S9_S8_S8_.uses_flat_scratch, 0
	.set _ZN2at6native12_GLOBAL__N_16kernel17gru_cell_backwardIddlLi1EEEvNS_4cuda6detail10TensorInfoIT_T1_EES9_S9_S9_S9_S8_S8_.has_dyn_sized_stack, 0
	.set _ZN2at6native12_GLOBAL__N_16kernel17gru_cell_backwardIddlLi1EEEvNS_4cuda6detail10TensorInfoIT_T1_EES9_S9_S9_S9_S8_S8_.has_recursion, 0
	.set _ZN2at6native12_GLOBAL__N_16kernel17gru_cell_backwardIddlLi1EEEvNS_4cuda6detail10TensorInfoIT_T1_EES9_S9_S9_S9_S8_S8_.has_indirect_call, 0
	.section	.AMDGPU.csdata,"",@progbits
; Kernel info:
; codeLenInByte = 2680
; TotalNumSgprs: 46
; NumVgprs: 42
; ScratchSize: 0
; MemoryBound: 0
; FloatMode: 240
; IeeeMode: 1
; LDSByteSize: 0 bytes/workgroup (compile time only)
; SGPRBlocks: 0
; VGPRBlocks: 5
; NumSGPRsForWavesPerEU: 46
; NumVGPRsForWavesPerEU: 42
; Occupancy: 16
; WaveLimiterHint : 1
; COMPUTE_PGM_RSRC2:SCRATCH_EN: 0
; COMPUTE_PGM_RSRC2:USER_SGPR: 2
; COMPUTE_PGM_RSRC2:TRAP_HANDLER: 0
; COMPUTE_PGM_RSRC2:TGID_X_EN: 1
; COMPUTE_PGM_RSRC2:TGID_Y_EN: 0
; COMPUTE_PGM_RSRC2:TGID_Z_EN: 0
; COMPUTE_PGM_RSRC2:TIDIG_COMP_CNT: 0
	.section	.text._ZN2at6native12_GLOBAL__N_16kernel17gru_cell_backwardIddlLi2EEEvNS_4cuda6detail10TensorInfoIT_T1_EES9_S9_S9_S9_S8_S8_,"axG",@progbits,_ZN2at6native12_GLOBAL__N_16kernel17gru_cell_backwardIddlLi2EEEvNS_4cuda6detail10TensorInfoIT_T1_EES9_S9_S9_S9_S8_S8_,comdat
	.globl	_ZN2at6native12_GLOBAL__N_16kernel17gru_cell_backwardIddlLi2EEEvNS_4cuda6detail10TensorInfoIT_T1_EES9_S9_S9_S9_S8_S8_ ; -- Begin function _ZN2at6native12_GLOBAL__N_16kernel17gru_cell_backwardIddlLi2EEEvNS_4cuda6detail10TensorInfoIT_T1_EES9_S9_S9_S9_S8_S8_
	.p2align	8
	.type	_ZN2at6native12_GLOBAL__N_16kernel17gru_cell_backwardIddlLi2EEEvNS_4cuda6detail10TensorInfoIT_T1_EES9_S9_S9_S9_S8_S8_,@function
_ZN2at6native12_GLOBAL__N_16kernel17gru_cell_backwardIddlLi2EEEvNS_4cuda6detail10TensorInfoIT_T1_EES9_S9_S9_S9_S8_S8_: ; @_ZN2at6native12_GLOBAL__N_16kernel17gru_cell_backwardIddlLi2EEEvNS_4cuda6detail10TensorInfoIT_T1_EES9_S9_S9_S9_S8_S8_
; %bb.0:
	s_clause 0x1
	s_load_b32 s2, s[0:1], 0x83c
	s_load_b128 s[4:7], s[0:1], 0x820
	v_mov_b32_e32 v1, 0
	s_wait_kmcnt 0x0
	s_and_b32 s33, s2, 0xffff
	s_mov_b32 s2, exec_lo
	s_delay_alu instid0(VALU_DEP_1) | instskip(SKIP_1) | instid1(VALU_DEP_1)
	v_mad_co_u64_u32 v[3:4], null, ttmp9, s33, v[0:1]
	v_mov_b32_e32 v4, v1
	v_cmpx_gt_i64_e64 s[6:7], v[3:4]
	s_cbranch_execz .LBB51_59
; %bb.1:
	s_clause 0x1
	s_load_b64 s[2:3], s[0:1], 0x690
	s_load_b64 s[28:29], s[0:1], 0x680
	v_cvt_f32_u32_e32 v0, s4
	s_add_nc_u64 s[12:13], s[0:1], 0x830
	s_clause 0x3
	s_load_b64 s[30:31], s[0:1], 0x0
	s_load_b64 s[34:35], s[0:1], 0x10
	s_load_b128 s[8:11], s[0:1], 0xd0
	s_load_b64 s[36:37], s[0:1], 0x1a0
	s_load_b32 s48, s[12:13], 0x0
	s_clause 0x8
	s_load_b64 s[38:39], s[0:1], 0x1b0
	s_load_b128 s[12:15], s[0:1], 0x270
	s_load_b64 s[40:41], s[0:1], 0x340
	s_load_b64 s[42:43], s[0:1], 0x350
	s_load_b128 s[16:19], s[0:1], 0x410
	s_load_b64 s[44:45], s[0:1], 0x4e0
	s_load_b64 s[46:47], s[0:1], 0x4f0
	s_load_b128 s[20:23], s[0:1], 0x5b0
	s_load_b128 s[24:27], s[0:1], 0x750
	s_mov_b32 s1, 0
	v_rcp_iflag_f32_e32 v0, v0
	s_lshl_b64 s[50:51], s[4:5], 1
	s_ashr_i32 s56, s5, 31
	s_mov_b32 s62, 0
	s_delay_alu instid0(TRANS32_DEP_1)
	v_mul_f32_e32 v0, 0x4f7ffffe, v0
	s_wait_kmcnt 0x0
	s_mul_i32 s33, s48, s33
	s_lshl_b64 s[48:49], s[4:5], 2
	v_cvt_f32_u32_e32 v2, s2
	v_cvt_u32_f32_e32 v0, v0
	s_sub_nc_u64 s[52:53], 0, s[42:43]
	s_sub_nc_u64 s[54:55], 0, s[46:47]
	s_delay_alu instid0(VALU_DEP_2) | instskip(NEXT) | instid1(TRANS32_DEP_1)
	v_rcp_iflag_f32_e32 v2, v2
	v_mul_f32_e32 v2, 0x4f7ffffe, v2
	s_delay_alu instid0(VALU_DEP_1)
	v_cvt_u32_f32_e32 v29, v2
	s_branch .LBB51_3
.LBB51_2:                               ;   in Loop: Header=BB51_3 Depth=1
	s_wait_alu 0xfffe
	s_or_b32 exec_lo, exec_lo, s0
	s_delay_alu instid0(VALU_DEP_1)
	v_mad_co_u64_u32 v[9:10], null, s54, v5, v[3:4]
	v_mul_lo_u32 v2, s54, v6
	v_mul_lo_u32 v13, s55, v5
	v_mul_f64_e32 v[7:8], v[7:8], v[11:12]
	v_mul_lo_u32 v11, v6, s20
	v_mul_lo_u32 v12, v5, s21
	v_mad_co_u64_u32 v[5:6], null, v5, s20, 0
	v_add_co_u32 v3, vcc_lo, v3, s33
	v_add3_u32 v2, v13, v10, v2
	v_mul_lo_u32 v13, v9, s23
	v_mad_co_u64_u32 v[9:10], null, v9, s22, 0
	v_add3_u32 v6, v6, v12, v11
	s_delay_alu instid0(VALU_DEP_4) | instskip(SKIP_2) | instid1(VALU_DEP_3)
	v_mul_lo_u32 v2, v2, s22
	s_wait_alu 0xfffd
	v_add_co_ci_u32_e64 v4, null, 0, v4, vcc_lo
	v_lshlrev_b64_e32 v[5:6], 3, v[5:6]
	s_delay_alu instid0(VALU_DEP_3) | instskip(NEXT) | instid1(VALU_DEP_2)
	v_add3_u32 v10, v10, v13, v2
	v_add_co_u32 v2, vcc_lo, s44, v5
	s_wait_alu 0xfffd
	s_delay_alu instid0(VALU_DEP_3) | instskip(NEXT) | instid1(VALU_DEP_3)
	v_add_co_ci_u32_e64 v6, null, s45, v6, vcc_lo
	v_lshlrev_b64_e32 v[9:10], 3, v[9:10]
	v_cmp_le_i64_e32 vcc_lo, s[6:7], v[3:4]
	s_delay_alu instid0(VALU_DEP_2) | instskip(SKIP_1) | instid1(VALU_DEP_3)
	v_add_co_u32 v5, s0, v2, v9
	s_wait_alu 0xf1ff
	v_add_co_ci_u32_e64 v6, null, v6, v10, s0
	s_or_b32 s62, vcc_lo, s62
	global_store_b64 v[5:6], v[7:8], off
	s_and_not1_b32 exec_lo, exec_lo, s62
	s_cbranch_execz .LBB51_59
.LBB51_3:                               ; =>This Inner Loop Header: Depth=1
	v_or_b32_e32 v2, s5, v4
	v_ashrrev_i32_e32 v30, 31, v4
                                        ; implicit-def: $vgpr9_vgpr10
	s_mov_b32 s0, exec_lo
	s_delay_alu instid0(VALU_DEP_2)
	v_cmpx_ne_u64_e32 0, v[1:2]
	s_wait_alu 0xfffe
	s_xor_b32 s60, exec_lo, s0
	s_cbranch_execz .LBB51_5
; %bb.4:                                ;   in Loop: Header=BB51_3 Depth=1
	s_mov_b32 s57, s56
	v_add_co_u32 v2, vcc_lo, v3, v30
	s_wait_alu 0xfffe
	s_add_nc_u64 s[58:59], s[4:5], s[56:57]
	s_wait_alu 0xfffd
	v_add_co_ci_u32_e64 v5, null, v4, v30, vcc_lo
	s_wait_alu 0xfffe
	s_xor_b64 s[58:59], s[58:59], s[56:57]
	v_xor_b32_e32 v2, v2, v30
	s_wait_alu 0xfffe
	s_cvt_f32_u32 s0, s58
	s_cvt_f32_u32 s57, s59
	s_sub_nc_u64 s[66:67], 0, s[58:59]
	v_xor_b32_e32 v11, v5, v30
	s_wait_alu 0xfffe
	s_fmamk_f32 s0, s57, 0x4f800000, s0
	s_wait_alu 0xfffe
	s_delay_alu instid0(SALU_CYCLE_2) | instskip(NEXT) | instid1(TRANS32_DEP_1)
	v_s_rcp_f32 s0, s0
	s_mul_f32 s0, s0, 0x5f7ffffc
	s_wait_alu 0xfffe
	s_delay_alu instid0(SALU_CYCLE_2) | instskip(SKIP_1) | instid1(SALU_CYCLE_2)
	s_mul_f32 s57, s0, 0x2f800000
	s_wait_alu 0xfffe
	s_trunc_f32 s57, s57
	s_wait_alu 0xfffe
	s_delay_alu instid0(SALU_CYCLE_2) | instskip(SKIP_2) | instid1(SALU_CYCLE_1)
	s_fmamk_f32 s0, s57, 0xcf800000, s0
	s_cvt_u32_f32 s65, s57
	s_wait_alu 0xfffe
	s_cvt_u32_f32 s64, s0
	s_delay_alu instid0(SALU_CYCLE_3) | instskip(NEXT) | instid1(SALU_CYCLE_1)
	s_mul_u64 s[68:69], s[66:67], s[64:65]
	s_mul_hi_u32 s71, s64, s69
	s_mul_i32 s70, s64, s69
	s_mul_hi_u32 s0, s64, s68
	s_mul_i32 s61, s65, s68
	s_wait_alu 0xfffe
	s_add_nc_u64 s[70:71], s[0:1], s[70:71]
	s_mul_hi_u32 s57, s65, s68
	s_mul_hi_u32 s63, s65, s69
	s_add_co_u32 s0, s70, s61
	s_wait_alu 0xfffe
	s_add_co_ci_u32 s0, s71, s57
	s_mul_i32 s68, s65, s69
	s_add_co_ci_u32 s69, s63, 0
	s_wait_alu 0xfffe
	s_add_nc_u64 s[68:69], s[0:1], s[68:69]
	s_delay_alu instid0(SALU_CYCLE_1) | instskip(SKIP_4) | instid1(SALU_CYCLE_1)
	s_add_co_u32 s64, s64, s68
	s_cselect_b32 s0, -1, 0
	s_wait_alu 0xfffe
	s_cmp_lg_u32 s0, 0
	s_add_co_ci_u32 s65, s65, s69
	s_mul_u64 s[66:67], s[66:67], s[64:65]
	s_delay_alu instid0(SALU_CYCLE_1)
	s_mul_hi_u32 s69, s64, s67
	s_mul_i32 s68, s64, s67
	s_mul_hi_u32 s0, s64, s66
	s_mul_i32 s61, s65, s66
	s_wait_alu 0xfffe
	s_add_nc_u64 s[68:69], s[0:1], s[68:69]
	s_mul_hi_u32 s57, s65, s66
	s_mul_hi_u32 s63, s65, s67
	s_add_co_u32 s0, s68, s61
	s_wait_alu 0xfffe
	s_add_co_ci_u32 s0, s69, s57
	s_mul_i32 s66, s65, s67
	s_add_co_ci_u32 s67, s63, 0
	s_wait_alu 0xfffe
	s_add_nc_u64 s[66:67], s[0:1], s[66:67]
	s_delay_alu instid0(SALU_CYCLE_1)
	s_add_co_u32 s0, s64, s66
	s_cselect_b32 s57, -1, 0
	s_wait_alu 0xfffe
	v_mul_hi_u32 v12, v2, s0
	s_cmp_lg_u32 s57, 0
	v_mad_co_u64_u32 v[7:8], null, v11, s0, 0
	s_add_co_ci_u32 s57, s65, s67
	s_wait_alu 0xfffe
	v_mad_co_u64_u32 v[5:6], null, v2, s57, 0
	v_mad_co_u64_u32 v[9:10], null, v11, s57, 0
	s_delay_alu instid0(VALU_DEP_2) | instskip(SKIP_1) | instid1(VALU_DEP_3)
	v_add_co_u32 v5, vcc_lo, v12, v5
	s_wait_alu 0xfffd
	v_add_co_ci_u32_e64 v6, null, 0, v6, vcc_lo
	s_delay_alu instid0(VALU_DEP_2) | instskip(SKIP_1) | instid1(VALU_DEP_2)
	v_add_co_u32 v5, vcc_lo, v5, v7
	s_wait_alu 0xfffd
	v_add_co_ci_u32_e32 v5, vcc_lo, v6, v8, vcc_lo
	s_wait_alu 0xfffd
	v_add_co_ci_u32_e32 v6, vcc_lo, 0, v10, vcc_lo
	s_delay_alu instid0(VALU_DEP_2) | instskip(SKIP_1) | instid1(VALU_DEP_2)
	v_add_co_u32 v7, vcc_lo, v5, v9
	s_wait_alu 0xfffd
	v_add_co_ci_u32_e64 v8, null, 0, v6, vcc_lo
	s_delay_alu instid0(VALU_DEP_2) | instskip(SKIP_1) | instid1(VALU_DEP_3)
	v_mul_lo_u32 v9, s59, v7
	v_mad_co_u64_u32 v[5:6], null, s58, v7, 0
	v_mul_lo_u32 v10, s58, v8
	s_delay_alu instid0(VALU_DEP_2) | instskip(NEXT) | instid1(VALU_DEP_2)
	v_sub_co_u32 v2, vcc_lo, v2, v5
	v_add3_u32 v6, v6, v10, v9
	s_delay_alu instid0(VALU_DEP_1) | instskip(SKIP_2) | instid1(VALU_DEP_2)
	v_sub_nc_u32_e32 v9, v11, v6
	s_wait_alu 0xfffd
	v_sub_co_ci_u32_e64 v6, null, v11, v6, vcc_lo
	v_subrev_co_ci_u32_e64 v5, null, s59, v9, vcc_lo
	v_add_co_u32 v9, s0, v7, 2
	s_wait_alu 0xf1ff
	v_add_co_ci_u32_e64 v10, null, 0, v8, s0
	v_sub_co_u32 v12, s0, v2, s58
	s_wait_alu 0xf1ff
	v_subrev_co_ci_u32_e64 v5, null, 0, v5, s0
	s_delay_alu instid0(VALU_DEP_2) | instskip(SKIP_2) | instid1(VALU_DEP_3)
	v_cmp_le_u32_e32 vcc_lo, s58, v12
	s_wait_alu 0xfffd
	v_cndmask_b32_e64 v11, 0, -1, vcc_lo
	v_cmp_le_u32_e32 vcc_lo, s59, v5
	s_wait_alu 0xfffd
	v_cndmask_b32_e64 v12, 0, -1, vcc_lo
	;; [unrolled: 3-line block ×4, first 2 shown]
	v_cmp_eq_u32_e32 vcc_lo, s59, v5
	s_wait_alu 0xfffd
	v_cndmask_b32_e32 v5, v12, v11, vcc_lo
	v_add_co_u32 v11, vcc_lo, v7, 1
	s_wait_alu 0xfffd
	v_add_co_ci_u32_e64 v12, null, 0, v8, vcc_lo
	v_cmp_eq_u32_e32 vcc_lo, s59, v6
	v_xor_b32_e32 v6, s56, v30
	s_wait_alu 0xfffd
	v_cndmask_b32_e32 v2, v13, v2, vcc_lo
	v_cmp_ne_u32_e32 vcc_lo, 0, v5
	s_delay_alu instid0(VALU_DEP_2) | instskip(SKIP_3) | instid1(VALU_DEP_1)
	v_cmp_ne_u32_e64 s0, 0, v2
	s_wait_alu 0xfffd
	v_dual_cndmask_b32 v5, v12, v10 :: v_dual_cndmask_b32 v2, v11, v9
	s_wait_alu 0xf1ff
	v_cndmask_b32_e64 v5, v8, v5, s0
	s_delay_alu instid0(VALU_DEP_2) | instskip(NEXT) | instid1(VALU_DEP_2)
	v_cndmask_b32_e64 v2, v7, v2, s0
	v_xor_b32_e32 v5, v5, v6
	s_delay_alu instid0(VALU_DEP_2) | instskip(NEXT) | instid1(VALU_DEP_1)
	v_xor_b32_e32 v2, v2, v6
	v_sub_co_u32 v9, vcc_lo, v2, v6
	s_wait_alu 0xfffd
	s_delay_alu instid0(VALU_DEP_3)
	v_sub_co_ci_u32_e64 v10, null, v5, v6, vcc_lo
.LBB51_5:                               ;   in Loop: Header=BB51_3 Depth=1
	s_wait_alu 0xfffe
	s_and_not1_saveexec_b32 s0, s60
	s_cbranch_execz .LBB51_7
; %bb.6:                                ;   in Loop: Header=BB51_3 Depth=1
	s_sub_co_i32 s57, 0, s4
	v_mov_b32_e32 v10, v1
	s_wait_alu 0xfffe
	v_mul_lo_u32 v2, s57, v0
	s_delay_alu instid0(VALU_DEP_1) | instskip(NEXT) | instid1(VALU_DEP_1)
	v_mul_hi_u32 v2, v0, v2
	v_add_nc_u32_e32 v2, v0, v2
	s_delay_alu instid0(VALU_DEP_1) | instskip(NEXT) | instid1(VALU_DEP_1)
	v_mul_hi_u32 v2, v3, v2
	v_mul_lo_u32 v5, v2, s4
	v_add_nc_u32_e32 v6, 1, v2
	s_delay_alu instid0(VALU_DEP_2) | instskip(NEXT) | instid1(VALU_DEP_1)
	v_sub_nc_u32_e32 v5, v3, v5
	v_subrev_nc_u32_e32 v7, s4, v5
	v_cmp_le_u32_e32 vcc_lo, s4, v5
	s_wait_alu 0xfffd
	s_delay_alu instid0(VALU_DEP_2) | instskip(NEXT) | instid1(VALU_DEP_1)
	v_dual_cndmask_b32 v5, v5, v7 :: v_dual_cndmask_b32 v2, v2, v6
	v_cmp_le_u32_e32 vcc_lo, s4, v5
	s_delay_alu instid0(VALU_DEP_2) | instskip(SKIP_1) | instid1(VALU_DEP_1)
	v_add_nc_u32_e32 v6, 1, v2
	s_wait_alu 0xfffd
	v_cndmask_b32_e32 v9, v2, v6, vcc_lo
.LBB51_7:                               ;   in Loop: Header=BB51_3 Depth=1
	s_wait_alu 0xfffe
	s_or_b32 exec_lo, exec_lo, s0
	s_delay_alu instid0(VALU_DEP_1)
	v_mul_lo_u32 v2, s49, v9
	v_mul_lo_u32 v7, s48, v10
	v_mad_co_u64_u32 v[5:6], null, s48, v9, 0
	s_mov_b32 s0, exec_lo
	v_add3_u32 v6, v6, v7, v2
	v_add_co_u32 v11, vcc_lo, v3, v5
                                        ; implicit-def: $vgpr7_vgpr8
	s_wait_alu 0xfffd
	s_delay_alu instid0(VALU_DEP_2) | instskip(NEXT) | instid1(VALU_DEP_1)
	v_add_co_ci_u32_e64 v12, null, v4, v6, vcc_lo
	v_or_b32_e32 v2, s3, v12
	s_delay_alu instid0(VALU_DEP_1)
	v_cmpx_ne_u64_e32 0, v[1:2]
	s_wait_alu 0xfffe
	s_xor_b32 s57, exec_lo, s0
	s_cbranch_execz .LBB51_9
; %bb.8:                                ;   in Loop: Header=BB51_3 Depth=1
	s_ashr_i32 s58, s3, 31
	v_ashrrev_i32_e32 v2, 31, v12
	s_wait_alu 0xfffe
	s_mov_b32 s59, s58
	s_wait_alu 0xfffe
	s_add_nc_u64 s[60:61], s[2:3], s[58:59]
	v_add_co_u32 v7, vcc_lo, v11, v2
	s_wait_alu 0xfffe
	s_xor_b64 s[60:61], s[60:61], s[58:59]
	s_wait_alu 0xfffd
	v_add_co_ci_u32_e64 v8, null, v12, v2, vcc_lo
	s_wait_alu 0xfffe
	s_cvt_f32_u32 s0, s60
	s_cvt_f32_u32 s59, s61
	s_sub_nc_u64 s[66:67], 0, s[60:61]
	v_xor_b32_e32 v15, v7, v2
	v_xor_b32_e32 v16, v8, v2
	s_wait_alu 0xfffe
	s_fmamk_f32 s0, s59, 0x4f800000, s0
	v_xor_b32_e32 v2, s58, v2
	s_wait_alu 0xfffe
	s_delay_alu instid0(SALU_CYCLE_1) | instskip(NEXT) | instid1(TRANS32_DEP_1)
	v_s_rcp_f32 s0, s0
	s_mul_f32 s0, s0, 0x5f7ffffc
	s_wait_alu 0xfffe
	s_delay_alu instid0(SALU_CYCLE_2) | instskip(SKIP_1) | instid1(SALU_CYCLE_2)
	s_mul_f32 s59, s0, 0x2f800000
	s_wait_alu 0xfffe
	s_trunc_f32 s59, s59
	s_wait_alu 0xfffe
	s_delay_alu instid0(SALU_CYCLE_2) | instskip(SKIP_2) | instid1(SALU_CYCLE_1)
	s_fmamk_f32 s0, s59, 0xcf800000, s0
	s_cvt_u32_f32 s65, s59
	s_wait_alu 0xfffe
	s_cvt_u32_f32 s64, s0
	s_delay_alu instid0(SALU_CYCLE_3) | instskip(NEXT) | instid1(SALU_CYCLE_1)
	s_mul_u64 s[68:69], s[66:67], s[64:65]
	s_mul_hi_u32 s71, s64, s69
	s_mul_i32 s70, s64, s69
	s_mul_hi_u32 s0, s64, s68
	s_mul_i32 s63, s65, s68
	s_wait_alu 0xfffe
	s_add_nc_u64 s[70:71], s[0:1], s[70:71]
	s_mul_hi_u32 s59, s65, s68
	s_mul_hi_u32 s72, s65, s69
	s_add_co_u32 s0, s70, s63
	s_wait_alu 0xfffe
	s_add_co_ci_u32 s0, s71, s59
	s_mul_i32 s68, s65, s69
	s_add_co_ci_u32 s69, s72, 0
	s_wait_alu 0xfffe
	s_add_nc_u64 s[68:69], s[0:1], s[68:69]
	s_delay_alu instid0(SALU_CYCLE_1) | instskip(SKIP_4) | instid1(SALU_CYCLE_1)
	s_add_co_u32 s64, s64, s68
	s_cselect_b32 s0, -1, 0
	s_wait_alu 0xfffe
	s_cmp_lg_u32 s0, 0
	s_add_co_ci_u32 s65, s65, s69
	s_mul_u64 s[66:67], s[66:67], s[64:65]
	s_delay_alu instid0(SALU_CYCLE_1)
	s_mul_hi_u32 s69, s64, s67
	s_mul_i32 s68, s64, s67
	s_mul_hi_u32 s0, s64, s66
	s_mul_i32 s63, s65, s66
	s_wait_alu 0xfffe
	s_add_nc_u64 s[68:69], s[0:1], s[68:69]
	s_mul_hi_u32 s59, s65, s66
	s_mul_hi_u32 s70, s65, s67
	s_add_co_u32 s0, s68, s63
	s_wait_alu 0xfffe
	s_add_co_ci_u32 s0, s69, s59
	s_mul_i32 s66, s65, s67
	s_add_co_ci_u32 s67, s70, 0
	s_wait_alu 0xfffe
	s_add_nc_u64 s[66:67], s[0:1], s[66:67]
	s_delay_alu instid0(SALU_CYCLE_1)
	s_add_co_u32 s0, s64, s66
	s_cselect_b32 s59, -1, 0
	s_wait_alu 0xfffe
	v_mul_hi_u32 v17, v15, s0
	s_cmp_lg_u32 s59, 0
	v_mad_co_u64_u32 v[11:12], null, v16, s0, 0
	s_add_co_ci_u32 s59, s65, s67
	s_wait_alu 0xfffe
	v_mad_co_u64_u32 v[7:8], null, v15, s59, 0
	v_mad_co_u64_u32 v[13:14], null, v16, s59, 0
	s_delay_alu instid0(VALU_DEP_2) | instskip(SKIP_1) | instid1(VALU_DEP_3)
	v_add_co_u32 v7, vcc_lo, v17, v7
	s_wait_alu 0xfffd
	v_add_co_ci_u32_e64 v8, null, 0, v8, vcc_lo
	s_delay_alu instid0(VALU_DEP_2) | instskip(SKIP_1) | instid1(VALU_DEP_2)
	v_add_co_u32 v7, vcc_lo, v7, v11
	s_wait_alu 0xfffd
	v_add_co_ci_u32_e32 v7, vcc_lo, v8, v12, vcc_lo
	s_wait_alu 0xfffd
	v_add_co_ci_u32_e32 v8, vcc_lo, 0, v14, vcc_lo
	s_delay_alu instid0(VALU_DEP_2) | instskip(SKIP_1) | instid1(VALU_DEP_2)
	v_add_co_u32 v11, vcc_lo, v7, v13
	s_wait_alu 0xfffd
	v_add_co_ci_u32_e64 v12, null, 0, v8, vcc_lo
	s_delay_alu instid0(VALU_DEP_2) | instskip(SKIP_1) | instid1(VALU_DEP_3)
	v_mul_lo_u32 v13, s61, v11
	v_mad_co_u64_u32 v[7:8], null, s60, v11, 0
	v_mul_lo_u32 v14, s60, v12
	s_delay_alu instid0(VALU_DEP_2) | instskip(NEXT) | instid1(VALU_DEP_2)
	v_sub_co_u32 v7, vcc_lo, v15, v7
	v_add3_u32 v8, v8, v14, v13
	v_add_co_u32 v14, s0, v11, 2
	s_wait_alu 0xf1ff
	v_add_co_ci_u32_e64 v15, null, 0, v12, s0
	s_delay_alu instid0(VALU_DEP_3) | instskip(SKIP_3) | instid1(VALU_DEP_3)
	v_sub_nc_u32_e32 v13, v16, v8
	v_sub_co_u32 v17, s0, v7, s60
	s_wait_alu 0xfffd
	v_sub_co_ci_u32_e64 v8, null, v16, v8, vcc_lo
	v_subrev_co_ci_u32_e64 v13, null, s61, v13, vcc_lo
	s_delay_alu instid0(VALU_DEP_3) | instskip(SKIP_1) | instid1(VALU_DEP_2)
	v_cmp_le_u32_e32 vcc_lo, s60, v17
	s_wait_alu 0xf1ff
	v_subrev_co_ci_u32_e64 v13, null, 0, v13, s0
	s_wait_alu 0xfffd
	v_cndmask_b32_e64 v16, 0, -1, vcc_lo
	s_delay_alu instid0(VALU_DEP_2)
	v_cmp_le_u32_e32 vcc_lo, s61, v13
	s_wait_alu 0xfffd
	v_cndmask_b32_e64 v17, 0, -1, vcc_lo
	v_cmp_le_u32_e32 vcc_lo, s60, v7
	s_wait_alu 0xfffd
	v_cndmask_b32_e64 v7, 0, -1, vcc_lo
	;; [unrolled: 3-line block ×3, first 2 shown]
	v_cmp_eq_u32_e32 vcc_lo, s61, v13
	s_wait_alu 0xfffd
	v_cndmask_b32_e32 v13, v17, v16, vcc_lo
	v_add_co_u32 v16, vcc_lo, v11, 1
	s_wait_alu 0xfffd
	v_add_co_ci_u32_e64 v17, null, 0, v12, vcc_lo
	v_cmp_eq_u32_e32 vcc_lo, s61, v8
	s_wait_alu 0xfffd
	v_cndmask_b32_e32 v7, v18, v7, vcc_lo
	v_cmp_ne_u32_e32 vcc_lo, 0, v13
	s_delay_alu instid0(VALU_DEP_2) | instskip(SKIP_3) | instid1(VALU_DEP_1)
	v_cmp_ne_u32_e64 s0, 0, v7
	s_wait_alu 0xfffd
	v_dual_cndmask_b32 v8, v17, v15 :: v_dual_cndmask_b32 v7, v16, v14
	s_wait_alu 0xf1ff
	v_cndmask_b32_e64 v8, v12, v8, s0
	s_delay_alu instid0(VALU_DEP_2) | instskip(NEXT) | instid1(VALU_DEP_2)
	v_cndmask_b32_e64 v7, v11, v7, s0
                                        ; implicit-def: $vgpr11
	v_xor_b32_e32 v8, v8, v2
	s_delay_alu instid0(VALU_DEP_2) | instskip(NEXT) | instid1(VALU_DEP_1)
	v_xor_b32_e32 v7, v7, v2
	v_sub_co_u32 v7, vcc_lo, v7, v2
	s_wait_alu 0xfffd
	s_delay_alu instid0(VALU_DEP_3)
	v_sub_co_ci_u32_e64 v8, null, v8, v2, vcc_lo
.LBB51_9:                               ;   in Loop: Header=BB51_3 Depth=1
	s_wait_alu 0xfffe
	s_and_not1_saveexec_b32 s0, s57
	s_cbranch_execz .LBB51_11
; %bb.10:                               ;   in Loop: Header=BB51_3 Depth=1
	s_sub_co_i32 s57, 0, s2
	s_wait_alu 0xfffe
	v_mul_lo_u32 v2, s57, v29
	s_delay_alu instid0(VALU_DEP_1) | instskip(NEXT) | instid1(VALU_DEP_1)
	v_mul_hi_u32 v2, v29, v2
	v_add_nc_u32_e32 v2, v29, v2
	s_delay_alu instid0(VALU_DEP_1) | instskip(NEXT) | instid1(VALU_DEP_1)
	v_mul_hi_u32 v2, v11, v2
	v_mul_lo_u32 v7, v2, s2
	v_add_nc_u32_e32 v8, 1, v2
	s_delay_alu instid0(VALU_DEP_2) | instskip(NEXT) | instid1(VALU_DEP_1)
	v_sub_nc_u32_e32 v7, v11, v7
	v_subrev_nc_u32_e32 v11, s2, v7
	v_cmp_le_u32_e32 vcc_lo, s2, v7
	s_wait_alu 0xfffd
	s_delay_alu instid0(VALU_DEP_2) | instskip(NEXT) | instid1(VALU_DEP_1)
	v_dual_cndmask_b32 v7, v7, v11 :: v_dual_cndmask_b32 v2, v2, v8
	v_cmp_le_u32_e32 vcc_lo, s2, v7
	s_delay_alu instid0(VALU_DEP_2) | instskip(SKIP_1) | instid1(VALU_DEP_1)
	v_add_nc_u32_e32 v8, 1, v2
	s_wait_alu 0xfffd
	v_dual_cndmask_b32 v7, v2, v8 :: v_dual_mov_b32 v8, v1
.LBB51_11:                              ;   in Loop: Header=BB51_3 Depth=1
	s_wait_alu 0xfffe
	s_or_b32 exec_lo, exec_lo, s0
	s_delay_alu instid0(VALU_DEP_1) | instskip(NEXT) | instid1(VALU_DEP_2)
	v_mul_lo_u32 v2, v8, s2
	v_mul_lo_u32 v13, v7, s3
	v_mad_co_u64_u32 v[11:12], null, v7, s2, 0
	s_mov_b32 s0, exec_lo
	v_add3_u32 v2, v12, v13, v2
	v_sub_co_u32 v5, vcc_lo, v5, v11
	v_mul_lo_u32 v12, v8, s24
	v_mul_lo_u32 v11, v7, s25
	s_wait_alu 0xfffd
	v_sub_co_ci_u32_e64 v2, null, v6, v2, vcc_lo
	v_add_co_u32 v8, vcc_lo, v3, v5
	v_mad_co_u64_u32 v[5:6], null, v7, s24, 0
	s_wait_alu 0xfffd
	s_delay_alu instid0(VALU_DEP_3) | instskip(NEXT) | instid1(VALU_DEP_3)
	v_add_co_ci_u32_e64 v2, null, v4, v2, vcc_lo
	v_mul_lo_u32 v13, v8, s27
	v_mad_co_u64_u32 v[7:8], null, v8, s26, 0
	s_delay_alu instid0(VALU_DEP_3) | instskip(SKIP_2) | instid1(VALU_DEP_2)
	v_mul_lo_u32 v2, v2, s26
	v_add3_u32 v6, v6, v11, v12
	v_lshlrev_b64_e32 v[11:12], 2, v[9:10]
	v_lshlrev_b64_e32 v[5:6], 3, v[5:6]
	s_delay_alu instid0(VALU_DEP_4) | instskip(NEXT) | instid1(VALU_DEP_3)
	v_add3_u32 v8, v8, v13, v2
	v_mul_lo_u32 v13, s5, v11
	s_delay_alu instid0(VALU_DEP_3) | instskip(NEXT) | instid1(VALU_DEP_3)
	v_add_co_u32 v2, vcc_lo, s28, v5
	v_lshlrev_b64_e32 v[7:8], 3, v[7:8]
	s_wait_alu 0xfffd
	v_add_co_ci_u32_e64 v6, null, s29, v6, vcc_lo
	s_delay_alu instid0(VALU_DEP_2) | instskip(SKIP_1) | instid1(VALU_DEP_2)
	v_add_co_u32 v5, vcc_lo, v2, v7
	s_wait_alu 0xfffd
	v_add_co_ci_u32_e64 v6, null, v6, v8, vcc_lo
	v_alignbit_b32 v2, v10, v9, 30
	v_mad_co_u64_u32 v[7:8], null, s4, v11, s[4:5]
	global_load_b64 v[5:6], v[5:6], off
	v_mul_lo_u32 v2, s4, v2
	v_add_co_u32 v15, vcc_lo, v3, v7
	s_delay_alu instid0(VALU_DEP_2) | instskip(SKIP_1) | instid1(VALU_DEP_1)
	v_add3_u32 v8, v13, v8, v2
                                        ; implicit-def: $vgpr13_vgpr14
	s_wait_alu 0xfffd
	v_add_co_ci_u32_e64 v16, null, v4, v8, vcc_lo
	s_delay_alu instid0(VALU_DEP_1) | instskip(NEXT) | instid1(VALU_DEP_1)
	v_or_b32_e32 v2, s3, v16
	v_cmpx_ne_u64_e32 0, v[1:2]
	s_wait_alu 0xfffe
	s_xor_b32 s57, exec_lo, s0
	s_cbranch_execz .LBB51_13
; %bb.12:                               ;   in Loop: Header=BB51_3 Depth=1
	s_ashr_i32 s58, s3, 31
	v_ashrrev_i32_e32 v2, 31, v16
	s_wait_alu 0xfffe
	s_mov_b32 s59, s58
	s_wait_alu 0xfffe
	s_add_nc_u64 s[60:61], s[2:3], s[58:59]
	v_add_co_u32 v13, vcc_lo, v15, v2
	s_wait_alu 0xfffe
	s_xor_b64 s[60:61], s[60:61], s[58:59]
	s_wait_alu 0xfffd
	v_add_co_ci_u32_e64 v14, null, v16, v2, vcc_lo
	s_wait_alu 0xfffe
	s_cvt_f32_u32 s0, s60
	s_cvt_f32_u32 s59, s61
	s_sub_nc_u64 s[66:67], 0, s[60:61]
	v_xor_b32_e32 v19, v13, v2
	v_xor_b32_e32 v20, v14, v2
	s_wait_alu 0xfffe
	s_fmamk_f32 s0, s59, 0x4f800000, s0
	v_xor_b32_e32 v2, s58, v2
	s_wait_alu 0xfffe
	s_delay_alu instid0(SALU_CYCLE_1) | instskip(NEXT) | instid1(TRANS32_DEP_1)
	v_s_rcp_f32 s0, s0
	s_mul_f32 s0, s0, 0x5f7ffffc
	s_wait_alu 0xfffe
	s_delay_alu instid0(SALU_CYCLE_2) | instskip(SKIP_1) | instid1(SALU_CYCLE_2)
	s_mul_f32 s59, s0, 0x2f800000
	s_wait_alu 0xfffe
	s_trunc_f32 s59, s59
	s_wait_alu 0xfffe
	s_delay_alu instid0(SALU_CYCLE_2) | instskip(SKIP_2) | instid1(SALU_CYCLE_1)
	s_fmamk_f32 s0, s59, 0xcf800000, s0
	s_cvt_u32_f32 s65, s59
	s_wait_alu 0xfffe
	s_cvt_u32_f32 s64, s0
	s_delay_alu instid0(SALU_CYCLE_3) | instskip(NEXT) | instid1(SALU_CYCLE_1)
	s_mul_u64 s[68:69], s[66:67], s[64:65]
	s_mul_hi_u32 s71, s64, s69
	s_mul_i32 s70, s64, s69
	s_mul_hi_u32 s0, s64, s68
	s_mul_i32 s63, s65, s68
	s_wait_alu 0xfffe
	s_add_nc_u64 s[70:71], s[0:1], s[70:71]
	s_mul_hi_u32 s59, s65, s68
	s_mul_hi_u32 s72, s65, s69
	s_add_co_u32 s0, s70, s63
	s_wait_alu 0xfffe
	s_add_co_ci_u32 s0, s71, s59
	s_mul_i32 s68, s65, s69
	s_add_co_ci_u32 s69, s72, 0
	s_wait_alu 0xfffe
	s_add_nc_u64 s[68:69], s[0:1], s[68:69]
	s_delay_alu instid0(SALU_CYCLE_1) | instskip(SKIP_4) | instid1(SALU_CYCLE_1)
	s_add_co_u32 s64, s64, s68
	s_cselect_b32 s0, -1, 0
	s_wait_alu 0xfffe
	s_cmp_lg_u32 s0, 0
	s_add_co_ci_u32 s65, s65, s69
	s_mul_u64 s[66:67], s[66:67], s[64:65]
	s_delay_alu instid0(SALU_CYCLE_1)
	s_mul_hi_u32 s69, s64, s67
	s_mul_i32 s68, s64, s67
	s_mul_hi_u32 s0, s64, s66
	s_mul_i32 s63, s65, s66
	s_wait_alu 0xfffe
	s_add_nc_u64 s[68:69], s[0:1], s[68:69]
	s_mul_hi_u32 s59, s65, s66
	s_mul_hi_u32 s70, s65, s67
	s_add_co_u32 s0, s68, s63
	s_wait_alu 0xfffe
	s_add_co_ci_u32 s0, s69, s59
	s_mul_i32 s66, s65, s67
	s_add_co_ci_u32 s67, s70, 0
	s_wait_alu 0xfffe
	s_add_nc_u64 s[66:67], s[0:1], s[66:67]
	s_delay_alu instid0(SALU_CYCLE_1)
	s_add_co_u32 s0, s64, s66
	s_cselect_b32 s59, -1, 0
	s_wait_alu 0xfffe
	v_mul_hi_u32 v21, v19, s0
	s_cmp_lg_u32 s59, 0
	v_mad_co_u64_u32 v[15:16], null, v20, s0, 0
	s_add_co_ci_u32 s59, s65, s67
	s_wait_alu 0xfffe
	v_mad_co_u64_u32 v[13:14], null, v19, s59, 0
	v_mad_co_u64_u32 v[17:18], null, v20, s59, 0
	s_delay_alu instid0(VALU_DEP_2) | instskip(SKIP_1) | instid1(VALU_DEP_3)
	v_add_co_u32 v13, vcc_lo, v21, v13
	s_wait_alu 0xfffd
	v_add_co_ci_u32_e64 v14, null, 0, v14, vcc_lo
	s_delay_alu instid0(VALU_DEP_2) | instskip(SKIP_1) | instid1(VALU_DEP_2)
	v_add_co_u32 v13, vcc_lo, v13, v15
	s_wait_alu 0xfffd
	v_add_co_ci_u32_e32 v13, vcc_lo, v14, v16, vcc_lo
	s_wait_alu 0xfffd
	v_add_co_ci_u32_e32 v14, vcc_lo, 0, v18, vcc_lo
	s_delay_alu instid0(VALU_DEP_2) | instskip(SKIP_1) | instid1(VALU_DEP_2)
	v_add_co_u32 v15, vcc_lo, v13, v17
	s_wait_alu 0xfffd
	v_add_co_ci_u32_e64 v16, null, 0, v14, vcc_lo
	s_delay_alu instid0(VALU_DEP_2) | instskip(SKIP_1) | instid1(VALU_DEP_3)
	v_mul_lo_u32 v17, s61, v15
	v_mad_co_u64_u32 v[13:14], null, s60, v15, 0
	v_mul_lo_u32 v18, s60, v16
	s_delay_alu instid0(VALU_DEP_2) | instskip(NEXT) | instid1(VALU_DEP_2)
	v_sub_co_u32 v13, vcc_lo, v19, v13
	v_add3_u32 v14, v14, v18, v17
	v_add_co_u32 v18, s0, v15, 2
	s_wait_alu 0xf1ff
	v_add_co_ci_u32_e64 v19, null, 0, v16, s0
	s_delay_alu instid0(VALU_DEP_3) | instskip(SKIP_3) | instid1(VALU_DEP_3)
	v_sub_nc_u32_e32 v17, v20, v14
	v_sub_co_u32 v21, s0, v13, s60
	s_wait_alu 0xfffd
	v_sub_co_ci_u32_e64 v14, null, v20, v14, vcc_lo
	v_subrev_co_ci_u32_e64 v17, null, s61, v17, vcc_lo
	s_delay_alu instid0(VALU_DEP_3) | instskip(SKIP_1) | instid1(VALU_DEP_2)
	v_cmp_le_u32_e32 vcc_lo, s60, v21
	s_wait_alu 0xf1ff
	v_subrev_co_ci_u32_e64 v17, null, 0, v17, s0
	s_wait_alu 0xfffd
	v_cndmask_b32_e64 v20, 0, -1, vcc_lo
	s_delay_alu instid0(VALU_DEP_2)
	v_cmp_le_u32_e32 vcc_lo, s61, v17
	s_wait_alu 0xfffd
	v_cndmask_b32_e64 v21, 0, -1, vcc_lo
	v_cmp_le_u32_e32 vcc_lo, s60, v13
	s_wait_alu 0xfffd
	v_cndmask_b32_e64 v13, 0, -1, vcc_lo
	;; [unrolled: 3-line block ×3, first 2 shown]
	v_cmp_eq_u32_e32 vcc_lo, s61, v17
	s_wait_alu 0xfffd
	v_cndmask_b32_e32 v17, v21, v20, vcc_lo
	v_add_co_u32 v20, vcc_lo, v15, 1
	s_wait_alu 0xfffd
	v_add_co_ci_u32_e64 v21, null, 0, v16, vcc_lo
	v_cmp_eq_u32_e32 vcc_lo, s61, v14
	s_wait_alu 0xfffd
	v_cndmask_b32_e32 v13, v22, v13, vcc_lo
	v_cmp_ne_u32_e32 vcc_lo, 0, v17
	s_wait_alu 0xfffd
	v_cndmask_b32_e32 v14, v21, v19, vcc_lo
	s_delay_alu instid0(VALU_DEP_3) | instskip(SKIP_2) | instid1(VALU_DEP_2)
	v_cmp_ne_u32_e64 s0, 0, v13
	v_cndmask_b32_e32 v13, v20, v18, vcc_lo
	s_wait_alu 0xf1ff
	v_cndmask_b32_e64 v14, v16, v14, s0
	s_delay_alu instid0(VALU_DEP_2) | instskip(NEXT) | instid1(VALU_DEP_2)
	v_cndmask_b32_e64 v13, v15, v13, s0
                                        ; implicit-def: $vgpr15
	v_xor_b32_e32 v14, v14, v2
	s_delay_alu instid0(VALU_DEP_2) | instskip(NEXT) | instid1(VALU_DEP_1)
	v_xor_b32_e32 v13, v13, v2
	v_sub_co_u32 v13, vcc_lo, v13, v2
	s_wait_alu 0xfffd
	s_delay_alu instid0(VALU_DEP_3)
	v_sub_co_ci_u32_e64 v14, null, v14, v2, vcc_lo
.LBB51_13:                              ;   in Loop: Header=BB51_3 Depth=1
	s_wait_alu 0xfffe
	s_and_not1_saveexec_b32 s0, s57
	s_cbranch_execz .LBB51_15
; %bb.14:                               ;   in Loop: Header=BB51_3 Depth=1
	s_sub_co_i32 s57, 0, s2
	s_wait_alu 0xfffe
	v_mul_lo_u32 v2, s57, v29
	s_delay_alu instid0(VALU_DEP_1) | instskip(NEXT) | instid1(VALU_DEP_1)
	v_mul_hi_u32 v2, v29, v2
	v_add_nc_u32_e32 v2, v29, v2
	s_delay_alu instid0(VALU_DEP_1) | instskip(NEXT) | instid1(VALU_DEP_1)
	v_mul_hi_u32 v2, v15, v2
	v_mul_lo_u32 v13, v2, s2
	s_delay_alu instid0(VALU_DEP_1) | instskip(NEXT) | instid1(VALU_DEP_1)
	v_sub_nc_u32_e32 v13, v15, v13
	v_subrev_nc_u32_e32 v15, s2, v13
	v_cmp_le_u32_e32 vcc_lo, s2, v13
	s_wait_alu 0xfffd
	s_delay_alu instid0(VALU_DEP_2) | instskip(NEXT) | instid1(VALU_DEP_1)
	v_dual_cndmask_b32 v13, v13, v15 :: v_dual_add_nc_u32 v14, 1, v2
	v_cndmask_b32_e32 v2, v2, v14, vcc_lo
	s_delay_alu instid0(VALU_DEP_2) | instskip(NEXT) | instid1(VALU_DEP_2)
	v_cmp_le_u32_e32 vcc_lo, s2, v13
	v_add_nc_u32_e32 v14, 1, v2
	s_wait_alu 0xfffd
	s_delay_alu instid0(VALU_DEP_1)
	v_dual_cndmask_b32 v13, v2, v14 :: v_dual_mov_b32 v14, v1
.LBB51_15:                              ;   in Loop: Header=BB51_3 Depth=1
	s_wait_alu 0xfffe
	s_or_b32 exec_lo, exec_lo, s0
	s_delay_alu instid0(VALU_DEP_1) | instskip(NEXT) | instid1(VALU_DEP_2)
	v_mul_lo_u32 v2, v14, s2
	v_mul_lo_u32 v17, v13, s3
	v_mad_co_u64_u32 v[15:16], null, v13, s2, 0
	s_mov_b32 s0, exec_lo
	v_add3_u32 v2, v16, v17, v2
	v_sub_co_u32 v7, vcc_lo, v7, v15
	v_mul_lo_u32 v16, v14, s24
	v_mul_lo_u32 v15, v13, s25
	s_wait_alu 0xfffd
	v_sub_co_ci_u32_e64 v2, null, v8, v2, vcc_lo
	v_add_co_u32 v14, vcc_lo, v3, v7
	v_mad_co_u64_u32 v[7:8], null, v13, s24, 0
	s_wait_alu 0xfffd
	s_delay_alu instid0(VALU_DEP_3) | instskip(NEXT) | instid1(VALU_DEP_3)
	v_add_co_ci_u32_e64 v2, null, v4, v2, vcc_lo
	v_mul_lo_u32 v17, v14, s27
	v_mad_co_u64_u32 v[13:14], null, v14, s26, 0
	s_delay_alu instid0(VALU_DEP_3) | instskip(SKIP_1) | instid1(VALU_DEP_1)
	v_mul_lo_u32 v2, v2, s26
	v_add3_u32 v8, v8, v15, v16
	v_lshlrev_b64_e32 v[7:8], 3, v[7:8]
	s_delay_alu instid0(VALU_DEP_3) | instskip(NEXT) | instid1(VALU_DEP_2)
	v_add3_u32 v14, v14, v17, v2
	v_add_co_u32 v2, vcc_lo, s28, v7
	s_delay_alu instid0(VALU_DEP_2) | instskip(SKIP_1) | instid1(VALU_DEP_4)
	v_lshlrev_b64_e32 v[13:14], 3, v[13:14]
	s_wait_alu 0xfffd
	v_add_co_ci_u32_e64 v8, null, s29, v8, vcc_lo
	s_delay_alu instid0(VALU_DEP_2) | instskip(SKIP_1) | instid1(VALU_DEP_2)
	v_add_co_u32 v7, vcc_lo, v2, v13
	s_wait_alu 0xfffd
	v_add_co_ci_u32_e64 v8, null, v8, v14, vcc_lo
	v_add_co_u32 v2, vcc_lo, v11, 2
	s_wait_alu 0xfffd
	v_add_co_ci_u32_e64 v13, null, 0, v12, vcc_lo
	global_load_b64 v[7:8], v[7:8], off
	v_mul_lo_u32 v15, s5, v2
	v_mul_lo_u32 v16, s4, v13
	v_mad_co_u64_u32 v[13:14], null, s4, v2, 0
	s_delay_alu instid0(VALU_DEP_1) | instskip(NEXT) | instid1(VALU_DEP_2)
	v_add3_u32 v14, v14, v16, v15
	v_add_co_u32 v17, vcc_lo, v3, v13
                                        ; implicit-def: $vgpr15_vgpr16
	s_wait_alu 0xfffd
	s_delay_alu instid0(VALU_DEP_2) | instskip(NEXT) | instid1(VALU_DEP_1)
	v_add_co_ci_u32_e64 v18, null, v4, v14, vcc_lo
	v_or_b32_e32 v2, s3, v18
	s_delay_alu instid0(VALU_DEP_1)
	v_cmpx_ne_u64_e32 0, v[1:2]
	s_wait_alu 0xfffe
	s_xor_b32 s57, exec_lo, s0
	s_cbranch_execz .LBB51_17
; %bb.16:                               ;   in Loop: Header=BB51_3 Depth=1
	s_ashr_i32 s58, s3, 31
	v_ashrrev_i32_e32 v2, 31, v18
	s_wait_alu 0xfffe
	s_mov_b32 s59, s58
	s_wait_alu 0xfffe
	s_add_nc_u64 s[60:61], s[2:3], s[58:59]
	v_add_co_u32 v15, vcc_lo, v17, v2
	s_wait_alu 0xfffe
	s_xor_b64 s[60:61], s[60:61], s[58:59]
	s_wait_alu 0xfffd
	v_add_co_ci_u32_e64 v16, null, v18, v2, vcc_lo
	s_wait_alu 0xfffe
	s_cvt_f32_u32 s0, s60
	s_cvt_f32_u32 s59, s61
	s_sub_nc_u64 s[66:67], 0, s[60:61]
	v_xor_b32_e32 v21, v15, v2
	v_xor_b32_e32 v22, v16, v2
	s_wait_alu 0xfffe
	s_fmamk_f32 s0, s59, 0x4f800000, s0
	v_xor_b32_e32 v2, s58, v2
	s_wait_alu 0xfffe
	s_delay_alu instid0(SALU_CYCLE_1) | instskip(NEXT) | instid1(TRANS32_DEP_1)
	v_s_rcp_f32 s0, s0
	s_mul_f32 s0, s0, 0x5f7ffffc
	s_wait_alu 0xfffe
	s_delay_alu instid0(SALU_CYCLE_2) | instskip(SKIP_1) | instid1(SALU_CYCLE_2)
	s_mul_f32 s59, s0, 0x2f800000
	s_wait_alu 0xfffe
	s_trunc_f32 s59, s59
	s_wait_alu 0xfffe
	s_delay_alu instid0(SALU_CYCLE_2) | instskip(SKIP_2) | instid1(SALU_CYCLE_1)
	s_fmamk_f32 s0, s59, 0xcf800000, s0
	s_cvt_u32_f32 s65, s59
	s_wait_alu 0xfffe
	s_cvt_u32_f32 s64, s0
	s_delay_alu instid0(SALU_CYCLE_3) | instskip(NEXT) | instid1(SALU_CYCLE_1)
	s_mul_u64 s[68:69], s[66:67], s[64:65]
	s_mul_hi_u32 s71, s64, s69
	s_mul_i32 s70, s64, s69
	s_mul_hi_u32 s0, s64, s68
	s_mul_i32 s63, s65, s68
	s_wait_alu 0xfffe
	s_add_nc_u64 s[70:71], s[0:1], s[70:71]
	s_mul_hi_u32 s59, s65, s68
	s_mul_hi_u32 s72, s65, s69
	s_add_co_u32 s0, s70, s63
	s_wait_alu 0xfffe
	s_add_co_ci_u32 s0, s71, s59
	s_mul_i32 s68, s65, s69
	s_add_co_ci_u32 s69, s72, 0
	s_wait_alu 0xfffe
	s_add_nc_u64 s[68:69], s[0:1], s[68:69]
	s_delay_alu instid0(SALU_CYCLE_1) | instskip(SKIP_4) | instid1(SALU_CYCLE_1)
	s_add_co_u32 s64, s64, s68
	s_cselect_b32 s0, -1, 0
	s_wait_alu 0xfffe
	s_cmp_lg_u32 s0, 0
	s_add_co_ci_u32 s65, s65, s69
	s_mul_u64 s[66:67], s[66:67], s[64:65]
	s_delay_alu instid0(SALU_CYCLE_1)
	s_mul_hi_u32 s69, s64, s67
	s_mul_i32 s68, s64, s67
	s_mul_hi_u32 s0, s64, s66
	s_mul_i32 s63, s65, s66
	s_wait_alu 0xfffe
	s_add_nc_u64 s[68:69], s[0:1], s[68:69]
	s_mul_hi_u32 s59, s65, s66
	s_mul_hi_u32 s70, s65, s67
	s_add_co_u32 s0, s68, s63
	s_wait_alu 0xfffe
	s_add_co_ci_u32 s0, s69, s59
	s_mul_i32 s66, s65, s67
	s_add_co_ci_u32 s67, s70, 0
	s_wait_alu 0xfffe
	s_add_nc_u64 s[66:67], s[0:1], s[66:67]
	s_delay_alu instid0(SALU_CYCLE_1)
	s_add_co_u32 s0, s64, s66
	s_cselect_b32 s59, -1, 0
	s_wait_alu 0xfffe
	v_mul_hi_u32 v23, v21, s0
	s_cmp_lg_u32 s59, 0
	v_mad_co_u64_u32 v[17:18], null, v22, s0, 0
	s_add_co_ci_u32 s59, s65, s67
	s_wait_alu 0xfffe
	v_mad_co_u64_u32 v[15:16], null, v21, s59, 0
	v_mad_co_u64_u32 v[19:20], null, v22, s59, 0
	s_delay_alu instid0(VALU_DEP_2) | instskip(SKIP_1) | instid1(VALU_DEP_3)
	v_add_co_u32 v15, vcc_lo, v23, v15
	s_wait_alu 0xfffd
	v_add_co_ci_u32_e64 v16, null, 0, v16, vcc_lo
	s_delay_alu instid0(VALU_DEP_2) | instskip(SKIP_1) | instid1(VALU_DEP_2)
	v_add_co_u32 v15, vcc_lo, v15, v17
	s_wait_alu 0xfffd
	v_add_co_ci_u32_e32 v15, vcc_lo, v16, v18, vcc_lo
	s_wait_alu 0xfffd
	v_add_co_ci_u32_e32 v16, vcc_lo, 0, v20, vcc_lo
	s_delay_alu instid0(VALU_DEP_2) | instskip(SKIP_1) | instid1(VALU_DEP_2)
	v_add_co_u32 v17, vcc_lo, v15, v19
	s_wait_alu 0xfffd
	v_add_co_ci_u32_e64 v18, null, 0, v16, vcc_lo
	s_delay_alu instid0(VALU_DEP_2) | instskip(SKIP_1) | instid1(VALU_DEP_3)
	v_mul_lo_u32 v19, s61, v17
	v_mad_co_u64_u32 v[15:16], null, s60, v17, 0
	v_mul_lo_u32 v20, s60, v18
	s_delay_alu instid0(VALU_DEP_2) | instskip(NEXT) | instid1(VALU_DEP_2)
	v_sub_co_u32 v15, vcc_lo, v21, v15
	v_add3_u32 v16, v16, v20, v19
	v_add_co_u32 v20, s0, v17, 2
	s_wait_alu 0xf1ff
	v_add_co_ci_u32_e64 v21, null, 0, v18, s0
	s_delay_alu instid0(VALU_DEP_3) | instskip(SKIP_3) | instid1(VALU_DEP_3)
	v_sub_nc_u32_e32 v19, v22, v16
	v_sub_co_u32 v23, s0, v15, s60
	s_wait_alu 0xfffd
	v_sub_co_ci_u32_e64 v16, null, v22, v16, vcc_lo
	v_subrev_co_ci_u32_e64 v19, null, s61, v19, vcc_lo
	s_delay_alu instid0(VALU_DEP_3) | instskip(SKIP_1) | instid1(VALU_DEP_2)
	v_cmp_le_u32_e32 vcc_lo, s60, v23
	s_wait_alu 0xf1ff
	v_subrev_co_ci_u32_e64 v19, null, 0, v19, s0
	s_wait_alu 0xfffd
	v_cndmask_b32_e64 v22, 0, -1, vcc_lo
	s_delay_alu instid0(VALU_DEP_2)
	v_cmp_le_u32_e32 vcc_lo, s61, v19
	s_wait_alu 0xfffd
	v_cndmask_b32_e64 v23, 0, -1, vcc_lo
	v_cmp_le_u32_e32 vcc_lo, s60, v15
	s_wait_alu 0xfffd
	v_cndmask_b32_e64 v15, 0, -1, vcc_lo
	;; [unrolled: 3-line block ×3, first 2 shown]
	v_cmp_eq_u32_e32 vcc_lo, s61, v19
	s_wait_alu 0xfffd
	v_cndmask_b32_e32 v19, v23, v22, vcc_lo
	v_add_co_u32 v22, vcc_lo, v17, 1
	s_wait_alu 0xfffd
	v_add_co_ci_u32_e64 v23, null, 0, v18, vcc_lo
	v_cmp_eq_u32_e32 vcc_lo, s61, v16
	s_wait_alu 0xfffd
	v_cndmask_b32_e32 v15, v24, v15, vcc_lo
	v_cmp_ne_u32_e32 vcc_lo, 0, v19
	s_wait_alu 0xfffd
	v_cndmask_b32_e32 v16, v23, v21, vcc_lo
	s_delay_alu instid0(VALU_DEP_3) | instskip(SKIP_2) | instid1(VALU_DEP_2)
	v_cmp_ne_u32_e64 s0, 0, v15
	v_cndmask_b32_e32 v15, v22, v20, vcc_lo
	s_wait_alu 0xf1ff
	v_cndmask_b32_e64 v16, v18, v16, s0
	s_delay_alu instid0(VALU_DEP_2) | instskip(NEXT) | instid1(VALU_DEP_2)
	v_cndmask_b32_e64 v15, v17, v15, s0
                                        ; implicit-def: $vgpr17
	v_xor_b32_e32 v16, v16, v2
	s_delay_alu instid0(VALU_DEP_2) | instskip(NEXT) | instid1(VALU_DEP_1)
	v_xor_b32_e32 v15, v15, v2
	v_sub_co_u32 v15, vcc_lo, v15, v2
	s_wait_alu 0xfffd
	s_delay_alu instid0(VALU_DEP_3)
	v_sub_co_ci_u32_e64 v16, null, v16, v2, vcc_lo
.LBB51_17:                              ;   in Loop: Header=BB51_3 Depth=1
	s_wait_alu 0xfffe
	s_and_not1_saveexec_b32 s0, s57
	s_cbranch_execz .LBB51_19
; %bb.18:                               ;   in Loop: Header=BB51_3 Depth=1
	s_sub_co_i32 s57, 0, s2
	s_wait_alu 0xfffe
	v_mul_lo_u32 v2, s57, v29
	s_delay_alu instid0(VALU_DEP_1) | instskip(NEXT) | instid1(VALU_DEP_1)
	v_mul_hi_u32 v2, v29, v2
	v_add_nc_u32_e32 v2, v29, v2
	s_delay_alu instid0(VALU_DEP_1) | instskip(NEXT) | instid1(VALU_DEP_1)
	v_mul_hi_u32 v2, v17, v2
	v_mul_lo_u32 v15, v2, s2
	v_add_nc_u32_e32 v16, 1, v2
	s_delay_alu instid0(VALU_DEP_2) | instskip(NEXT) | instid1(VALU_DEP_1)
	v_sub_nc_u32_e32 v15, v17, v15
	v_subrev_nc_u32_e32 v17, s2, v15
	v_cmp_le_u32_e32 vcc_lo, s2, v15
	s_wait_alu 0xfffd
	s_delay_alu instid0(VALU_DEP_2) | instskip(NEXT) | instid1(VALU_DEP_1)
	v_dual_cndmask_b32 v15, v15, v17 :: v_dual_cndmask_b32 v2, v2, v16
	v_cmp_le_u32_e32 vcc_lo, s2, v15
	s_delay_alu instid0(VALU_DEP_2) | instskip(SKIP_1) | instid1(VALU_DEP_1)
	v_add_nc_u32_e32 v16, 1, v2
	s_wait_alu 0xfffd
	v_dual_cndmask_b32 v15, v2, v16 :: v_dual_mov_b32 v16, v1
.LBB51_19:                              ;   in Loop: Header=BB51_3 Depth=1
	s_wait_alu 0xfffe
	s_or_b32 exec_lo, exec_lo, s0
	s_delay_alu instid0(VALU_DEP_1) | instskip(NEXT) | instid1(VALU_DEP_2)
	v_mul_lo_u32 v2, v16, s2
	v_mul_lo_u32 v19, v15, s3
	v_mad_co_u64_u32 v[17:18], null, v15, s2, 0
	s_mov_b32 s0, exec_lo
	v_add3_u32 v2, v18, v19, v2
	v_sub_co_u32 v13, vcc_lo, v13, v17
	v_mul_lo_u32 v18, v16, s24
	v_mul_lo_u32 v17, v15, s25
	s_wait_alu 0xfffd
	v_sub_co_ci_u32_e64 v2, null, v14, v2, vcc_lo
	v_add_co_u32 v16, vcc_lo, v3, v13
	v_mad_co_u64_u32 v[13:14], null, v15, s24, 0
	s_wait_alu 0xfffd
	s_delay_alu instid0(VALU_DEP_3) | instskip(NEXT) | instid1(VALU_DEP_3)
	v_add_co_ci_u32_e64 v2, null, v4, v2, vcc_lo
	v_mul_lo_u32 v19, v16, s27
	v_mad_co_u64_u32 v[15:16], null, v16, s26, 0
	s_delay_alu instid0(VALU_DEP_3) | instskip(SKIP_1) | instid1(VALU_DEP_1)
	v_mul_lo_u32 v2, v2, s26
	v_add3_u32 v14, v14, v17, v18
	v_lshlrev_b64_e32 v[13:14], 3, v[13:14]
	s_delay_alu instid0(VALU_DEP_3) | instskip(NEXT) | instid1(VALU_DEP_2)
	v_add3_u32 v16, v16, v19, v2
	v_add_co_u32 v2, vcc_lo, s28, v13
	s_delay_alu instid0(VALU_DEP_2) | instskip(SKIP_1) | instid1(VALU_DEP_4)
	v_lshlrev_b64_e32 v[15:16], 3, v[15:16]
	s_wait_alu 0xfffd
	v_add_co_ci_u32_e64 v14, null, s29, v14, vcc_lo
	s_delay_alu instid0(VALU_DEP_2) | instskip(SKIP_1) | instid1(VALU_DEP_2)
	v_add_co_u32 v13, vcc_lo, v2, v15
	s_wait_alu 0xfffd
	v_add_co_ci_u32_e64 v14, null, v14, v16, vcc_lo
	v_add_co_u32 v2, vcc_lo, v11, 3
	global_load_b64 v[15:16], v[13:14], off
	s_wait_alu 0xfffd
	v_add_co_ci_u32_e64 v13, null, 0, v12, vcc_lo
	v_mul_lo_u32 v17, s5, v2
	s_delay_alu instid0(VALU_DEP_2) | instskip(SKIP_1) | instid1(VALU_DEP_1)
	v_mul_lo_u32 v18, s4, v13
	v_mad_co_u64_u32 v[13:14], null, s4, v2, 0
	v_add3_u32 v14, v14, v18, v17
	s_delay_alu instid0(VALU_DEP_2) | instskip(SKIP_1) | instid1(VALU_DEP_2)
	v_add_co_u32 v19, vcc_lo, v3, v13
                                        ; implicit-def: $vgpr17_vgpr18
	s_wait_alu 0xfffd
	v_add_co_ci_u32_e64 v20, null, v4, v14, vcc_lo
	s_delay_alu instid0(VALU_DEP_1) | instskip(NEXT) | instid1(VALU_DEP_1)
	v_or_b32_e32 v2, s3, v20
	v_cmpx_ne_u64_e32 0, v[1:2]
	s_wait_alu 0xfffe
	s_xor_b32 s57, exec_lo, s0
	s_cbranch_execz .LBB51_21
; %bb.20:                               ;   in Loop: Header=BB51_3 Depth=1
	s_ashr_i32 s58, s3, 31
	v_ashrrev_i32_e32 v2, 31, v20
	s_wait_alu 0xfffe
	s_mov_b32 s59, s58
	s_wait_alu 0xfffe
	s_add_nc_u64 s[60:61], s[2:3], s[58:59]
	v_add_co_u32 v17, vcc_lo, v19, v2
	s_wait_alu 0xfffe
	s_xor_b64 s[60:61], s[60:61], s[58:59]
	s_wait_alu 0xfffd
	v_add_co_ci_u32_e64 v18, null, v20, v2, vcc_lo
	s_wait_alu 0xfffe
	s_cvt_f32_u32 s0, s60
	s_cvt_f32_u32 s59, s61
	s_sub_nc_u64 s[66:67], 0, s[60:61]
	v_xor_b32_e32 v23, v17, v2
	v_xor_b32_e32 v24, v18, v2
	s_wait_alu 0xfffe
	s_fmamk_f32 s0, s59, 0x4f800000, s0
	v_xor_b32_e32 v2, s58, v2
	s_wait_alu 0xfffe
	s_delay_alu instid0(SALU_CYCLE_1) | instskip(NEXT) | instid1(TRANS32_DEP_1)
	v_s_rcp_f32 s0, s0
	s_mul_f32 s0, s0, 0x5f7ffffc
	s_wait_alu 0xfffe
	s_delay_alu instid0(SALU_CYCLE_2) | instskip(SKIP_1) | instid1(SALU_CYCLE_2)
	s_mul_f32 s59, s0, 0x2f800000
	s_wait_alu 0xfffe
	s_trunc_f32 s59, s59
	s_wait_alu 0xfffe
	s_delay_alu instid0(SALU_CYCLE_2) | instskip(SKIP_2) | instid1(SALU_CYCLE_1)
	s_fmamk_f32 s0, s59, 0xcf800000, s0
	s_cvt_u32_f32 s65, s59
	s_wait_alu 0xfffe
	s_cvt_u32_f32 s64, s0
	s_delay_alu instid0(SALU_CYCLE_3) | instskip(NEXT) | instid1(SALU_CYCLE_1)
	s_mul_u64 s[68:69], s[66:67], s[64:65]
	s_mul_hi_u32 s71, s64, s69
	s_mul_i32 s70, s64, s69
	s_mul_hi_u32 s0, s64, s68
	s_mul_i32 s63, s65, s68
	s_wait_alu 0xfffe
	s_add_nc_u64 s[70:71], s[0:1], s[70:71]
	s_mul_hi_u32 s59, s65, s68
	s_mul_hi_u32 s72, s65, s69
	s_add_co_u32 s0, s70, s63
	s_wait_alu 0xfffe
	s_add_co_ci_u32 s0, s71, s59
	s_mul_i32 s68, s65, s69
	s_add_co_ci_u32 s69, s72, 0
	s_wait_alu 0xfffe
	s_add_nc_u64 s[68:69], s[0:1], s[68:69]
	s_delay_alu instid0(SALU_CYCLE_1) | instskip(SKIP_4) | instid1(SALU_CYCLE_1)
	s_add_co_u32 s64, s64, s68
	s_cselect_b32 s0, -1, 0
	s_wait_alu 0xfffe
	s_cmp_lg_u32 s0, 0
	s_add_co_ci_u32 s65, s65, s69
	s_mul_u64 s[66:67], s[66:67], s[64:65]
	s_delay_alu instid0(SALU_CYCLE_1)
	s_mul_hi_u32 s69, s64, s67
	s_mul_i32 s68, s64, s67
	s_mul_hi_u32 s0, s64, s66
	s_mul_i32 s63, s65, s66
	s_wait_alu 0xfffe
	s_add_nc_u64 s[68:69], s[0:1], s[68:69]
	s_mul_hi_u32 s59, s65, s66
	s_mul_hi_u32 s70, s65, s67
	s_add_co_u32 s0, s68, s63
	s_wait_alu 0xfffe
	s_add_co_ci_u32 s0, s69, s59
	s_mul_i32 s66, s65, s67
	s_add_co_ci_u32 s67, s70, 0
	s_wait_alu 0xfffe
	s_add_nc_u64 s[66:67], s[0:1], s[66:67]
	s_delay_alu instid0(SALU_CYCLE_1)
	s_add_co_u32 s0, s64, s66
	s_cselect_b32 s59, -1, 0
	s_wait_alu 0xfffe
	v_mul_hi_u32 v25, v23, s0
	s_cmp_lg_u32 s59, 0
	v_mad_co_u64_u32 v[19:20], null, v24, s0, 0
	s_add_co_ci_u32 s59, s65, s67
	s_wait_alu 0xfffe
	v_mad_co_u64_u32 v[17:18], null, v23, s59, 0
	v_mad_co_u64_u32 v[21:22], null, v24, s59, 0
	s_delay_alu instid0(VALU_DEP_2) | instskip(SKIP_1) | instid1(VALU_DEP_3)
	v_add_co_u32 v17, vcc_lo, v25, v17
	s_wait_alu 0xfffd
	v_add_co_ci_u32_e64 v18, null, 0, v18, vcc_lo
	s_delay_alu instid0(VALU_DEP_2) | instskip(SKIP_1) | instid1(VALU_DEP_2)
	v_add_co_u32 v17, vcc_lo, v17, v19
	s_wait_alu 0xfffd
	v_add_co_ci_u32_e32 v17, vcc_lo, v18, v20, vcc_lo
	s_wait_alu 0xfffd
	v_add_co_ci_u32_e32 v18, vcc_lo, 0, v22, vcc_lo
	s_delay_alu instid0(VALU_DEP_2) | instskip(SKIP_1) | instid1(VALU_DEP_2)
	v_add_co_u32 v19, vcc_lo, v17, v21
	s_wait_alu 0xfffd
	v_add_co_ci_u32_e64 v20, null, 0, v18, vcc_lo
	s_delay_alu instid0(VALU_DEP_2) | instskip(SKIP_1) | instid1(VALU_DEP_3)
	v_mul_lo_u32 v21, s61, v19
	v_mad_co_u64_u32 v[17:18], null, s60, v19, 0
	v_mul_lo_u32 v22, s60, v20
	s_delay_alu instid0(VALU_DEP_2) | instskip(NEXT) | instid1(VALU_DEP_2)
	v_sub_co_u32 v17, vcc_lo, v23, v17
	v_add3_u32 v18, v18, v22, v21
	v_add_co_u32 v22, s0, v19, 2
	s_wait_alu 0xf1ff
	v_add_co_ci_u32_e64 v23, null, 0, v20, s0
	s_delay_alu instid0(VALU_DEP_3) | instskip(SKIP_3) | instid1(VALU_DEP_3)
	v_sub_nc_u32_e32 v21, v24, v18
	v_sub_co_u32 v25, s0, v17, s60
	s_wait_alu 0xfffd
	v_sub_co_ci_u32_e64 v18, null, v24, v18, vcc_lo
	v_subrev_co_ci_u32_e64 v21, null, s61, v21, vcc_lo
	s_delay_alu instid0(VALU_DEP_3) | instskip(SKIP_1) | instid1(VALU_DEP_2)
	v_cmp_le_u32_e32 vcc_lo, s60, v25
	s_wait_alu 0xf1ff
	v_subrev_co_ci_u32_e64 v21, null, 0, v21, s0
	s_wait_alu 0xfffd
	v_cndmask_b32_e64 v24, 0, -1, vcc_lo
	s_delay_alu instid0(VALU_DEP_2)
	v_cmp_le_u32_e32 vcc_lo, s61, v21
	s_wait_alu 0xfffd
	v_cndmask_b32_e64 v25, 0, -1, vcc_lo
	v_cmp_le_u32_e32 vcc_lo, s60, v17
	s_wait_alu 0xfffd
	v_cndmask_b32_e64 v17, 0, -1, vcc_lo
	;; [unrolled: 3-line block ×3, first 2 shown]
	v_cmp_eq_u32_e32 vcc_lo, s61, v21
	s_wait_alu 0xfffd
	v_cndmask_b32_e32 v21, v25, v24, vcc_lo
	v_add_co_u32 v24, vcc_lo, v19, 1
	s_wait_alu 0xfffd
	v_add_co_ci_u32_e64 v25, null, 0, v20, vcc_lo
	v_cmp_eq_u32_e32 vcc_lo, s61, v18
	s_wait_alu 0xfffd
	v_cndmask_b32_e32 v17, v26, v17, vcc_lo
	v_cmp_ne_u32_e32 vcc_lo, 0, v21
	s_wait_alu 0xfffd
	v_cndmask_b32_e32 v18, v25, v23, vcc_lo
	s_delay_alu instid0(VALU_DEP_3) | instskip(SKIP_2) | instid1(VALU_DEP_2)
	v_cmp_ne_u32_e64 s0, 0, v17
	v_cndmask_b32_e32 v17, v24, v22, vcc_lo
	s_wait_alu 0xf1ff
	v_cndmask_b32_e64 v18, v20, v18, s0
	s_delay_alu instid0(VALU_DEP_2) | instskip(NEXT) | instid1(VALU_DEP_2)
	v_cndmask_b32_e64 v17, v19, v17, s0
                                        ; implicit-def: $vgpr19
	v_xor_b32_e32 v18, v18, v2
	s_delay_alu instid0(VALU_DEP_2) | instskip(NEXT) | instid1(VALU_DEP_1)
	v_xor_b32_e32 v17, v17, v2
	v_sub_co_u32 v17, vcc_lo, v17, v2
	s_wait_alu 0xfffd
	s_delay_alu instid0(VALU_DEP_3)
	v_sub_co_ci_u32_e64 v18, null, v18, v2, vcc_lo
.LBB51_21:                              ;   in Loop: Header=BB51_3 Depth=1
	s_wait_alu 0xfffe
	s_and_not1_saveexec_b32 s0, s57
	s_cbranch_execz .LBB51_23
; %bb.22:                               ;   in Loop: Header=BB51_3 Depth=1
	s_sub_co_i32 s57, 0, s2
	s_wait_alu 0xfffe
	v_mul_lo_u32 v2, s57, v29
	s_delay_alu instid0(VALU_DEP_1) | instskip(NEXT) | instid1(VALU_DEP_1)
	v_mul_hi_u32 v2, v29, v2
	v_add_nc_u32_e32 v2, v29, v2
	s_delay_alu instid0(VALU_DEP_1) | instskip(NEXT) | instid1(VALU_DEP_1)
	v_mul_hi_u32 v2, v19, v2
	v_mul_lo_u32 v17, v2, s2
	s_delay_alu instid0(VALU_DEP_1) | instskip(NEXT) | instid1(VALU_DEP_1)
	v_sub_nc_u32_e32 v17, v19, v17
	v_subrev_nc_u32_e32 v19, s2, v17
	v_cmp_le_u32_e32 vcc_lo, s2, v17
	s_wait_alu 0xfffd
	s_delay_alu instid0(VALU_DEP_2) | instskip(NEXT) | instid1(VALU_DEP_1)
	v_dual_cndmask_b32 v17, v17, v19 :: v_dual_add_nc_u32 v18, 1, v2
	v_cndmask_b32_e32 v2, v2, v18, vcc_lo
	s_delay_alu instid0(VALU_DEP_2) | instskip(NEXT) | instid1(VALU_DEP_2)
	v_cmp_le_u32_e32 vcc_lo, s2, v17
	v_add_nc_u32_e32 v18, 1, v2
	s_wait_alu 0xfffd
	s_delay_alu instid0(VALU_DEP_1)
	v_dual_cndmask_b32 v17, v2, v18 :: v_dual_mov_b32 v18, v1
.LBB51_23:                              ;   in Loop: Header=BB51_3 Depth=1
	s_wait_alu 0xfffe
	s_or_b32 exec_lo, exec_lo, s0
	s_delay_alu instid0(VALU_DEP_1) | instskip(NEXT) | instid1(VALU_DEP_2)
	v_mul_lo_u32 v2, v18, s2
	v_mul_lo_u32 v21, v17, s3
	v_mad_co_u64_u32 v[19:20], null, v17, s2, 0
	s_mov_b32 s0, exec_lo
	v_add3_u32 v2, v20, v21, v2
	v_sub_co_u32 v13, vcc_lo, v13, v19
	v_mul_lo_u32 v20, v18, s24
	v_mul_lo_u32 v19, v17, s25
	s_wait_alu 0xfffd
	v_sub_co_ci_u32_e64 v2, null, v14, v2, vcc_lo
	v_add_co_u32 v18, vcc_lo, v3, v13
	v_mad_co_u64_u32 v[13:14], null, v17, s24, 0
	s_wait_alu 0xfffd
	s_delay_alu instid0(VALU_DEP_3) | instskip(NEXT) | instid1(VALU_DEP_3)
	v_add_co_ci_u32_e64 v2, null, v4, v2, vcc_lo
	v_mul_lo_u32 v21, v18, s27
	v_mad_co_u64_u32 v[17:18], null, v18, s26, 0
	s_delay_alu instid0(VALU_DEP_3) | instskip(SKIP_1) | instid1(VALU_DEP_1)
	v_mul_lo_u32 v2, v2, s26
	v_add3_u32 v14, v14, v19, v20
	v_lshlrev_b64_e32 v[13:14], 3, v[13:14]
	s_delay_alu instid0(VALU_DEP_3) | instskip(NEXT) | instid1(VALU_DEP_2)
	v_add3_u32 v18, v18, v21, v2
	v_add_co_u32 v2, vcc_lo, s28, v13
	s_delay_alu instid0(VALU_DEP_2) | instskip(SKIP_1) | instid1(VALU_DEP_4)
	v_lshlrev_b64_e32 v[17:18], 3, v[17:18]
	s_wait_alu 0xfffd
	v_add_co_ci_u32_e64 v14, null, s29, v14, vcc_lo
	s_delay_alu instid0(VALU_DEP_2) | instskip(SKIP_1) | instid1(VALU_DEP_2)
	v_add_co_u32 v13, vcc_lo, v2, v17
	s_wait_alu 0xfffd
	v_add_co_ci_u32_e64 v14, null, v14, v18, vcc_lo
	v_add_co_u32 v2, vcc_lo, v11, 4
	s_wait_alu 0xfffd
	v_add_co_ci_u32_e64 v11, null, 0, v12, vcc_lo
	global_load_b64 v[19:20], v[13:14], off
	v_mul_lo_u32 v13, s5, v2
	v_mul_lo_u32 v14, s4, v11
	v_mad_co_u64_u32 v[11:12], null, s4, v2, 0
	s_delay_alu instid0(VALU_DEP_1) | instskip(NEXT) | instid1(VALU_DEP_2)
	v_add3_u32 v12, v12, v14, v13
	v_add_co_u32 v17, vcc_lo, v3, v11
                                        ; implicit-def: $vgpr13_vgpr14
	s_wait_alu 0xfffd
	s_delay_alu instid0(VALU_DEP_2) | instskip(NEXT) | instid1(VALU_DEP_1)
	v_add_co_ci_u32_e64 v18, null, v4, v12, vcc_lo
	v_or_b32_e32 v2, s3, v18
	s_delay_alu instid0(VALU_DEP_1)
	v_cmpx_ne_u64_e32 0, v[1:2]
	s_wait_alu 0xfffe
	s_xor_b32 s57, exec_lo, s0
	s_cbranch_execz .LBB51_25
; %bb.24:                               ;   in Loop: Header=BB51_3 Depth=1
	s_ashr_i32 s58, s3, 31
	v_ashrrev_i32_e32 v2, 31, v18
	s_wait_alu 0xfffe
	s_mov_b32 s59, s58
	s_wait_alu 0xfffe
	s_add_nc_u64 s[60:61], s[2:3], s[58:59]
	v_add_co_u32 v13, vcc_lo, v17, v2
	s_wait_alu 0xfffe
	s_xor_b64 s[60:61], s[60:61], s[58:59]
	s_wait_alu 0xfffd
	v_add_co_ci_u32_e64 v14, null, v18, v2, vcc_lo
	s_wait_alu 0xfffe
	s_cvt_f32_u32 s0, s60
	s_cvt_f32_u32 s59, s61
	s_sub_nc_u64 s[66:67], 0, s[60:61]
	v_xor_b32_e32 v23, v13, v2
	v_xor_b32_e32 v24, v14, v2
	s_wait_alu 0xfffe
	s_fmamk_f32 s0, s59, 0x4f800000, s0
	v_xor_b32_e32 v2, s58, v2
	s_wait_alu 0xfffe
	s_delay_alu instid0(SALU_CYCLE_1) | instskip(NEXT) | instid1(TRANS32_DEP_1)
	v_s_rcp_f32 s0, s0
	s_mul_f32 s0, s0, 0x5f7ffffc
	s_wait_alu 0xfffe
	s_delay_alu instid0(SALU_CYCLE_2) | instskip(SKIP_1) | instid1(SALU_CYCLE_2)
	s_mul_f32 s59, s0, 0x2f800000
	s_wait_alu 0xfffe
	s_trunc_f32 s59, s59
	s_wait_alu 0xfffe
	s_delay_alu instid0(SALU_CYCLE_2) | instskip(SKIP_2) | instid1(SALU_CYCLE_1)
	s_fmamk_f32 s0, s59, 0xcf800000, s0
	s_cvt_u32_f32 s65, s59
	s_wait_alu 0xfffe
	s_cvt_u32_f32 s64, s0
	s_delay_alu instid0(SALU_CYCLE_3) | instskip(NEXT) | instid1(SALU_CYCLE_1)
	s_mul_u64 s[68:69], s[66:67], s[64:65]
	s_mul_hi_u32 s71, s64, s69
	s_mul_i32 s70, s64, s69
	s_mul_hi_u32 s0, s64, s68
	s_mul_i32 s63, s65, s68
	s_wait_alu 0xfffe
	s_add_nc_u64 s[70:71], s[0:1], s[70:71]
	s_mul_hi_u32 s59, s65, s68
	s_mul_hi_u32 s72, s65, s69
	s_add_co_u32 s0, s70, s63
	s_wait_alu 0xfffe
	s_add_co_ci_u32 s0, s71, s59
	s_mul_i32 s68, s65, s69
	s_add_co_ci_u32 s69, s72, 0
	s_wait_alu 0xfffe
	s_add_nc_u64 s[68:69], s[0:1], s[68:69]
	s_delay_alu instid0(SALU_CYCLE_1) | instskip(SKIP_4) | instid1(SALU_CYCLE_1)
	s_add_co_u32 s64, s64, s68
	s_cselect_b32 s0, -1, 0
	s_wait_alu 0xfffe
	s_cmp_lg_u32 s0, 0
	s_add_co_ci_u32 s65, s65, s69
	s_mul_u64 s[66:67], s[66:67], s[64:65]
	s_delay_alu instid0(SALU_CYCLE_1)
	s_mul_hi_u32 s69, s64, s67
	s_mul_i32 s68, s64, s67
	s_mul_hi_u32 s0, s64, s66
	s_mul_i32 s63, s65, s66
	s_wait_alu 0xfffe
	s_add_nc_u64 s[68:69], s[0:1], s[68:69]
	s_mul_hi_u32 s59, s65, s66
	s_mul_hi_u32 s70, s65, s67
	s_add_co_u32 s0, s68, s63
	s_wait_alu 0xfffe
	s_add_co_ci_u32 s0, s69, s59
	s_mul_i32 s66, s65, s67
	s_add_co_ci_u32 s67, s70, 0
	s_wait_alu 0xfffe
	s_add_nc_u64 s[66:67], s[0:1], s[66:67]
	s_delay_alu instid0(SALU_CYCLE_1)
	s_add_co_u32 s0, s64, s66
	s_cselect_b32 s59, -1, 0
	s_wait_alu 0xfffe
	v_mul_hi_u32 v25, v23, s0
	s_cmp_lg_u32 s59, 0
	v_mad_co_u64_u32 v[17:18], null, v24, s0, 0
	s_add_co_ci_u32 s59, s65, s67
	s_wait_alu 0xfffe
	v_mad_co_u64_u32 v[13:14], null, v23, s59, 0
	v_mad_co_u64_u32 v[21:22], null, v24, s59, 0
	s_delay_alu instid0(VALU_DEP_2) | instskip(SKIP_1) | instid1(VALU_DEP_3)
	v_add_co_u32 v13, vcc_lo, v25, v13
	s_wait_alu 0xfffd
	v_add_co_ci_u32_e64 v14, null, 0, v14, vcc_lo
	s_delay_alu instid0(VALU_DEP_2) | instskip(SKIP_1) | instid1(VALU_DEP_2)
	v_add_co_u32 v13, vcc_lo, v13, v17
	s_wait_alu 0xfffd
	v_add_co_ci_u32_e32 v13, vcc_lo, v14, v18, vcc_lo
	s_wait_alu 0xfffd
	v_add_co_ci_u32_e32 v14, vcc_lo, 0, v22, vcc_lo
	s_delay_alu instid0(VALU_DEP_2) | instskip(SKIP_1) | instid1(VALU_DEP_2)
	v_add_co_u32 v17, vcc_lo, v13, v21
	s_wait_alu 0xfffd
	v_add_co_ci_u32_e64 v18, null, 0, v14, vcc_lo
	s_delay_alu instid0(VALU_DEP_2) | instskip(SKIP_1) | instid1(VALU_DEP_3)
	v_mul_lo_u32 v21, s61, v17
	v_mad_co_u64_u32 v[13:14], null, s60, v17, 0
	v_mul_lo_u32 v22, s60, v18
	s_delay_alu instid0(VALU_DEP_2) | instskip(NEXT) | instid1(VALU_DEP_2)
	v_sub_co_u32 v13, vcc_lo, v23, v13
	v_add3_u32 v14, v14, v22, v21
	v_add_co_u32 v22, s0, v17, 2
	s_wait_alu 0xf1ff
	v_add_co_ci_u32_e64 v23, null, 0, v18, s0
	s_delay_alu instid0(VALU_DEP_3) | instskip(SKIP_3) | instid1(VALU_DEP_3)
	v_sub_nc_u32_e32 v21, v24, v14
	v_sub_co_u32 v25, s0, v13, s60
	s_wait_alu 0xfffd
	v_sub_co_ci_u32_e64 v14, null, v24, v14, vcc_lo
	v_subrev_co_ci_u32_e64 v21, null, s61, v21, vcc_lo
	s_delay_alu instid0(VALU_DEP_3) | instskip(SKIP_1) | instid1(VALU_DEP_2)
	v_cmp_le_u32_e32 vcc_lo, s60, v25
	s_wait_alu 0xf1ff
	v_subrev_co_ci_u32_e64 v21, null, 0, v21, s0
	s_wait_alu 0xfffd
	v_cndmask_b32_e64 v24, 0, -1, vcc_lo
	s_delay_alu instid0(VALU_DEP_2)
	v_cmp_le_u32_e32 vcc_lo, s61, v21
	s_wait_alu 0xfffd
	v_cndmask_b32_e64 v25, 0, -1, vcc_lo
	v_cmp_le_u32_e32 vcc_lo, s60, v13
	s_wait_alu 0xfffd
	v_cndmask_b32_e64 v13, 0, -1, vcc_lo
	;; [unrolled: 3-line block ×3, first 2 shown]
	v_cmp_eq_u32_e32 vcc_lo, s61, v21
	s_wait_alu 0xfffd
	v_cndmask_b32_e32 v21, v25, v24, vcc_lo
	v_add_co_u32 v24, vcc_lo, v17, 1
	s_wait_alu 0xfffd
	v_add_co_ci_u32_e64 v25, null, 0, v18, vcc_lo
	v_cmp_eq_u32_e32 vcc_lo, s61, v14
	s_wait_alu 0xfffd
	v_cndmask_b32_e32 v13, v26, v13, vcc_lo
	v_cmp_ne_u32_e32 vcc_lo, 0, v21
	s_wait_alu 0xfffd
	v_cndmask_b32_e32 v14, v25, v23, vcc_lo
	s_delay_alu instid0(VALU_DEP_3) | instskip(SKIP_2) | instid1(VALU_DEP_2)
	v_cmp_ne_u32_e64 s0, 0, v13
	v_cndmask_b32_e32 v13, v24, v22, vcc_lo
	s_wait_alu 0xf1ff
	v_cndmask_b32_e64 v14, v18, v14, s0
	s_delay_alu instid0(VALU_DEP_2) | instskip(NEXT) | instid1(VALU_DEP_2)
	v_cndmask_b32_e64 v13, v17, v13, s0
                                        ; implicit-def: $vgpr17
	v_xor_b32_e32 v14, v14, v2
	s_delay_alu instid0(VALU_DEP_2) | instskip(NEXT) | instid1(VALU_DEP_1)
	v_xor_b32_e32 v13, v13, v2
	v_sub_co_u32 v13, vcc_lo, v13, v2
	s_wait_alu 0xfffd
	s_delay_alu instid0(VALU_DEP_3)
	v_sub_co_ci_u32_e64 v14, null, v14, v2, vcc_lo
.LBB51_25:                              ;   in Loop: Header=BB51_3 Depth=1
	s_wait_alu 0xfffe
	s_and_not1_saveexec_b32 s0, s57
	s_cbranch_execz .LBB51_27
; %bb.26:                               ;   in Loop: Header=BB51_3 Depth=1
	s_sub_co_i32 s57, 0, s2
	s_wait_alu 0xfffe
	v_mul_lo_u32 v2, s57, v29
	s_delay_alu instid0(VALU_DEP_1) | instskip(NEXT) | instid1(VALU_DEP_1)
	v_mul_hi_u32 v2, v29, v2
	v_add_nc_u32_e32 v2, v29, v2
	s_delay_alu instid0(VALU_DEP_1) | instskip(NEXT) | instid1(VALU_DEP_1)
	v_mul_hi_u32 v2, v17, v2
	v_mul_lo_u32 v13, v2, s2
	s_delay_alu instid0(VALU_DEP_1) | instskip(NEXT) | instid1(VALU_DEP_1)
	v_sub_nc_u32_e32 v13, v17, v13
	v_subrev_nc_u32_e32 v17, s2, v13
	v_cmp_le_u32_e32 vcc_lo, s2, v13
	s_wait_alu 0xfffd
	s_delay_alu instid0(VALU_DEP_2) | instskip(NEXT) | instid1(VALU_DEP_1)
	v_dual_cndmask_b32 v13, v13, v17 :: v_dual_add_nc_u32 v14, 1, v2
	v_cndmask_b32_e32 v2, v2, v14, vcc_lo
	s_delay_alu instid0(VALU_DEP_2) | instskip(NEXT) | instid1(VALU_DEP_2)
	v_cmp_le_u32_e32 vcc_lo, s2, v13
	v_add_nc_u32_e32 v14, 1, v2
	s_wait_alu 0xfffd
	s_delay_alu instid0(VALU_DEP_1)
	v_dual_cndmask_b32 v13, v2, v14 :: v_dual_mov_b32 v14, v1
.LBB51_27:                              ;   in Loop: Header=BB51_3 Depth=1
	s_wait_alu 0xfffe
	s_or_b32 exec_lo, exec_lo, s0
	s_delay_alu instid0(VALU_DEP_1) | instskip(NEXT) | instid1(VALU_DEP_2)
	v_mul_lo_u32 v2, v14, s2
	v_mul_lo_u32 v21, v13, s3
	v_mad_co_u64_u32 v[17:18], null, v13, s2, 0
	s_mov_b32 s0, exec_lo
	v_add3_u32 v2, v18, v21, v2
	v_sub_co_u32 v11, vcc_lo, v11, v17
	v_mul_lo_u32 v18, v14, s24
	v_mul_lo_u32 v17, v13, s25
	s_wait_alu 0xfffd
	v_sub_co_ci_u32_e64 v2, null, v12, v2, vcc_lo
	v_add_co_u32 v14, vcc_lo, v3, v11
	v_mad_co_u64_u32 v[11:12], null, v13, s24, 0
	s_wait_alu 0xfffd
	s_delay_alu instid0(VALU_DEP_3) | instskip(NEXT) | instid1(VALU_DEP_3)
	v_add_co_ci_u32_e64 v2, null, v4, v2, vcc_lo
	v_mul_lo_u32 v21, v14, s27
	v_mad_co_u64_u32 v[13:14], null, v14, s26, 0
	s_delay_alu instid0(VALU_DEP_3) | instskip(SKIP_1) | instid1(VALU_DEP_1)
	v_mul_lo_u32 v2, v2, s26
	v_add3_u32 v12, v12, v17, v18
	v_lshlrev_b64_e32 v[11:12], 3, v[11:12]
	s_delay_alu instid0(VALU_DEP_3) | instskip(NEXT) | instid1(VALU_DEP_2)
	v_add3_u32 v14, v14, v21, v2
	v_add_co_u32 v2, vcc_lo, s28, v11
	s_delay_alu instid0(VALU_DEP_2) | instskip(SKIP_1) | instid1(VALU_DEP_4)
	v_lshlrev_b64_e32 v[13:14], 3, v[13:14]
	s_wait_alu 0xfffd
	v_add_co_ci_u32_e64 v12, null, s29, v12, vcc_lo
	s_delay_alu instid0(VALU_DEP_2) | instskip(SKIP_1) | instid1(VALU_DEP_2)
	v_add_co_u32 v11, vcc_lo, v2, v13
	s_wait_alu 0xfffd
	v_add_co_ci_u32_e64 v12, null, v12, v14, vcc_lo
	v_or_b32_e32 v2, s43, v4
	global_load_b64 v[21:22], v[11:12], off
                                        ; implicit-def: $vgpr11_vgpr12
	v_cmpx_ne_u64_e32 0, v[1:2]
	s_wait_alu 0xfffe
	s_xor_b32 s57, exec_lo, s0
	s_cbranch_execz .LBB51_29
; %bb.28:                               ;   in Loop: Header=BB51_3 Depth=1
	s_ashr_i32 s58, s43, 31
	v_add_co_u32 v2, vcc_lo, v3, v30
	s_wait_alu 0xfffe
	s_mov_b32 s59, s58
	s_wait_alu 0xfffd
	v_add_co_ci_u32_e64 v11, null, v4, v30, vcc_lo
	s_wait_alu 0xfffe
	s_add_nc_u64 s[60:61], s[42:43], s[58:59]
	v_xor_b32_e32 v2, v2, v30
	s_wait_alu 0xfffe
	s_xor_b64 s[60:61], s[60:61], s[58:59]
	v_xor_b32_e32 v23, v11, v30
	s_wait_alu 0xfffe
	s_cvt_f32_u32 s0, s60
	s_cvt_f32_u32 s59, s61
	s_sub_nc_u64 s[66:67], 0, s[60:61]
	s_wait_alu 0xfffe
	s_delay_alu instid0(SALU_CYCLE_1) | instskip(SKIP_1) | instid1(SALU_CYCLE_2)
	s_fmamk_f32 s0, s59, 0x4f800000, s0
	s_wait_alu 0xfffe
	v_s_rcp_f32 s0, s0
	s_delay_alu instid0(TRANS32_DEP_1) | instskip(SKIP_1) | instid1(SALU_CYCLE_2)
	s_mul_f32 s0, s0, 0x5f7ffffc
	s_wait_alu 0xfffe
	s_mul_f32 s59, s0, 0x2f800000
	s_wait_alu 0xfffe
	s_delay_alu instid0(SALU_CYCLE_2) | instskip(SKIP_1) | instid1(SALU_CYCLE_2)
	s_trunc_f32 s59, s59
	s_wait_alu 0xfffe
	s_fmamk_f32 s0, s59, 0xcf800000, s0
	s_cvt_u32_f32 s65, s59
	s_wait_alu 0xfffe
	s_delay_alu instid0(SALU_CYCLE_1) | instskip(NEXT) | instid1(SALU_CYCLE_3)
	s_cvt_u32_f32 s64, s0
	s_mul_u64 s[68:69], s[66:67], s[64:65]
	s_delay_alu instid0(SALU_CYCLE_1)
	s_mul_hi_u32 s71, s64, s69
	s_mul_i32 s70, s64, s69
	s_mul_hi_u32 s0, s64, s68
	s_mul_i32 s63, s65, s68
	s_wait_alu 0xfffe
	s_add_nc_u64 s[70:71], s[0:1], s[70:71]
	s_mul_hi_u32 s59, s65, s68
	s_mul_hi_u32 s72, s65, s69
	s_add_co_u32 s0, s70, s63
	s_wait_alu 0xfffe
	s_add_co_ci_u32 s0, s71, s59
	s_mul_i32 s68, s65, s69
	s_add_co_ci_u32 s69, s72, 0
	s_wait_alu 0xfffe
	s_add_nc_u64 s[68:69], s[0:1], s[68:69]
	s_delay_alu instid0(SALU_CYCLE_1) | instskip(SKIP_4) | instid1(SALU_CYCLE_1)
	s_add_co_u32 s64, s64, s68
	s_cselect_b32 s0, -1, 0
	s_wait_alu 0xfffe
	s_cmp_lg_u32 s0, 0
	s_add_co_ci_u32 s65, s65, s69
	s_mul_u64 s[66:67], s[66:67], s[64:65]
	s_delay_alu instid0(SALU_CYCLE_1)
	s_mul_hi_u32 s69, s64, s67
	s_mul_i32 s68, s64, s67
	s_mul_hi_u32 s0, s64, s66
	s_mul_i32 s63, s65, s66
	s_wait_alu 0xfffe
	s_add_nc_u64 s[68:69], s[0:1], s[68:69]
	s_mul_hi_u32 s59, s65, s66
	s_mul_hi_u32 s70, s65, s67
	s_add_co_u32 s0, s68, s63
	s_wait_alu 0xfffe
	s_add_co_ci_u32 s0, s69, s59
	s_mul_i32 s66, s65, s67
	s_add_co_ci_u32 s67, s70, 0
	s_wait_alu 0xfffe
	s_add_nc_u64 s[66:67], s[0:1], s[66:67]
	s_delay_alu instid0(SALU_CYCLE_1)
	s_add_co_u32 s0, s64, s66
	s_cselect_b32 s59, -1, 0
	s_wait_alu 0xfffe
	v_mul_hi_u32 v24, v2, s0
	s_cmp_lg_u32 s59, 0
	v_mad_co_u64_u32 v[13:14], null, v23, s0, 0
	s_add_co_ci_u32 s59, s65, s67
	s_wait_alu 0xfffe
	v_mad_co_u64_u32 v[11:12], null, v2, s59, 0
	v_mad_co_u64_u32 v[17:18], null, v23, s59, 0
	s_delay_alu instid0(VALU_DEP_2) | instskip(SKIP_1) | instid1(VALU_DEP_3)
	v_add_co_u32 v11, vcc_lo, v24, v11
	s_wait_alu 0xfffd
	v_add_co_ci_u32_e64 v12, null, 0, v12, vcc_lo
	s_delay_alu instid0(VALU_DEP_2) | instskip(SKIP_1) | instid1(VALU_DEP_2)
	v_add_co_u32 v11, vcc_lo, v11, v13
	s_wait_alu 0xfffd
	v_add_co_ci_u32_e32 v11, vcc_lo, v12, v14, vcc_lo
	s_wait_alu 0xfffd
	v_add_co_ci_u32_e32 v12, vcc_lo, 0, v18, vcc_lo
	s_delay_alu instid0(VALU_DEP_2) | instskip(SKIP_1) | instid1(VALU_DEP_2)
	v_add_co_u32 v13, vcc_lo, v11, v17
	s_wait_alu 0xfffd
	v_add_co_ci_u32_e64 v14, null, 0, v12, vcc_lo
	s_delay_alu instid0(VALU_DEP_2) | instskip(SKIP_1) | instid1(VALU_DEP_3)
	v_mul_lo_u32 v17, s61, v13
	v_mad_co_u64_u32 v[11:12], null, s60, v13, 0
	v_mul_lo_u32 v18, s60, v14
	s_delay_alu instid0(VALU_DEP_2) | instskip(NEXT) | instid1(VALU_DEP_2)
	v_sub_co_u32 v2, vcc_lo, v2, v11
	v_add3_u32 v12, v12, v18, v17
	s_delay_alu instid0(VALU_DEP_1) | instskip(SKIP_2) | instid1(VALU_DEP_2)
	v_sub_nc_u32_e32 v17, v23, v12
	s_wait_alu 0xfffd
	v_sub_co_ci_u32_e64 v12, null, v23, v12, vcc_lo
	v_subrev_co_ci_u32_e64 v11, null, s61, v17, vcc_lo
	v_add_co_u32 v17, s0, v13, 2
	s_wait_alu 0xf1ff
	v_add_co_ci_u32_e64 v18, null, 0, v14, s0
	v_sub_co_u32 v24, s0, v2, s60
	s_wait_alu 0xf1ff
	v_subrev_co_ci_u32_e64 v11, null, 0, v11, s0
	s_delay_alu instid0(VALU_DEP_2) | instskip(SKIP_2) | instid1(VALU_DEP_3)
	v_cmp_le_u32_e32 vcc_lo, s60, v24
	s_wait_alu 0xfffd
	v_cndmask_b32_e64 v23, 0, -1, vcc_lo
	v_cmp_le_u32_e32 vcc_lo, s61, v11
	s_wait_alu 0xfffd
	v_cndmask_b32_e64 v24, 0, -1, vcc_lo
	;; [unrolled: 3-line block ×4, first 2 shown]
	v_cmp_eq_u32_e32 vcc_lo, s61, v11
	s_wait_alu 0xfffd
	v_cndmask_b32_e32 v11, v24, v23, vcc_lo
	v_add_co_u32 v23, vcc_lo, v13, 1
	s_wait_alu 0xfffd
	v_add_co_ci_u32_e64 v24, null, 0, v14, vcc_lo
	v_cmp_eq_u32_e32 vcc_lo, s61, v12
	v_xor_b32_e32 v12, s58, v30
	s_wait_alu 0xfffd
	v_cndmask_b32_e32 v2, v25, v2, vcc_lo
	v_cmp_ne_u32_e32 vcc_lo, 0, v11
	s_delay_alu instid0(VALU_DEP_2) | instskip(SKIP_3) | instid1(VALU_DEP_1)
	v_cmp_ne_u32_e64 s0, 0, v2
	s_wait_alu 0xfffd
	v_dual_cndmask_b32 v11, v24, v18 :: v_dual_cndmask_b32 v2, v23, v17
	s_wait_alu 0xf1ff
	v_cndmask_b32_e64 v11, v14, v11, s0
	s_delay_alu instid0(VALU_DEP_2) | instskip(NEXT) | instid1(VALU_DEP_2)
	v_cndmask_b32_e64 v2, v13, v2, s0
	v_xor_b32_e32 v13, v11, v12
	s_delay_alu instid0(VALU_DEP_2) | instskip(NEXT) | instid1(VALU_DEP_1)
	v_xor_b32_e32 v2, v2, v12
	v_sub_co_u32 v11, vcc_lo, v2, v12
	s_wait_alu 0xfffd
	s_delay_alu instid0(VALU_DEP_3)
	v_sub_co_ci_u32_e64 v12, null, v13, v12, vcc_lo
.LBB51_29:                              ;   in Loop: Header=BB51_3 Depth=1
	s_wait_alu 0xfffe
	s_and_not1_saveexec_b32 s0, s57
	s_cbranch_execz .LBB51_31
; %bb.30:                               ;   in Loop: Header=BB51_3 Depth=1
	v_cvt_f32_u32_e32 v2, s42
	s_sub_co_i32 s57, 0, s42
	s_delay_alu instid0(VALU_DEP_1) | instskip(NEXT) | instid1(TRANS32_DEP_1)
	v_rcp_iflag_f32_e32 v2, v2
	v_mul_f32_e32 v2, 0x4f7ffffe, v2
	s_delay_alu instid0(VALU_DEP_1) | instskip(SKIP_1) | instid1(VALU_DEP_1)
	v_cvt_u32_f32_e32 v2, v2
	s_wait_alu 0xfffe
	v_mul_lo_u32 v11, s57, v2
	s_delay_alu instid0(VALU_DEP_1) | instskip(NEXT) | instid1(VALU_DEP_1)
	v_mul_hi_u32 v11, v2, v11
	v_add_nc_u32_e32 v2, v2, v11
	s_delay_alu instid0(VALU_DEP_1) | instskip(NEXT) | instid1(VALU_DEP_1)
	v_mul_hi_u32 v2, v3, v2
	v_mul_lo_u32 v11, v2, s42
	v_add_nc_u32_e32 v12, 1, v2
	s_delay_alu instid0(VALU_DEP_2) | instskip(NEXT) | instid1(VALU_DEP_1)
	v_sub_nc_u32_e32 v11, v3, v11
	v_subrev_nc_u32_e32 v13, s42, v11
	v_cmp_le_u32_e32 vcc_lo, s42, v11
	s_wait_alu 0xfffd
	s_delay_alu instid0(VALU_DEP_2) | instskip(NEXT) | instid1(VALU_DEP_1)
	v_dual_cndmask_b32 v11, v11, v13 :: v_dual_cndmask_b32 v2, v2, v12
	v_cmp_le_u32_e32 vcc_lo, s42, v11
	s_delay_alu instid0(VALU_DEP_2) | instskip(SKIP_1) | instid1(VALU_DEP_1)
	v_add_nc_u32_e32 v12, 1, v2
	s_wait_alu 0xfffd
	v_dual_cndmask_b32 v11, v2, v12 :: v_dual_mov_b32 v12, v1
.LBB51_31:                              ;   in Loop: Header=BB51_3 Depth=1
	s_wait_alu 0xfffe
	s_or_b32 exec_lo, exec_lo, s0
	s_delay_alu instid0(VALU_DEP_1) | instskip(NEXT) | instid1(VALU_DEP_2)
	v_mad_co_u64_u32 v[13:14], null, s52, v11, v[3:4]
	v_mul_lo_u32 v2, s52, v12
	v_mul_lo_u32 v17, s53, v11
	;; [unrolled: 1-line block ×4, first 2 shown]
	v_mad_co_u64_u32 v[11:12], null, v11, s16, 0
                                        ; implicit-def: $vgpr27_vgpr28
	s_mov_b32 s0, exec_lo
	v_add3_u32 v2, v17, v14, v2
	v_mul_lo_u32 v17, v13, s19
	v_mad_co_u64_u32 v[13:14], null, v13, s18, 0
	v_add3_u32 v12, v12, v23, v18
	s_delay_alu instid0(VALU_DEP_4) | instskip(NEXT) | instid1(VALU_DEP_2)
	v_mul_lo_u32 v2, v2, s18
	v_lshlrev_b64_e32 v[11:12], 3, v[11:12]
	s_delay_alu instid0(VALU_DEP_2) | instskip(SKIP_1) | instid1(VALU_DEP_3)
	v_add3_u32 v14, v14, v17, v2
	v_mad_co_u64_u32 v[17:18], null, s50, v9, 0
	v_add_co_u32 v2, vcc_lo, s40, v11
	s_delay_alu instid0(VALU_DEP_3) | instskip(SKIP_2) | instid1(VALU_DEP_2)
	v_lshlrev_b64_e32 v[13:14], 3, v[13:14]
	s_wait_alu 0xfffd
	v_add_co_ci_u32_e64 v12, null, s41, v12, vcc_lo
	v_add_co_u32 v11, vcc_lo, v2, v13
	s_wait_alu 0xfffd
	s_delay_alu instid0(VALU_DEP_2)
	v_add_co_ci_u32_e64 v12, null, v12, v14, vcc_lo
	v_mul_lo_u32 v2, s51, v9
	v_mul_lo_u32 v13, s50, v10
	v_add_co_u32 v33, vcc_lo, v3, v17
	global_load_b64 v[11:12], v[11:12], off
	v_add3_u32 v18, v18, v13, v2
	s_wait_alu 0xfffd
	s_delay_alu instid0(VALU_DEP_1) | instskip(NEXT) | instid1(VALU_DEP_1)
	v_add_co_ci_u32_e64 v34, null, v4, v18, vcc_lo
	v_or_b32_e32 v2, s35, v34
	v_ashrrev_i32_e32 v31, 31, v34
	s_delay_alu instid0(VALU_DEP_2)
	v_cmpx_ne_u64_e32 0, v[1:2]
	s_wait_alu 0xfffe
	s_xor_b32 s57, exec_lo, s0
	s_cbranch_execz .LBB51_33
; %bb.32:                               ;   in Loop: Header=BB51_3 Depth=1
	s_ashr_i32 s58, s35, 31
	v_add_co_u32 v2, vcc_lo, v33, v31
	s_wait_alu 0xfffe
	s_mov_b32 s59, s58
	s_wait_alu 0xfffd
	v_add_co_ci_u32_e64 v13, null, v34, v31, vcc_lo
	s_wait_alu 0xfffe
	s_add_nc_u64 s[60:61], s[34:35], s[58:59]
	v_xor_b32_e32 v2, v2, v31
	s_wait_alu 0xfffe
	s_xor_b64 s[60:61], s[60:61], s[58:59]
	v_xor_b32_e32 v27, v13, v31
	s_wait_alu 0xfffe
	s_cvt_f32_u32 s0, s60
	s_cvt_f32_u32 s59, s61
	s_sub_nc_u64 s[66:67], 0, s[60:61]
	s_wait_alu 0xfffe
	s_delay_alu instid0(SALU_CYCLE_1) | instskip(SKIP_1) | instid1(SALU_CYCLE_2)
	s_fmamk_f32 s0, s59, 0x4f800000, s0
	s_wait_alu 0xfffe
	v_s_rcp_f32 s0, s0
	s_delay_alu instid0(TRANS32_DEP_1) | instskip(SKIP_1) | instid1(SALU_CYCLE_2)
	s_mul_f32 s0, s0, 0x5f7ffffc
	s_wait_alu 0xfffe
	s_mul_f32 s59, s0, 0x2f800000
	s_wait_alu 0xfffe
	s_delay_alu instid0(SALU_CYCLE_2) | instskip(SKIP_1) | instid1(SALU_CYCLE_2)
	s_trunc_f32 s59, s59
	s_wait_alu 0xfffe
	s_fmamk_f32 s0, s59, 0xcf800000, s0
	s_cvt_u32_f32 s65, s59
	s_wait_alu 0xfffe
	s_delay_alu instid0(SALU_CYCLE_1) | instskip(NEXT) | instid1(SALU_CYCLE_3)
	s_cvt_u32_f32 s64, s0
	s_mul_u64 s[68:69], s[66:67], s[64:65]
	s_delay_alu instid0(SALU_CYCLE_1)
	s_mul_hi_u32 s71, s64, s69
	s_mul_i32 s70, s64, s69
	s_mul_hi_u32 s0, s64, s68
	s_mul_i32 s63, s65, s68
	s_wait_alu 0xfffe
	s_add_nc_u64 s[70:71], s[0:1], s[70:71]
	s_mul_hi_u32 s59, s65, s68
	s_mul_hi_u32 s72, s65, s69
	s_add_co_u32 s0, s70, s63
	s_wait_alu 0xfffe
	s_add_co_ci_u32 s0, s71, s59
	s_mul_i32 s68, s65, s69
	s_add_co_ci_u32 s69, s72, 0
	s_wait_alu 0xfffe
	s_add_nc_u64 s[68:69], s[0:1], s[68:69]
	s_delay_alu instid0(SALU_CYCLE_1) | instskip(SKIP_4) | instid1(SALU_CYCLE_1)
	s_add_co_u32 s64, s64, s68
	s_cselect_b32 s0, -1, 0
	s_wait_alu 0xfffe
	s_cmp_lg_u32 s0, 0
	s_add_co_ci_u32 s65, s65, s69
	s_mul_u64 s[66:67], s[66:67], s[64:65]
	s_delay_alu instid0(SALU_CYCLE_1)
	s_mul_hi_u32 s69, s64, s67
	s_mul_i32 s68, s64, s67
	s_mul_hi_u32 s0, s64, s66
	s_mul_i32 s63, s65, s66
	s_wait_alu 0xfffe
	s_add_nc_u64 s[68:69], s[0:1], s[68:69]
	s_mul_hi_u32 s59, s65, s66
	s_mul_hi_u32 s70, s65, s67
	s_add_co_u32 s0, s68, s63
	s_wait_alu 0xfffe
	s_add_co_ci_u32 s0, s69, s59
	s_mul_i32 s66, s65, s67
	s_add_co_ci_u32 s67, s70, 0
	s_wait_alu 0xfffe
	s_add_nc_u64 s[66:67], s[0:1], s[66:67]
	s_delay_alu instid0(SALU_CYCLE_1)
	s_add_co_u32 s0, s64, s66
	s_cselect_b32 s59, -1, 0
	s_wait_alu 0xfffe
	v_mul_hi_u32 v28, v2, s0
	s_cmp_lg_u32 s59, 0
	v_mad_co_u64_u32 v[23:24], null, v27, s0, 0
	s_add_co_ci_u32 s59, s65, s67
	s_wait_alu 0xfffe
	v_mad_co_u64_u32 v[13:14], null, v2, s59, 0
	v_mad_co_u64_u32 v[25:26], null, v27, s59, 0
	s_delay_alu instid0(VALU_DEP_2) | instskip(SKIP_1) | instid1(VALU_DEP_3)
	v_add_co_u32 v13, vcc_lo, v28, v13
	s_wait_alu 0xfffd
	v_add_co_ci_u32_e64 v14, null, 0, v14, vcc_lo
	s_delay_alu instid0(VALU_DEP_2) | instskip(SKIP_1) | instid1(VALU_DEP_2)
	v_add_co_u32 v13, vcc_lo, v13, v23
	s_wait_alu 0xfffd
	v_add_co_ci_u32_e32 v13, vcc_lo, v14, v24, vcc_lo
	s_wait_alu 0xfffd
	v_add_co_ci_u32_e32 v14, vcc_lo, 0, v26, vcc_lo
	s_delay_alu instid0(VALU_DEP_2) | instskip(SKIP_1) | instid1(VALU_DEP_2)
	v_add_co_u32 v23, vcc_lo, v13, v25
	s_wait_alu 0xfffd
	v_add_co_ci_u32_e64 v24, null, 0, v14, vcc_lo
	s_delay_alu instid0(VALU_DEP_2) | instskip(SKIP_1) | instid1(VALU_DEP_3)
	v_mul_lo_u32 v25, s61, v23
	v_mad_co_u64_u32 v[13:14], null, s60, v23, 0
	v_mul_lo_u32 v26, s60, v24
	s_delay_alu instid0(VALU_DEP_2) | instskip(NEXT) | instid1(VALU_DEP_2)
	v_sub_co_u32 v2, vcc_lo, v2, v13
	v_add3_u32 v14, v14, v26, v25
	s_delay_alu instid0(VALU_DEP_1) | instskip(SKIP_2) | instid1(VALU_DEP_2)
	v_sub_nc_u32_e32 v25, v27, v14
	s_wait_alu 0xfffd
	v_sub_co_ci_u32_e64 v14, null, v27, v14, vcc_lo
	v_subrev_co_ci_u32_e64 v13, null, s61, v25, vcc_lo
	v_add_co_u32 v25, s0, v23, 2
	s_wait_alu 0xf1ff
	v_add_co_ci_u32_e64 v26, null, 0, v24, s0
	v_sub_co_u32 v28, s0, v2, s60
	s_wait_alu 0xf1ff
	v_subrev_co_ci_u32_e64 v13, null, 0, v13, s0
	s_delay_alu instid0(VALU_DEP_2) | instskip(SKIP_2) | instid1(VALU_DEP_3)
	v_cmp_le_u32_e32 vcc_lo, s60, v28
	s_wait_alu 0xfffd
	v_cndmask_b32_e64 v27, 0, -1, vcc_lo
	v_cmp_le_u32_e32 vcc_lo, s61, v13
	s_wait_alu 0xfffd
	v_cndmask_b32_e64 v28, 0, -1, vcc_lo
	;; [unrolled: 3-line block ×4, first 2 shown]
	v_cmp_eq_u32_e32 vcc_lo, s61, v13
	s_wait_alu 0xfffd
	v_cndmask_b32_e32 v13, v28, v27, vcc_lo
	v_add_co_u32 v27, vcc_lo, v23, 1
	s_wait_alu 0xfffd
	v_add_co_ci_u32_e64 v28, null, 0, v24, vcc_lo
	v_cmp_eq_u32_e32 vcc_lo, s61, v14
	v_xor_b32_e32 v14, s58, v31
	s_wait_alu 0xfffd
	v_cndmask_b32_e32 v2, v32, v2, vcc_lo
	v_cmp_ne_u32_e32 vcc_lo, 0, v13
	s_delay_alu instid0(VALU_DEP_2) | instskip(SKIP_3) | instid1(VALU_DEP_1)
	v_cmp_ne_u32_e64 s0, 0, v2
	s_wait_alu 0xfffd
	v_dual_cndmask_b32 v2, v27, v25 :: v_dual_cndmask_b32 v13, v28, v26
	s_wait_alu 0xf1ff
	v_cndmask_b32_e64 v2, v23, v2, s0
	s_delay_alu instid0(VALU_DEP_2) | instskip(NEXT) | instid1(VALU_DEP_2)
	v_cndmask_b32_e64 v13, v24, v13, s0
	v_xor_b32_e32 v2, v2, v14
	s_delay_alu instid0(VALU_DEP_2) | instskip(NEXT) | instid1(VALU_DEP_2)
	v_xor_b32_e32 v13, v13, v14
	v_sub_co_u32 v27, vcc_lo, v2, v14
	s_wait_alu 0xfffd
	s_delay_alu instid0(VALU_DEP_2)
	v_sub_co_ci_u32_e64 v28, null, v13, v14, vcc_lo
.LBB51_33:                              ;   in Loop: Header=BB51_3 Depth=1
	s_wait_alu 0xfffe
	s_or_saveexec_b32 s0, s57
	v_cvt_f32_u32_e32 v37, s34
	s_wait_alu 0xfffe
	s_xor_b32 exec_lo, exec_lo, s0
	s_cbranch_execz .LBB51_35
; %bb.34:                               ;   in Loop: Header=BB51_3 Depth=1
	s_delay_alu instid0(VALU_DEP_1) | instskip(SKIP_2) | instid1(TRANS32_DEP_1)
	v_rcp_iflag_f32_e32 v2, v37
	s_sub_co_i32 s57, 0, s34
	v_mov_b32_e32 v28, v1
	v_mul_f32_e32 v2, 0x4f7ffffe, v2
	s_delay_alu instid0(VALU_DEP_1) | instskip(SKIP_1) | instid1(VALU_DEP_1)
	v_cvt_u32_f32_e32 v2, v2
	s_wait_alu 0xfffe
	v_mul_lo_u32 v13, s57, v2
	s_delay_alu instid0(VALU_DEP_1) | instskip(NEXT) | instid1(VALU_DEP_1)
	v_mul_hi_u32 v13, v2, v13
	v_add_nc_u32_e32 v2, v2, v13
	s_delay_alu instid0(VALU_DEP_1) | instskip(NEXT) | instid1(VALU_DEP_1)
	v_mul_hi_u32 v2, v33, v2
	v_mul_lo_u32 v13, v2, s34
	v_add_nc_u32_e32 v14, 1, v2
	s_delay_alu instid0(VALU_DEP_2) | instskip(NEXT) | instid1(VALU_DEP_1)
	v_sub_nc_u32_e32 v13, v33, v13
	v_subrev_nc_u32_e32 v23, s34, v13
	v_cmp_le_u32_e32 vcc_lo, s34, v13
	s_wait_alu 0xfffd
	s_delay_alu instid0(VALU_DEP_2) | instskip(NEXT) | instid1(VALU_DEP_1)
	v_dual_cndmask_b32 v13, v13, v23 :: v_dual_cndmask_b32 v2, v2, v14
	v_cmp_le_u32_e32 vcc_lo, s34, v13
	s_delay_alu instid0(VALU_DEP_2) | instskip(SKIP_1) | instid1(VALU_DEP_1)
	v_add_nc_u32_e32 v14, 1, v2
	s_wait_alu 0xfffd
	v_cndmask_b32_e32 v27, v2, v14, vcc_lo
.LBB51_35:                              ;   in Loop: Header=BB51_3 Depth=1
	s_or_b32 exec_lo, exec_lo, s0
	s_wait_loadcnt 0x4
	v_add_f64_e64 v[23:24], -v[7:8], 1.0
	s_wait_loadcnt 0x3
	v_fma_f64 v[13:14], -v[15:16], v[15:16], 1.0
	v_mul_lo_u32 v2, v28, s34
	v_mul_lo_u32 v32, v27, s35
	;; [unrolled: 1-line block ×4, first 2 shown]
	s_mov_b32 s0, exec_lo
	s_wait_loadcnt 0x0
	v_mul_f64_e32 v[25:26], v[23:24], v[11:12]
	s_delay_alu instid0(VALU_DEP_1) | instskip(SKIP_1) | instid1(VALU_DEP_2)
	v_mul_f64_e32 v[13:14], v[13:14], v[25:26]
	v_add_f64_e64 v[25:26], -v[5:6], 1.0
	v_mul_f64_e32 v[21:22], v[21:22], v[13:14]
	s_delay_alu instid0(VALU_DEP_1) | instskip(SKIP_2) | instid1(VALU_DEP_2)
	v_mul_f64_e32 v[21:22], v[25:26], v[21:22]
	v_mad_co_u64_u32 v[25:26], null, v27, s34, 0
	v_mad_co_u64_u32 v[27:28], null, v27, s8, 0
	v_add3_u32 v2, v26, v32, v2
	s_delay_alu instid0(VALU_DEP_3) | instskip(NEXT) | instid1(VALU_DEP_3)
	v_sub_co_u32 v25, vcc_lo, v17, v25
	v_add3_u32 v28, v28, v40, v38
	s_wait_alu 0xfffd
	s_delay_alu instid0(VALU_DEP_3) | instskip(NEXT) | instid1(VALU_DEP_3)
	v_sub_co_ci_u32_e64 v2, null, v18, v2, vcc_lo
	v_add_co_u32 v32, vcc_lo, v3, v25
	v_lshlrev_b64_e32 v[25:26], 1, v[9:10]
	s_wait_alu 0xfffd
	s_delay_alu instid0(VALU_DEP_3) | instskip(SKIP_3) | instid1(VALU_DEP_4)
	v_add_co_ci_u32_e64 v2, null, v4, v2, vcc_lo
	v_alignbit_b32 v9, v10, v9, 31
	v_mul_lo_u32 v39, v32, s11
	v_mad_co_u64_u32 v[35:36], null, v32, s10, 0
	v_mul_lo_u32 v2, v2, s10
	s_delay_alu instid0(VALU_DEP_4) | instskip(SKIP_4) | instid1(VALU_DEP_3)
	v_mul_lo_u32 v32, s4, v9
	v_mul_lo_u32 v41, s5, v25
	v_mad_co_u64_u32 v[9:10], null, s4, v25, s[4:5]
	v_lshlrev_b64_e32 v[27:28], 3, v[27:28]
	v_add3_u32 v36, v36, v39, v2
	v_add3_u32 v10, v41, v10, v32
	s_delay_alu instid0(VALU_DEP_2)
	v_lshlrev_b64_e32 v[38:39], 3, v[35:36]
	v_mul_f64_e32 v[21:22], v[5:6], v[21:22]
	v_add_co_u32 v35, vcc_lo, v3, v9
	s_wait_alu 0xfffd
	v_add_co_ci_u32_e64 v36, null, v4, v10, vcc_lo
	v_add_co_u32 v27, vcc_lo, s30, v27
	s_wait_alu 0xfffd
	v_add_co_ci_u32_e64 v28, null, s31, v28, vcc_lo
	s_delay_alu instid0(VALU_DEP_3) | instskip(NEXT) | instid1(VALU_DEP_3)
	v_or_b32_e32 v2, s35, v36
	v_add_co_u32 v27, vcc_lo, v27, v38
	s_wait_alu 0xfffd
	s_delay_alu instid0(VALU_DEP_3)
	v_add_co_ci_u32_e64 v28, null, v28, v39, vcc_lo
	v_ashrrev_i32_e32 v32, 31, v36
	global_store_b64 v[27:28], v[21:22], off
                                        ; implicit-def: $vgpr27_vgpr28
	v_cmpx_ne_u64_e32 0, v[1:2]
	s_wait_alu 0xfffe
	s_xor_b32 s57, exec_lo, s0
	s_cbranch_execz .LBB51_37
; %bb.36:                               ;   in Loop: Header=BB51_3 Depth=1
	s_ashr_i32 s58, s35, 31
	v_add_co_u32 v2, vcc_lo, v35, v32
	s_wait_alu 0xfffe
	s_mov_b32 s59, s58
	s_wait_alu 0xfffd
	v_add_co_ci_u32_e64 v27, null, v36, v32, vcc_lo
	s_wait_alu 0xfffe
	s_add_nc_u64 s[60:61], s[34:35], s[58:59]
	v_xor_b32_e32 v2, v2, v32
	s_wait_alu 0xfffe
	s_xor_b64 s[60:61], s[60:61], s[58:59]
	v_xor_b32_e32 v42, v27, v32
	s_wait_alu 0xfffe
	s_cvt_f32_u32 s0, s60
	s_cvt_f32_u32 s59, s61
	s_sub_nc_u64 s[66:67], 0, s[60:61]
	s_wait_alu 0xfffe
	s_delay_alu instid0(SALU_CYCLE_1) | instskip(SKIP_1) | instid1(SALU_CYCLE_2)
	s_fmamk_f32 s0, s59, 0x4f800000, s0
	s_wait_alu 0xfffe
	v_s_rcp_f32 s0, s0
	s_delay_alu instid0(TRANS32_DEP_1) | instskip(SKIP_1) | instid1(SALU_CYCLE_2)
	s_mul_f32 s0, s0, 0x5f7ffffc
	s_wait_alu 0xfffe
	s_mul_f32 s59, s0, 0x2f800000
	s_wait_alu 0xfffe
	s_delay_alu instid0(SALU_CYCLE_2) | instskip(SKIP_1) | instid1(SALU_CYCLE_2)
	s_trunc_f32 s59, s59
	s_wait_alu 0xfffe
	s_fmamk_f32 s0, s59, 0xcf800000, s0
	s_cvt_u32_f32 s65, s59
	s_wait_alu 0xfffe
	s_delay_alu instid0(SALU_CYCLE_1) | instskip(NEXT) | instid1(SALU_CYCLE_3)
	s_cvt_u32_f32 s64, s0
	s_mul_u64 s[68:69], s[66:67], s[64:65]
	s_delay_alu instid0(SALU_CYCLE_1)
	s_mul_hi_u32 s71, s64, s69
	s_mul_i32 s70, s64, s69
	s_mul_hi_u32 s0, s64, s68
	s_mul_i32 s63, s65, s68
	s_wait_alu 0xfffe
	s_add_nc_u64 s[70:71], s[0:1], s[70:71]
	s_mul_hi_u32 s59, s65, s68
	s_mul_hi_u32 s72, s65, s69
	s_add_co_u32 s0, s70, s63
	s_wait_alu 0xfffe
	s_add_co_ci_u32 s0, s71, s59
	s_mul_i32 s68, s65, s69
	s_add_co_ci_u32 s69, s72, 0
	s_wait_alu 0xfffe
	s_add_nc_u64 s[68:69], s[0:1], s[68:69]
	s_delay_alu instid0(SALU_CYCLE_1) | instskip(SKIP_4) | instid1(SALU_CYCLE_1)
	s_add_co_u32 s64, s64, s68
	s_cselect_b32 s0, -1, 0
	s_wait_alu 0xfffe
	s_cmp_lg_u32 s0, 0
	s_add_co_ci_u32 s65, s65, s69
	s_mul_u64 s[66:67], s[66:67], s[64:65]
	s_delay_alu instid0(SALU_CYCLE_1)
	s_mul_hi_u32 s69, s64, s67
	s_mul_i32 s68, s64, s67
	s_mul_hi_u32 s0, s64, s66
	s_mul_i32 s63, s65, s66
	s_wait_alu 0xfffe
	s_add_nc_u64 s[68:69], s[0:1], s[68:69]
	s_mul_hi_u32 s59, s65, s66
	s_mul_hi_u32 s70, s65, s67
	s_add_co_u32 s0, s68, s63
	s_wait_alu 0xfffe
	s_add_co_ci_u32 s0, s69, s59
	s_mul_i32 s66, s65, s67
	s_add_co_ci_u32 s67, s70, 0
	s_wait_alu 0xfffe
	s_add_nc_u64 s[66:67], s[0:1], s[66:67]
	s_delay_alu instid0(SALU_CYCLE_1)
	s_add_co_u32 s0, s64, s66
	s_cselect_b32 s59, -1, 0
	s_wait_alu 0xfffe
	v_mul_hi_u32 v43, v2, s0
	s_cmp_lg_u32 s59, 0
	v_mad_co_u64_u32 v[38:39], null, v42, s0, 0
	s_add_co_ci_u32 s59, s65, s67
	s_wait_alu 0xfffe
	v_mad_co_u64_u32 v[27:28], null, v2, s59, 0
	v_mad_co_u64_u32 v[40:41], null, v42, s59, 0
	s_delay_alu instid0(VALU_DEP_2) | instskip(SKIP_1) | instid1(VALU_DEP_3)
	v_add_co_u32 v27, vcc_lo, v43, v27
	s_wait_alu 0xfffd
	v_add_co_ci_u32_e64 v28, null, 0, v28, vcc_lo
	s_delay_alu instid0(VALU_DEP_2) | instskip(SKIP_1) | instid1(VALU_DEP_2)
	v_add_co_u32 v27, vcc_lo, v27, v38
	s_wait_alu 0xfffd
	v_add_co_ci_u32_e32 v27, vcc_lo, v28, v39, vcc_lo
	s_wait_alu 0xfffd
	v_add_co_ci_u32_e32 v28, vcc_lo, 0, v41, vcc_lo
	s_delay_alu instid0(VALU_DEP_2) | instskip(SKIP_1) | instid1(VALU_DEP_2)
	v_add_co_u32 v38, vcc_lo, v27, v40
	s_wait_alu 0xfffd
	v_add_co_ci_u32_e64 v39, null, 0, v28, vcc_lo
	s_delay_alu instid0(VALU_DEP_2) | instskip(SKIP_1) | instid1(VALU_DEP_3)
	v_mul_lo_u32 v40, s61, v38
	v_mad_co_u64_u32 v[27:28], null, s60, v38, 0
	v_mul_lo_u32 v41, s60, v39
	s_delay_alu instid0(VALU_DEP_2) | instskip(NEXT) | instid1(VALU_DEP_2)
	v_sub_co_u32 v2, vcc_lo, v2, v27
	v_add3_u32 v28, v28, v41, v40
	s_delay_alu instid0(VALU_DEP_1) | instskip(SKIP_2) | instid1(VALU_DEP_2)
	v_sub_nc_u32_e32 v40, v42, v28
	s_wait_alu 0xfffd
	v_sub_co_ci_u32_e64 v28, null, v42, v28, vcc_lo
	v_subrev_co_ci_u32_e64 v27, null, s61, v40, vcc_lo
	v_add_co_u32 v40, s0, v38, 2
	s_wait_alu 0xf1ff
	v_add_co_ci_u32_e64 v41, null, 0, v39, s0
	v_sub_co_u32 v43, s0, v2, s60
	s_wait_alu 0xf1ff
	v_subrev_co_ci_u32_e64 v27, null, 0, v27, s0
	s_delay_alu instid0(VALU_DEP_2) | instskip(SKIP_2) | instid1(VALU_DEP_3)
	v_cmp_le_u32_e32 vcc_lo, s60, v43
	s_wait_alu 0xfffd
	v_cndmask_b32_e64 v42, 0, -1, vcc_lo
	v_cmp_le_u32_e32 vcc_lo, s61, v27
	s_wait_alu 0xfffd
	v_cndmask_b32_e64 v43, 0, -1, vcc_lo
	;; [unrolled: 3-line block ×4, first 2 shown]
	v_cmp_eq_u32_e32 vcc_lo, s61, v27
	s_wait_alu 0xfffd
	v_cndmask_b32_e32 v27, v43, v42, vcc_lo
	v_add_co_u32 v42, vcc_lo, v38, 1
	s_wait_alu 0xfffd
	v_add_co_ci_u32_e64 v43, null, 0, v39, vcc_lo
	v_cmp_eq_u32_e32 vcc_lo, s61, v28
	v_xor_b32_e32 v28, s58, v32
	s_wait_alu 0xfffd
	v_cndmask_b32_e32 v2, v44, v2, vcc_lo
	v_cmp_ne_u32_e32 vcc_lo, 0, v27
	s_wait_alu 0xfffd
	v_cndmask_b32_e32 v27, v43, v41, vcc_lo
	s_delay_alu instid0(VALU_DEP_3) | instskip(SKIP_2) | instid1(VALU_DEP_2)
	v_cmp_ne_u32_e64 s0, 0, v2
	v_cndmask_b32_e32 v2, v42, v40, vcc_lo
	s_wait_alu 0xf1ff
	v_cndmask_b32_e64 v27, v39, v27, s0
	s_delay_alu instid0(VALU_DEP_2) | instskip(NEXT) | instid1(VALU_DEP_2)
	v_cndmask_b32_e64 v2, v38, v2, s0
	v_xor_b32_e32 v38, v27, v28
	s_delay_alu instid0(VALU_DEP_2) | instskip(NEXT) | instid1(VALU_DEP_1)
	v_xor_b32_e32 v2, v2, v28
	v_sub_co_u32 v27, vcc_lo, v2, v28
	s_wait_alu 0xfffd
	s_delay_alu instid0(VALU_DEP_3)
	v_sub_co_ci_u32_e64 v28, null, v38, v28, vcc_lo
.LBB51_37:                              ;   in Loop: Header=BB51_3 Depth=1
	s_wait_alu 0xfffe
	s_and_not1_saveexec_b32 s0, s57
	s_cbranch_execz .LBB51_39
; %bb.38:                               ;   in Loop: Header=BB51_3 Depth=1
	v_rcp_iflag_f32_e32 v2, v37
	s_sub_co_i32 s57, 0, s34
	s_delay_alu instid0(TRANS32_DEP_1) | instskip(NEXT) | instid1(VALU_DEP_1)
	v_mul_f32_e32 v2, 0x4f7ffffe, v2
	v_cvt_u32_f32_e32 v2, v2
	s_wait_alu 0xfffe
	s_delay_alu instid0(VALU_DEP_1) | instskip(NEXT) | instid1(VALU_DEP_1)
	v_mul_lo_u32 v27, s57, v2
	v_mul_hi_u32 v27, v2, v27
	s_delay_alu instid0(VALU_DEP_1) | instskip(NEXT) | instid1(VALU_DEP_1)
	v_add_nc_u32_e32 v2, v2, v27
	v_mul_hi_u32 v2, v35, v2
	s_delay_alu instid0(VALU_DEP_1) | instskip(SKIP_1) | instid1(VALU_DEP_2)
	v_mul_lo_u32 v27, v2, s34
	v_add_nc_u32_e32 v28, 1, v2
	v_sub_nc_u32_e32 v27, v35, v27
	s_delay_alu instid0(VALU_DEP_1) | instskip(SKIP_2) | instid1(VALU_DEP_2)
	v_subrev_nc_u32_e32 v38, s34, v27
	v_cmp_le_u32_e32 vcc_lo, s34, v27
	s_wait_alu 0xfffd
	v_dual_cndmask_b32 v27, v27, v38 :: v_dual_cndmask_b32 v2, v2, v28
	s_delay_alu instid0(VALU_DEP_1) | instskip(NEXT) | instid1(VALU_DEP_2)
	v_cmp_le_u32_e32 vcc_lo, s34, v27
	v_add_nc_u32_e32 v28, 1, v2
	s_wait_alu 0xfffd
	s_delay_alu instid0(VALU_DEP_1)
	v_dual_cndmask_b32 v27, v2, v28 :: v_dual_mov_b32 v28, v1
.LBB51_39:                              ;   in Loop: Header=BB51_3 Depth=1
	s_wait_alu 0xfffe
	s_or_b32 exec_lo, exec_lo, s0
	v_add_f64_e64 v[15:16], v[19:20], -v[15:16]
	s_delay_alu instid0(VALU_DEP_2) | instskip(SKIP_4) | instid1(VALU_DEP_3)
	v_mul_lo_u32 v2, v28, s34
	v_mad_co_u64_u32 v[19:20], null, v27, s34, 0
	v_mul_lo_u32 v28, v28, s8
	v_mul_lo_u32 v39, v27, s9
	s_mov_b32 s0, exec_lo
	v_sub_co_u32 v19, vcc_lo, v9, v19
	v_mul_f64_e32 v[15:16], v[15:16], v[11:12]
	s_delay_alu instid0(VALU_DEP_1) | instskip(SKIP_1) | instid1(VALU_DEP_1)
	v_mul_f64_e32 v[15:16], v[23:24], v[15:16]
	v_mul_lo_u32 v23, v27, s35
	v_add3_u32 v2, v20, v23, v2
	v_mad_co_u64_u32 v[23:24], null, v27, s8, 0
	s_wait_alu 0xfffd
	s_delay_alu instid0(VALU_DEP_2) | instskip(SKIP_1) | instid1(VALU_DEP_3)
	v_sub_co_ci_u32_e64 v2, null, v10, v2, vcc_lo
	v_add_co_u32 v38, vcc_lo, v3, v19
	v_add3_u32 v24, v24, v39, v28
	s_wait_alu 0xfffd
	s_delay_alu instid0(VALU_DEP_3) | instskip(NEXT) | instid1(VALU_DEP_3)
	v_add_co_ci_u32_e64 v2, null, v4, v2, vcc_lo
	v_mul_lo_u32 v40, v38, s11
	s_delay_alu instid0(VALU_DEP_3) | instskip(NEXT) | instid1(VALU_DEP_3)
	v_lshlrev_b64_e32 v[23:24], 3, v[23:24]
	v_mul_lo_u32 v2, v2, s10
	v_mul_f64_e32 v[19:20], v[7:8], v[15:16]
	v_add_co_u32 v15, vcc_lo, v25, 2
	s_wait_alu 0xfffd
	v_add_co_ci_u32_e64 v16, null, 0, v26, vcc_lo
	v_mad_co_u64_u32 v[25:26], null, v38, s10, 0
	s_delay_alu instid0(VALU_DEP_3) | instskip(NEXT) | instid1(VALU_DEP_3)
	v_mul_lo_u32 v27, s5, v15
	v_mul_lo_u32 v38, s4, v16
	v_mad_co_u64_u32 v[15:16], null, s4, v15, 0
	s_delay_alu instid0(VALU_DEP_4) | instskip(NEXT) | instid1(VALU_DEP_2)
	v_add3_u32 v26, v26, v40, v2
	v_add3_u32 v16, v16, v38, v27
	s_delay_alu instid0(VALU_DEP_2) | instskip(NEXT) | instid1(VALU_DEP_4)
	v_lshlrev_b64_e32 v[38:39], 3, v[25:26]
	v_add_co_u32 v26, vcc_lo, v3, v15
	s_wait_alu 0xfffd
	s_delay_alu instid0(VALU_DEP_3) | instskip(SKIP_3) | instid1(VALU_DEP_3)
	v_add_co_ci_u32_e64 v27, null, v4, v16, vcc_lo
	v_add_co_u32 v23, vcc_lo, s30, v23
	s_wait_alu 0xfffd
	v_add_co_ci_u32_e64 v24, null, s31, v24, vcc_lo
	v_or_b32_e32 v2, s35, v27
	s_delay_alu instid0(VALU_DEP_3) | instskip(SKIP_1) | instid1(VALU_DEP_3)
	v_add_co_u32 v23, vcc_lo, v23, v38
	s_wait_alu 0xfffd
	v_add_co_ci_u32_e64 v24, null, v24, v39, vcc_lo
	v_ashrrev_i32_e32 v25, 31, v27
	global_store_b64 v[23:24], v[19:20], off
                                        ; implicit-def: $vgpr23_vgpr24
	v_cmpx_ne_u64_e32 0, v[1:2]
	s_wait_alu 0xfffe
	s_xor_b32 s57, exec_lo, s0
	s_cbranch_execz .LBB51_41
; %bb.40:                               ;   in Loop: Header=BB51_3 Depth=1
	s_ashr_i32 s58, s35, 31
	v_add_co_u32 v2, vcc_lo, v26, v25
	s_wait_alu 0xfffe
	s_mov_b32 s59, s58
	s_wait_alu 0xfffd
	v_add_co_ci_u32_e64 v23, null, v27, v25, vcc_lo
	s_wait_alu 0xfffe
	s_add_nc_u64 s[60:61], s[34:35], s[58:59]
	v_xor_b32_e32 v2, v2, v25
	s_wait_alu 0xfffe
	s_xor_b64 s[60:61], s[60:61], s[58:59]
	v_xor_b32_e32 v28, v23, v25
	s_wait_alu 0xfffe
	s_cvt_f32_u32 s0, s60
	s_cvt_f32_u32 s59, s61
	s_sub_nc_u64 s[66:67], 0, s[60:61]
	s_wait_alu 0xfffe
	s_delay_alu instid0(SALU_CYCLE_1) | instskip(SKIP_1) | instid1(SALU_CYCLE_2)
	s_fmamk_f32 s0, s59, 0x4f800000, s0
	s_wait_alu 0xfffe
	v_s_rcp_f32 s0, s0
	s_delay_alu instid0(TRANS32_DEP_1) | instskip(SKIP_1) | instid1(SALU_CYCLE_2)
	s_mul_f32 s0, s0, 0x5f7ffffc
	s_wait_alu 0xfffe
	s_mul_f32 s59, s0, 0x2f800000
	s_wait_alu 0xfffe
	s_delay_alu instid0(SALU_CYCLE_2) | instskip(SKIP_1) | instid1(SALU_CYCLE_2)
	s_trunc_f32 s59, s59
	s_wait_alu 0xfffe
	s_fmamk_f32 s0, s59, 0xcf800000, s0
	s_cvt_u32_f32 s65, s59
	s_wait_alu 0xfffe
	s_delay_alu instid0(SALU_CYCLE_1) | instskip(NEXT) | instid1(SALU_CYCLE_3)
	s_cvt_u32_f32 s64, s0
	s_mul_u64 s[68:69], s[66:67], s[64:65]
	s_delay_alu instid0(SALU_CYCLE_1)
	s_mul_hi_u32 s71, s64, s69
	s_mul_i32 s70, s64, s69
	s_mul_hi_u32 s0, s64, s68
	s_mul_i32 s63, s65, s68
	s_wait_alu 0xfffe
	s_add_nc_u64 s[70:71], s[0:1], s[70:71]
	s_mul_hi_u32 s59, s65, s68
	s_mul_hi_u32 s72, s65, s69
	s_add_co_u32 s0, s70, s63
	s_wait_alu 0xfffe
	s_add_co_ci_u32 s0, s71, s59
	s_mul_i32 s68, s65, s69
	s_add_co_ci_u32 s69, s72, 0
	s_wait_alu 0xfffe
	s_add_nc_u64 s[68:69], s[0:1], s[68:69]
	s_delay_alu instid0(SALU_CYCLE_1) | instskip(SKIP_4) | instid1(SALU_CYCLE_1)
	s_add_co_u32 s64, s64, s68
	s_cselect_b32 s0, -1, 0
	s_wait_alu 0xfffe
	s_cmp_lg_u32 s0, 0
	s_add_co_ci_u32 s65, s65, s69
	s_mul_u64 s[66:67], s[66:67], s[64:65]
	s_delay_alu instid0(SALU_CYCLE_1)
	s_mul_hi_u32 s69, s64, s67
	s_mul_i32 s68, s64, s67
	s_mul_hi_u32 s0, s64, s66
	s_mul_i32 s63, s65, s66
	s_wait_alu 0xfffe
	s_add_nc_u64 s[68:69], s[0:1], s[68:69]
	s_mul_hi_u32 s59, s65, s66
	s_mul_hi_u32 s70, s65, s67
	s_add_co_u32 s0, s68, s63
	s_wait_alu 0xfffe
	s_add_co_ci_u32 s0, s69, s59
	s_mul_i32 s66, s65, s67
	s_add_co_ci_u32 s67, s70, 0
	s_wait_alu 0xfffe
	s_add_nc_u64 s[66:67], s[0:1], s[66:67]
	s_delay_alu instid0(SALU_CYCLE_1)
	s_add_co_u32 s0, s64, s66
	s_cselect_b32 s59, -1, 0
	s_wait_alu 0xfffe
	v_mul_hi_u32 v41, v2, s0
	s_cmp_lg_u32 s59, 0
	v_mad_co_u64_u32 v[37:38], null, v28, s0, 0
	s_add_co_ci_u32 s59, s65, s67
	s_wait_alu 0xfffe
	v_mad_co_u64_u32 v[23:24], null, v2, s59, 0
	v_mad_co_u64_u32 v[39:40], null, v28, s59, 0
	s_delay_alu instid0(VALU_DEP_2) | instskip(SKIP_1) | instid1(VALU_DEP_3)
	v_add_co_u32 v23, vcc_lo, v41, v23
	s_wait_alu 0xfffd
	v_add_co_ci_u32_e64 v24, null, 0, v24, vcc_lo
	s_delay_alu instid0(VALU_DEP_2) | instskip(SKIP_1) | instid1(VALU_DEP_2)
	v_add_co_u32 v23, vcc_lo, v23, v37
	s_wait_alu 0xfffd
	v_add_co_ci_u32_e32 v23, vcc_lo, v24, v38, vcc_lo
	s_wait_alu 0xfffd
	v_add_co_ci_u32_e32 v24, vcc_lo, 0, v40, vcc_lo
	s_delay_alu instid0(VALU_DEP_2) | instskip(SKIP_1) | instid1(VALU_DEP_2)
	v_add_co_u32 v37, vcc_lo, v23, v39
	s_wait_alu 0xfffd
	v_add_co_ci_u32_e64 v38, null, 0, v24, vcc_lo
	s_delay_alu instid0(VALU_DEP_2) | instskip(SKIP_1) | instid1(VALU_DEP_3)
	v_mul_lo_u32 v39, s61, v37
	v_mad_co_u64_u32 v[23:24], null, s60, v37, 0
	v_mul_lo_u32 v40, s60, v38
	s_delay_alu instid0(VALU_DEP_2) | instskip(NEXT) | instid1(VALU_DEP_2)
	v_sub_co_u32 v2, vcc_lo, v2, v23
	v_add3_u32 v24, v24, v40, v39
	s_delay_alu instid0(VALU_DEP_1) | instskip(SKIP_2) | instid1(VALU_DEP_2)
	v_sub_nc_u32_e32 v39, v28, v24
	s_wait_alu 0xfffd
	v_sub_co_ci_u32_e64 v24, null, v28, v24, vcc_lo
	v_subrev_co_ci_u32_e64 v23, null, s61, v39, vcc_lo
	v_add_co_u32 v39, s0, v37, 2
	s_wait_alu 0xf1ff
	v_add_co_ci_u32_e64 v40, null, 0, v38, s0
	v_sub_co_u32 v41, s0, v2, s60
	s_wait_alu 0xf1ff
	v_subrev_co_ci_u32_e64 v23, null, 0, v23, s0
	s_delay_alu instid0(VALU_DEP_2) | instskip(SKIP_2) | instid1(VALU_DEP_3)
	v_cmp_le_u32_e32 vcc_lo, s60, v41
	s_wait_alu 0xfffd
	v_cndmask_b32_e64 v28, 0, -1, vcc_lo
	v_cmp_le_u32_e32 vcc_lo, s61, v23
	s_wait_alu 0xfffd
	v_cndmask_b32_e64 v41, 0, -1, vcc_lo
	;; [unrolled: 3-line block ×4, first 2 shown]
	v_cmp_eq_u32_e32 vcc_lo, s61, v23
	s_wait_alu 0xfffd
	v_cndmask_b32_e32 v23, v41, v28, vcc_lo
	v_add_co_u32 v28, vcc_lo, v37, 1
	s_wait_alu 0xfffd
	v_add_co_ci_u32_e64 v41, null, 0, v38, vcc_lo
	v_cmp_eq_u32_e32 vcc_lo, s61, v24
	v_xor_b32_e32 v24, s58, v25
	s_wait_alu 0xfffd
	v_cndmask_b32_e32 v2, v42, v2, vcc_lo
	v_cmp_ne_u32_e32 vcc_lo, 0, v23
	s_delay_alu instid0(VALU_DEP_2) | instskip(SKIP_3) | instid1(VALU_DEP_1)
	v_cmp_ne_u32_e64 s0, 0, v2
	s_wait_alu 0xfffd
	v_dual_cndmask_b32 v23, v41, v40 :: v_dual_cndmask_b32 v2, v28, v39
	s_wait_alu 0xf1ff
	v_cndmask_b32_e64 v23, v38, v23, s0
	s_delay_alu instid0(VALU_DEP_2) | instskip(NEXT) | instid1(VALU_DEP_2)
	v_cndmask_b32_e64 v2, v37, v2, s0
                                        ; implicit-def: $vgpr37
	v_xor_b32_e32 v28, v23, v24
	s_delay_alu instid0(VALU_DEP_2) | instskip(NEXT) | instid1(VALU_DEP_1)
	v_xor_b32_e32 v2, v2, v24
	v_sub_co_u32 v23, vcc_lo, v2, v24
	s_wait_alu 0xfffd
	s_delay_alu instid0(VALU_DEP_3)
	v_sub_co_ci_u32_e64 v24, null, v28, v24, vcc_lo
.LBB51_41:                              ;   in Loop: Header=BB51_3 Depth=1
	s_wait_alu 0xfffe
	s_and_not1_saveexec_b32 s0, s57
	s_cbranch_execz .LBB51_43
; %bb.42:                               ;   in Loop: Header=BB51_3 Depth=1
	v_rcp_iflag_f32_e32 v2, v37
	s_sub_co_i32 s57, 0, s34
	s_delay_alu instid0(TRANS32_DEP_1) | instskip(NEXT) | instid1(VALU_DEP_1)
	v_mul_f32_e32 v2, 0x4f7ffffe, v2
	v_cvt_u32_f32_e32 v2, v2
	s_wait_alu 0xfffe
	s_delay_alu instid0(VALU_DEP_1) | instskip(NEXT) | instid1(VALU_DEP_1)
	v_mul_lo_u32 v23, s57, v2
	v_mul_hi_u32 v23, v2, v23
	s_delay_alu instid0(VALU_DEP_1) | instskip(NEXT) | instid1(VALU_DEP_1)
	v_add_nc_u32_e32 v2, v2, v23
	v_mul_hi_u32 v2, v26, v2
	s_delay_alu instid0(VALU_DEP_1) | instskip(SKIP_1) | instid1(VALU_DEP_2)
	v_mul_lo_u32 v23, v2, s34
	v_add_nc_u32_e32 v24, 1, v2
	v_sub_nc_u32_e32 v23, v26, v23
	s_delay_alu instid0(VALU_DEP_1) | instskip(SKIP_2) | instid1(VALU_DEP_2)
	v_subrev_nc_u32_e32 v28, s34, v23
	v_cmp_le_u32_e32 vcc_lo, s34, v23
	s_wait_alu 0xfffd
	v_cndmask_b32_e32 v23, v23, v28, vcc_lo
	v_cndmask_b32_e32 v2, v2, v24, vcc_lo
	s_delay_alu instid0(VALU_DEP_2) | instskip(NEXT) | instid1(VALU_DEP_2)
	v_cmp_le_u32_e32 vcc_lo, s34, v23
	v_add_nc_u32_e32 v24, 1, v2
	s_wait_alu 0xfffd
	s_delay_alu instid0(VALU_DEP_1)
	v_dual_cndmask_b32 v23, v2, v24 :: v_dual_mov_b32 v24, v1
.LBB51_43:                              ;   in Loop: Header=BB51_3 Depth=1
	s_wait_alu 0xfffe
	s_or_b32 exec_lo, exec_lo, s0
	s_delay_alu instid0(VALU_DEP_1) | instskip(NEXT) | instid1(VALU_DEP_2)
	v_mul_lo_u32 v2, v24, s34
	v_mul_lo_u32 v28, v23, s35
	v_mad_co_u64_u32 v[37:38], null, v23, s34, 0
	v_mul_lo_u32 v39, v23, s9
	s_mov_b32 s0, exec_lo
	s_delay_alu instid0(VALU_DEP_2) | instskip(SKIP_1) | instid1(VALU_DEP_4)
	v_add3_u32 v2, v38, v28, v2
	v_mul_lo_u32 v28, v24, s8
	v_sub_co_u32 v24, vcc_lo, v15, v37
	s_wait_alu 0xfffd
	s_delay_alu instid0(VALU_DEP_3) | instskip(NEXT) | instid1(VALU_DEP_2)
	v_sub_co_ci_u32_e64 v2, null, v16, v2, vcc_lo
	v_add_co_u32 v37, vcc_lo, v3, v24
	v_mad_co_u64_u32 v[23:24], null, v23, s8, 0
	s_wait_alu 0xfffd
	s_delay_alu instid0(VALU_DEP_3) | instskip(NEXT) | instid1(VALU_DEP_3)
	v_add_co_ci_u32_e64 v2, null, v4, v2, vcc_lo
	v_mul_lo_u32 v40, v37, s11
	v_mad_co_u64_u32 v[37:38], null, v37, s10, 0
	s_delay_alu instid0(VALU_DEP_3) | instskip(SKIP_1) | instid1(VALU_DEP_1)
	v_mul_lo_u32 v2, v2, s10
	v_add3_u32 v24, v24, v39, v28
	v_lshlrev_b64_e32 v[23:24], 3, v[23:24]
	s_delay_alu instid0(VALU_DEP_3) | instskip(SKIP_1) | instid1(VALU_DEP_3)
	v_add3_u32 v38, v38, v40, v2
	v_or_b32_e32 v2, s39, v34
	v_add_co_u32 v23, vcc_lo, s30, v23
	s_delay_alu instid0(VALU_DEP_3) | instskip(SKIP_2) | instid1(VALU_DEP_2)
	v_lshlrev_b64_e32 v[37:38], 3, v[37:38]
	s_wait_alu 0xfffd
	v_add_co_ci_u32_e64 v24, null, s31, v24, vcc_lo
	v_add_co_u32 v23, vcc_lo, v23, v37
	s_wait_alu 0xfffd
	s_delay_alu instid0(VALU_DEP_2)
	v_add_co_ci_u32_e64 v24, null, v24, v38, vcc_lo
	global_store_b64 v[23:24], v[13:14], off
                                        ; implicit-def: $vgpr23_vgpr24
	v_cmpx_ne_u64_e32 0, v[1:2]
	s_wait_alu 0xfffe
	s_xor_b32 s57, exec_lo, s0
	s_cbranch_execz .LBB51_45
; %bb.44:                               ;   in Loop: Header=BB51_3 Depth=1
	s_ashr_i32 s58, s39, 31
	v_add_co_u32 v2, vcc_lo, v33, v31
	s_wait_alu 0xfffe
	s_mov_b32 s59, s58
	s_wait_alu 0xfffd
	v_add_co_ci_u32_e64 v23, null, v34, v31, vcc_lo
	s_wait_alu 0xfffe
	s_add_nc_u64 s[60:61], s[38:39], s[58:59]
	v_xor_b32_e32 v2, v2, v31
	s_wait_alu 0xfffe
	s_xor_b64 s[60:61], s[60:61], s[58:59]
	v_xor_b32_e32 v28, v23, v31
	s_wait_alu 0xfffe
	s_cvt_f32_u32 s0, s60
	s_cvt_f32_u32 s59, s61
	s_sub_nc_u64 s[66:67], 0, s[60:61]
	s_wait_alu 0xfffe
	s_delay_alu instid0(SALU_CYCLE_1) | instskip(SKIP_1) | instid1(SALU_CYCLE_2)
	s_fmamk_f32 s0, s59, 0x4f800000, s0
	s_wait_alu 0xfffe
	v_s_rcp_f32 s0, s0
	s_delay_alu instid0(TRANS32_DEP_1) | instskip(SKIP_1) | instid1(SALU_CYCLE_2)
	s_mul_f32 s0, s0, 0x5f7ffffc
	s_wait_alu 0xfffe
	s_mul_f32 s59, s0, 0x2f800000
	s_wait_alu 0xfffe
	s_delay_alu instid0(SALU_CYCLE_2) | instskip(SKIP_1) | instid1(SALU_CYCLE_2)
	s_trunc_f32 s59, s59
	s_wait_alu 0xfffe
	s_fmamk_f32 s0, s59, 0xcf800000, s0
	s_cvt_u32_f32 s65, s59
	s_wait_alu 0xfffe
	s_delay_alu instid0(SALU_CYCLE_1) | instskip(NEXT) | instid1(SALU_CYCLE_3)
	s_cvt_u32_f32 s64, s0
	s_mul_u64 s[68:69], s[66:67], s[64:65]
	s_delay_alu instid0(SALU_CYCLE_1)
	s_mul_hi_u32 s71, s64, s69
	s_mul_i32 s70, s64, s69
	s_mul_hi_u32 s0, s64, s68
	s_mul_i32 s63, s65, s68
	s_wait_alu 0xfffe
	s_add_nc_u64 s[70:71], s[0:1], s[70:71]
	s_mul_hi_u32 s59, s65, s68
	s_mul_hi_u32 s72, s65, s69
	s_add_co_u32 s0, s70, s63
	s_wait_alu 0xfffe
	s_add_co_ci_u32 s0, s71, s59
	s_mul_i32 s68, s65, s69
	s_add_co_ci_u32 s69, s72, 0
	s_wait_alu 0xfffe
	s_add_nc_u64 s[68:69], s[0:1], s[68:69]
	s_delay_alu instid0(SALU_CYCLE_1) | instskip(SKIP_4) | instid1(SALU_CYCLE_1)
	s_add_co_u32 s64, s64, s68
	s_cselect_b32 s0, -1, 0
	s_wait_alu 0xfffe
	s_cmp_lg_u32 s0, 0
	s_add_co_ci_u32 s65, s65, s69
	s_mul_u64 s[66:67], s[66:67], s[64:65]
	s_delay_alu instid0(SALU_CYCLE_1)
	s_mul_hi_u32 s69, s64, s67
	s_mul_i32 s68, s64, s67
	s_mul_hi_u32 s0, s64, s66
	s_mul_i32 s63, s65, s66
	s_wait_alu 0xfffe
	s_add_nc_u64 s[68:69], s[0:1], s[68:69]
	s_mul_hi_u32 s59, s65, s66
	s_mul_hi_u32 s70, s65, s67
	s_add_co_u32 s0, s68, s63
	s_wait_alu 0xfffe
	s_add_co_ci_u32 s0, s69, s59
	s_mul_i32 s66, s65, s67
	s_add_co_ci_u32 s67, s70, 0
	s_wait_alu 0xfffe
	s_add_nc_u64 s[66:67], s[0:1], s[66:67]
	s_delay_alu instid0(SALU_CYCLE_1)
	s_add_co_u32 s0, s64, s66
	s_cselect_b32 s59, -1, 0
	s_wait_alu 0xfffe
	v_mul_hi_u32 v39, v2, s0
	s_cmp_lg_u32 s59, 0
	v_mad_co_u64_u32 v[33:34], null, v28, s0, 0
	s_add_co_ci_u32 s59, s65, s67
	s_wait_alu 0xfffe
	v_mad_co_u64_u32 v[23:24], null, v2, s59, 0
	v_mad_co_u64_u32 v[37:38], null, v28, s59, 0
	s_delay_alu instid0(VALU_DEP_2) | instskip(SKIP_1) | instid1(VALU_DEP_3)
	v_add_co_u32 v23, vcc_lo, v39, v23
	s_wait_alu 0xfffd
	v_add_co_ci_u32_e64 v24, null, 0, v24, vcc_lo
	s_delay_alu instid0(VALU_DEP_2) | instskip(SKIP_1) | instid1(VALU_DEP_2)
	v_add_co_u32 v23, vcc_lo, v23, v33
	s_wait_alu 0xfffd
	v_add_co_ci_u32_e32 v23, vcc_lo, v24, v34, vcc_lo
	s_wait_alu 0xfffd
	v_add_co_ci_u32_e32 v24, vcc_lo, 0, v38, vcc_lo
	s_delay_alu instid0(VALU_DEP_2) | instskip(SKIP_1) | instid1(VALU_DEP_2)
	v_add_co_u32 v33, vcc_lo, v23, v37
	s_wait_alu 0xfffd
	v_add_co_ci_u32_e64 v34, null, 0, v24, vcc_lo
	s_delay_alu instid0(VALU_DEP_2) | instskip(SKIP_1) | instid1(VALU_DEP_3)
	v_mul_lo_u32 v37, s61, v33
	v_mad_co_u64_u32 v[23:24], null, s60, v33, 0
	v_mul_lo_u32 v38, s60, v34
	s_delay_alu instid0(VALU_DEP_2) | instskip(NEXT) | instid1(VALU_DEP_2)
	v_sub_co_u32 v2, vcc_lo, v2, v23
	v_add3_u32 v24, v24, v38, v37
	s_delay_alu instid0(VALU_DEP_1) | instskip(SKIP_2) | instid1(VALU_DEP_2)
	v_sub_nc_u32_e32 v37, v28, v24
	s_wait_alu 0xfffd
	v_sub_co_ci_u32_e64 v24, null, v28, v24, vcc_lo
	v_subrev_co_ci_u32_e64 v23, null, s61, v37, vcc_lo
	v_add_co_u32 v37, s0, v33, 2
	s_wait_alu 0xf1ff
	v_add_co_ci_u32_e64 v38, null, 0, v34, s0
	v_sub_co_u32 v39, s0, v2, s60
	s_wait_alu 0xf1ff
	v_subrev_co_ci_u32_e64 v23, null, 0, v23, s0
	s_delay_alu instid0(VALU_DEP_2) | instskip(SKIP_2) | instid1(VALU_DEP_3)
	v_cmp_le_u32_e32 vcc_lo, s60, v39
	s_wait_alu 0xfffd
	v_cndmask_b32_e64 v28, 0, -1, vcc_lo
	v_cmp_le_u32_e32 vcc_lo, s61, v23
	s_wait_alu 0xfffd
	v_cndmask_b32_e64 v39, 0, -1, vcc_lo
	;; [unrolled: 3-line block ×4, first 2 shown]
	v_cmp_eq_u32_e32 vcc_lo, s61, v23
	s_wait_alu 0xfffd
	v_cndmask_b32_e32 v23, v39, v28, vcc_lo
	v_add_co_u32 v28, vcc_lo, v33, 1
	s_wait_alu 0xfffd
	v_add_co_ci_u32_e64 v39, null, 0, v34, vcc_lo
	v_cmp_eq_u32_e32 vcc_lo, s61, v24
	v_xor_b32_e32 v24, s58, v31
	s_wait_alu 0xfffd
	v_cndmask_b32_e32 v2, v40, v2, vcc_lo
	v_cmp_ne_u32_e32 vcc_lo, 0, v23
	s_delay_alu instid0(VALU_DEP_2) | instskip(SKIP_3) | instid1(VALU_DEP_1)
	v_cmp_ne_u32_e64 s0, 0, v2
	s_wait_alu 0xfffd
	v_dual_cndmask_b32 v23, v39, v38 :: v_dual_cndmask_b32 v2, v28, v37
	s_wait_alu 0xf1ff
	v_cndmask_b32_e64 v23, v34, v23, s0
	s_delay_alu instid0(VALU_DEP_2) | instskip(NEXT) | instid1(VALU_DEP_2)
	v_cndmask_b32_e64 v2, v33, v2, s0
                                        ; implicit-def: $vgpr33
	v_xor_b32_e32 v28, v23, v24
	s_delay_alu instid0(VALU_DEP_2) | instskip(NEXT) | instid1(VALU_DEP_1)
	v_xor_b32_e32 v2, v2, v24
	v_sub_co_u32 v23, vcc_lo, v2, v24
	s_wait_alu 0xfffd
	s_delay_alu instid0(VALU_DEP_3)
	v_sub_co_ci_u32_e64 v24, null, v28, v24, vcc_lo
.LBB51_45:                              ;   in Loop: Header=BB51_3 Depth=1
	s_wait_alu 0xfffe
	s_or_saveexec_b32 s0, s57
	v_cvt_f32_u32_e32 v28, s38
	s_wait_alu 0xfffe
	s_xor_b32 exec_lo, exec_lo, s0
	s_cbranch_execz .LBB51_47
; %bb.46:                               ;   in Loop: Header=BB51_3 Depth=1
	s_delay_alu instid0(VALU_DEP_1) | instskip(SKIP_1) | instid1(TRANS32_DEP_1)
	v_rcp_iflag_f32_e32 v2, v28
	s_sub_co_i32 s57, 0, s38
	v_mul_f32_e32 v2, 0x4f7ffffe, v2
	s_delay_alu instid0(VALU_DEP_1) | instskip(SKIP_1) | instid1(VALU_DEP_1)
	v_cvt_u32_f32_e32 v2, v2
	s_wait_alu 0xfffe
	v_mul_lo_u32 v23, s57, v2
	s_delay_alu instid0(VALU_DEP_1) | instskip(NEXT) | instid1(VALU_DEP_1)
	v_mul_hi_u32 v23, v2, v23
	v_add_nc_u32_e32 v2, v2, v23
	s_delay_alu instid0(VALU_DEP_1) | instskip(NEXT) | instid1(VALU_DEP_1)
	v_mul_hi_u32 v2, v33, v2
	v_mul_lo_u32 v23, v2, s38
	v_add_nc_u32_e32 v24, 1, v2
	s_delay_alu instid0(VALU_DEP_2) | instskip(NEXT) | instid1(VALU_DEP_1)
	v_sub_nc_u32_e32 v23, v33, v23
	v_subrev_nc_u32_e32 v31, s38, v23
	v_cmp_le_u32_e32 vcc_lo, s38, v23
	s_wait_alu 0xfffd
	s_delay_alu instid0(VALU_DEP_2) | instskip(NEXT) | instid1(VALU_DEP_1)
	v_dual_cndmask_b32 v23, v23, v31 :: v_dual_cndmask_b32 v2, v2, v24
	v_cmp_le_u32_e32 vcc_lo, s38, v23
	s_delay_alu instid0(VALU_DEP_2) | instskip(SKIP_1) | instid1(VALU_DEP_1)
	v_add_nc_u32_e32 v24, 1, v2
	s_wait_alu 0xfffd
	v_dual_cndmask_b32 v23, v2, v24 :: v_dual_mov_b32 v24, v1
.LBB51_47:                              ;   in Loop: Header=BB51_3 Depth=1
	s_or_b32 exec_lo, exec_lo, s0
	s_delay_alu instid0(VALU_DEP_1) | instskip(NEXT) | instid1(VALU_DEP_2)
	v_mul_lo_u32 v2, v24, s38
	v_mul_lo_u32 v31, v23, s39
	v_mad_co_u64_u32 v[33:34], null, v23, s38, 0
	s_mov_b32 s0, exec_lo
	v_add3_u32 v2, v34, v31, v2
	v_sub_co_u32 v17, vcc_lo, v17, v33
	v_mul_lo_u32 v31, v24, s12
	v_mul_lo_u32 v33, v23, s13
	s_wait_alu 0xfffd
	v_sub_co_ci_u32_e64 v2, null, v18, v2, vcc_lo
	v_add_co_u32 v24, vcc_lo, v3, v17
	v_mad_co_u64_u32 v[17:18], null, v23, s12, 0
	s_wait_alu 0xfffd
	s_delay_alu instid0(VALU_DEP_3) | instskip(NEXT) | instid1(VALU_DEP_3)
	v_add_co_ci_u32_e64 v2, null, v4, v2, vcc_lo
	v_mul_lo_u32 v34, v24, s15
	v_mad_co_u64_u32 v[23:24], null, v24, s14, 0
	s_delay_alu instid0(VALU_DEP_3) | instskip(SKIP_1) | instid1(VALU_DEP_1)
	v_mul_lo_u32 v2, v2, s14
	v_add3_u32 v18, v18, v33, v31
	v_lshlrev_b64_e32 v[17:18], 3, v[17:18]
	s_delay_alu instid0(VALU_DEP_3) | instskip(SKIP_1) | instid1(VALU_DEP_3)
	v_add3_u32 v24, v24, v34, v2
	v_or_b32_e32 v2, s39, v36
	v_add_co_u32 v17, vcc_lo, s36, v17
	s_delay_alu instid0(VALU_DEP_3) | instskip(SKIP_2) | instid1(VALU_DEP_2)
	v_lshlrev_b64_e32 v[23:24], 3, v[23:24]
	s_wait_alu 0xfffd
	v_add_co_ci_u32_e64 v18, null, s37, v18, vcc_lo
	v_add_co_u32 v17, vcc_lo, v17, v23
	s_wait_alu 0xfffd
	s_delay_alu instid0(VALU_DEP_2)
	v_add_co_ci_u32_e64 v18, null, v18, v24, vcc_lo
	global_store_b64 v[17:18], v[21:22], off
                                        ; implicit-def: $vgpr17_vgpr18
	v_cmpx_ne_u64_e32 0, v[1:2]
	s_wait_alu 0xfffe
	s_xor_b32 s57, exec_lo, s0
	s_cbranch_execz .LBB51_49
; %bb.48:                               ;   in Loop: Header=BB51_3 Depth=1
	s_ashr_i32 s58, s39, 31
	v_add_co_u32 v2, vcc_lo, v35, v32
	s_wait_alu 0xfffe
	s_mov_b32 s59, s58
	s_wait_alu 0xfffd
	v_add_co_ci_u32_e64 v17, null, v36, v32, vcc_lo
	s_wait_alu 0xfffe
	s_add_nc_u64 s[60:61], s[38:39], s[58:59]
	v_xor_b32_e32 v2, v2, v32
	s_wait_alu 0xfffe
	s_xor_b64 s[60:61], s[60:61], s[58:59]
	v_xor_b32_e32 v31, v17, v32
	s_wait_alu 0xfffe
	s_cvt_f32_u32 s0, s60
	s_cvt_f32_u32 s59, s61
	s_sub_nc_u64 s[66:67], 0, s[60:61]
                                        ; implicit-def: $vgpr35
	s_wait_alu 0xfffe
	s_delay_alu instid0(SALU_CYCLE_1) | instskip(SKIP_1) | instid1(SALU_CYCLE_2)
	s_fmamk_f32 s0, s59, 0x4f800000, s0
	s_wait_alu 0xfffe
	v_s_rcp_f32 s0, s0
	s_delay_alu instid0(TRANS32_DEP_1) | instskip(SKIP_1) | instid1(SALU_CYCLE_2)
	s_mul_f32 s0, s0, 0x5f7ffffc
	s_wait_alu 0xfffe
	s_mul_f32 s59, s0, 0x2f800000
	s_wait_alu 0xfffe
	s_delay_alu instid0(SALU_CYCLE_2) | instskip(SKIP_1) | instid1(SALU_CYCLE_2)
	s_trunc_f32 s59, s59
	s_wait_alu 0xfffe
	s_fmamk_f32 s0, s59, 0xcf800000, s0
	s_cvt_u32_f32 s65, s59
	s_wait_alu 0xfffe
	s_delay_alu instid0(SALU_CYCLE_1) | instskip(NEXT) | instid1(SALU_CYCLE_3)
	s_cvt_u32_f32 s64, s0
	s_mul_u64 s[68:69], s[66:67], s[64:65]
	s_delay_alu instid0(SALU_CYCLE_1)
	s_mul_hi_u32 s71, s64, s69
	s_mul_i32 s70, s64, s69
	s_mul_hi_u32 s0, s64, s68
	s_mul_i32 s63, s65, s68
	s_wait_alu 0xfffe
	s_add_nc_u64 s[70:71], s[0:1], s[70:71]
	s_mul_hi_u32 s59, s65, s68
	s_mul_hi_u32 s72, s65, s69
	s_add_co_u32 s0, s70, s63
	s_wait_alu 0xfffe
	s_add_co_ci_u32 s0, s71, s59
	s_mul_i32 s68, s65, s69
	s_add_co_ci_u32 s69, s72, 0
	s_wait_alu 0xfffe
	s_add_nc_u64 s[68:69], s[0:1], s[68:69]
	s_delay_alu instid0(SALU_CYCLE_1) | instskip(SKIP_4) | instid1(SALU_CYCLE_1)
	s_add_co_u32 s64, s64, s68
	s_cselect_b32 s0, -1, 0
	s_wait_alu 0xfffe
	s_cmp_lg_u32 s0, 0
	s_add_co_ci_u32 s65, s65, s69
	s_mul_u64 s[66:67], s[66:67], s[64:65]
	s_delay_alu instid0(SALU_CYCLE_1)
	s_mul_hi_u32 s69, s64, s67
	s_mul_i32 s68, s64, s67
	s_mul_hi_u32 s0, s64, s66
	s_mul_i32 s63, s65, s66
	s_wait_alu 0xfffe
	s_add_nc_u64 s[68:69], s[0:1], s[68:69]
	s_mul_hi_u32 s59, s65, s66
	s_mul_hi_u32 s70, s65, s67
	s_add_co_u32 s0, s68, s63
	s_wait_alu 0xfffe
	s_add_co_ci_u32 s0, s69, s59
	s_mul_i32 s66, s65, s67
	s_add_co_ci_u32 s67, s70, 0
	s_wait_alu 0xfffe
	s_add_nc_u64 s[66:67], s[0:1], s[66:67]
	s_delay_alu instid0(SALU_CYCLE_1)
	s_add_co_u32 s0, s64, s66
	s_cselect_b32 s59, -1, 0
	s_wait_alu 0xfffe
	v_mul_hi_u32 v33, v2, s0
	s_cmp_lg_u32 s59, 0
	v_mad_co_u64_u32 v[21:22], null, v31, s0, 0
	s_add_co_ci_u32 s59, s65, s67
	s_wait_alu 0xfffe
	v_mad_co_u64_u32 v[17:18], null, v2, s59, 0
	v_mad_co_u64_u32 v[23:24], null, v31, s59, 0
	s_delay_alu instid0(VALU_DEP_2) | instskip(SKIP_1) | instid1(VALU_DEP_3)
	v_add_co_u32 v17, vcc_lo, v33, v17
	s_wait_alu 0xfffd
	v_add_co_ci_u32_e64 v18, null, 0, v18, vcc_lo
	s_delay_alu instid0(VALU_DEP_2) | instskip(SKIP_1) | instid1(VALU_DEP_2)
	v_add_co_u32 v17, vcc_lo, v17, v21
	s_wait_alu 0xfffd
	v_add_co_ci_u32_e32 v17, vcc_lo, v18, v22, vcc_lo
	s_wait_alu 0xfffd
	v_add_co_ci_u32_e32 v18, vcc_lo, 0, v24, vcc_lo
	s_delay_alu instid0(VALU_DEP_2) | instskip(SKIP_1) | instid1(VALU_DEP_2)
	v_add_co_u32 v21, vcc_lo, v17, v23
	s_wait_alu 0xfffd
	v_add_co_ci_u32_e64 v22, null, 0, v18, vcc_lo
	s_delay_alu instid0(VALU_DEP_2) | instskip(SKIP_1) | instid1(VALU_DEP_3)
	v_mul_lo_u32 v23, s61, v21
	v_mad_co_u64_u32 v[17:18], null, s60, v21, 0
	v_mul_lo_u32 v24, s60, v22
	s_delay_alu instid0(VALU_DEP_2) | instskip(NEXT) | instid1(VALU_DEP_2)
	v_sub_co_u32 v2, vcc_lo, v2, v17
	v_add3_u32 v18, v18, v24, v23
	s_delay_alu instid0(VALU_DEP_1) | instskip(SKIP_2) | instid1(VALU_DEP_2)
	v_sub_nc_u32_e32 v23, v31, v18
	s_wait_alu 0xfffd
	v_sub_co_ci_u32_e64 v18, null, v31, v18, vcc_lo
	v_subrev_co_ci_u32_e64 v17, null, s61, v23, vcc_lo
	v_add_co_u32 v23, s0, v21, 2
	s_wait_alu 0xf1ff
	v_add_co_ci_u32_e64 v24, null, 0, v22, s0
	v_sub_co_u32 v33, s0, v2, s60
	s_wait_alu 0xf1ff
	v_subrev_co_ci_u32_e64 v17, null, 0, v17, s0
	s_delay_alu instid0(VALU_DEP_2) | instskip(SKIP_2) | instid1(VALU_DEP_3)
	v_cmp_le_u32_e32 vcc_lo, s60, v33
	s_wait_alu 0xfffd
	v_cndmask_b32_e64 v31, 0, -1, vcc_lo
	v_cmp_le_u32_e32 vcc_lo, s61, v17
	s_wait_alu 0xfffd
	v_cndmask_b32_e64 v33, 0, -1, vcc_lo
	;; [unrolled: 3-line block ×4, first 2 shown]
	v_cmp_eq_u32_e32 vcc_lo, s61, v17
	s_wait_alu 0xfffd
	v_cndmask_b32_e32 v17, v33, v31, vcc_lo
	v_add_co_u32 v31, vcc_lo, v21, 1
	s_wait_alu 0xfffd
	v_add_co_ci_u32_e64 v33, null, 0, v22, vcc_lo
	v_cmp_eq_u32_e32 vcc_lo, s61, v18
	v_xor_b32_e32 v18, s58, v32
	s_wait_alu 0xfffd
	v_cndmask_b32_e32 v2, v34, v2, vcc_lo
	v_cmp_ne_u32_e32 vcc_lo, 0, v17
	s_delay_alu instid0(VALU_DEP_2) | instskip(SKIP_3) | instid1(VALU_DEP_1)
	v_cmp_ne_u32_e64 s0, 0, v2
	s_wait_alu 0xfffd
	v_dual_cndmask_b32 v17, v33, v24 :: v_dual_cndmask_b32 v2, v31, v23
	s_wait_alu 0xf1ff
	v_cndmask_b32_e64 v17, v22, v17, s0
	s_delay_alu instid0(VALU_DEP_2) | instskip(NEXT) | instid1(VALU_DEP_2)
	v_cndmask_b32_e64 v2, v21, v2, s0
	v_xor_b32_e32 v21, v17, v18
	s_delay_alu instid0(VALU_DEP_2) | instskip(NEXT) | instid1(VALU_DEP_1)
	v_xor_b32_e32 v2, v2, v18
	v_sub_co_u32 v17, vcc_lo, v2, v18
	s_wait_alu 0xfffd
	s_delay_alu instid0(VALU_DEP_3)
	v_sub_co_ci_u32_e64 v18, null, v21, v18, vcc_lo
.LBB51_49:                              ;   in Loop: Header=BB51_3 Depth=1
	s_wait_alu 0xfffe
	s_and_not1_saveexec_b32 s0, s57
	s_cbranch_execz .LBB51_51
; %bb.50:                               ;   in Loop: Header=BB51_3 Depth=1
	v_rcp_iflag_f32_e32 v2, v28
	s_sub_co_i32 s57, 0, s38
	s_delay_alu instid0(TRANS32_DEP_1) | instskip(NEXT) | instid1(VALU_DEP_1)
	v_mul_f32_e32 v2, 0x4f7ffffe, v2
	v_cvt_u32_f32_e32 v2, v2
	s_wait_alu 0xfffe
	s_delay_alu instid0(VALU_DEP_1) | instskip(NEXT) | instid1(VALU_DEP_1)
	v_mul_lo_u32 v17, s57, v2
	v_mul_hi_u32 v17, v2, v17
	s_delay_alu instid0(VALU_DEP_1) | instskip(NEXT) | instid1(VALU_DEP_1)
	v_add_nc_u32_e32 v2, v2, v17
	v_mul_hi_u32 v2, v35, v2
	s_delay_alu instid0(VALU_DEP_1) | instskip(SKIP_1) | instid1(VALU_DEP_2)
	v_mul_lo_u32 v17, v2, s38
	v_add_nc_u32_e32 v18, 1, v2
	v_sub_nc_u32_e32 v17, v35, v17
	s_delay_alu instid0(VALU_DEP_1) | instskip(SKIP_2) | instid1(VALU_DEP_2)
	v_subrev_nc_u32_e32 v21, s38, v17
	v_cmp_le_u32_e32 vcc_lo, s38, v17
	s_wait_alu 0xfffd
	v_dual_cndmask_b32 v17, v17, v21 :: v_dual_cndmask_b32 v2, v2, v18
	s_delay_alu instid0(VALU_DEP_1) | instskip(NEXT) | instid1(VALU_DEP_2)
	v_cmp_le_u32_e32 vcc_lo, s38, v17
	v_add_nc_u32_e32 v18, 1, v2
	s_wait_alu 0xfffd
	s_delay_alu instid0(VALU_DEP_1)
	v_dual_cndmask_b32 v17, v2, v18 :: v_dual_mov_b32 v18, v1
.LBB51_51:                              ;   in Loop: Header=BB51_3 Depth=1
	s_wait_alu 0xfffe
	s_or_b32 exec_lo, exec_lo, s0
	s_delay_alu instid0(VALU_DEP_1) | instskip(NEXT) | instid1(VALU_DEP_2)
	v_mul_lo_u32 v2, v18, s38
	v_mul_lo_u32 v23, v17, s39
	v_mad_co_u64_u32 v[21:22], null, v17, s38, 0
	s_mov_b32 s0, exec_lo
	v_add3_u32 v2, v22, v23, v2
	v_sub_co_u32 v9, vcc_lo, v9, v21
	v_mul_lo_u32 v22, v18, s12
	v_mul_lo_u32 v21, v17, s13
	s_wait_alu 0xfffd
	v_sub_co_ci_u32_e64 v2, null, v10, v2, vcc_lo
	v_add_co_u32 v18, vcc_lo, v3, v9
	v_mad_co_u64_u32 v[9:10], null, v17, s12, 0
	s_wait_alu 0xfffd
	s_delay_alu instid0(VALU_DEP_3) | instskip(NEXT) | instid1(VALU_DEP_3)
	v_add_co_ci_u32_e64 v2, null, v4, v2, vcc_lo
	v_mul_lo_u32 v23, v18, s15
	v_mad_co_u64_u32 v[17:18], null, v18, s14, 0
	s_delay_alu instid0(VALU_DEP_3) | instskip(SKIP_1) | instid1(VALU_DEP_1)
	v_mul_lo_u32 v2, v2, s14
	v_add3_u32 v10, v10, v21, v22
	v_lshlrev_b64_e32 v[9:10], 3, v[9:10]
	s_delay_alu instid0(VALU_DEP_3) | instskip(SKIP_1) | instid1(VALU_DEP_3)
	v_add3_u32 v18, v18, v23, v2
	v_or_b32_e32 v2, s39, v27
	v_add_co_u32 v9, vcc_lo, s36, v9
	s_delay_alu instid0(VALU_DEP_3) | instskip(SKIP_2) | instid1(VALU_DEP_2)
	v_lshlrev_b64_e32 v[17:18], 3, v[17:18]
	s_wait_alu 0xfffd
	v_add_co_ci_u32_e64 v10, null, s37, v10, vcc_lo
	v_add_co_u32 v9, vcc_lo, v9, v17
	s_wait_alu 0xfffd
	s_delay_alu instid0(VALU_DEP_2)
	v_add_co_ci_u32_e64 v10, null, v10, v18, vcc_lo
	global_store_b64 v[9:10], v[19:20], off
                                        ; implicit-def: $vgpr9_vgpr10
	v_cmpx_ne_u64_e32 0, v[1:2]
	s_wait_alu 0xfffe
	s_xor_b32 s57, exec_lo, s0
	s_cbranch_execz .LBB51_53
; %bb.52:                               ;   in Loop: Header=BB51_3 Depth=1
	s_ashr_i32 s58, s39, 31
	v_add_co_u32 v2, vcc_lo, v26, v25
	s_wait_alu 0xfffe
	s_mov_b32 s59, s58
	s_wait_alu 0xfffd
	v_add_co_ci_u32_e64 v9, null, v27, v25, vcc_lo
	s_wait_alu 0xfffe
	s_add_nc_u64 s[60:61], s[38:39], s[58:59]
	v_xor_b32_e32 v2, v2, v25
	s_wait_alu 0xfffe
	s_xor_b64 s[60:61], s[60:61], s[58:59]
	v_xor_b32_e32 v21, v9, v25
	s_wait_alu 0xfffe
	s_cvt_f32_u32 s0, s60
	s_cvt_f32_u32 s59, s61
	s_sub_nc_u64 s[66:67], 0, s[60:61]
                                        ; implicit-def: $vgpr28
                                        ; implicit-def: $vgpr26
	s_wait_alu 0xfffe
	s_delay_alu instid0(SALU_CYCLE_1) | instskip(SKIP_1) | instid1(SALU_CYCLE_2)
	s_fmamk_f32 s0, s59, 0x4f800000, s0
	s_wait_alu 0xfffe
	v_s_rcp_f32 s0, s0
	s_delay_alu instid0(TRANS32_DEP_1) | instskip(SKIP_1) | instid1(SALU_CYCLE_2)
	s_mul_f32 s0, s0, 0x5f7ffffc
	s_wait_alu 0xfffe
	s_mul_f32 s59, s0, 0x2f800000
	s_wait_alu 0xfffe
	s_delay_alu instid0(SALU_CYCLE_2) | instskip(SKIP_1) | instid1(SALU_CYCLE_2)
	s_trunc_f32 s59, s59
	s_wait_alu 0xfffe
	s_fmamk_f32 s0, s59, 0xcf800000, s0
	s_cvt_u32_f32 s65, s59
	s_wait_alu 0xfffe
	s_delay_alu instid0(SALU_CYCLE_1) | instskip(NEXT) | instid1(SALU_CYCLE_3)
	s_cvt_u32_f32 s64, s0
	s_mul_u64 s[68:69], s[66:67], s[64:65]
	s_delay_alu instid0(SALU_CYCLE_1)
	s_mul_hi_u32 s71, s64, s69
	s_mul_i32 s70, s64, s69
	s_mul_hi_u32 s0, s64, s68
	s_mul_i32 s63, s65, s68
	s_wait_alu 0xfffe
	s_add_nc_u64 s[70:71], s[0:1], s[70:71]
	s_mul_hi_u32 s59, s65, s68
	s_mul_hi_u32 s72, s65, s69
	s_add_co_u32 s0, s70, s63
	s_wait_alu 0xfffe
	s_add_co_ci_u32 s0, s71, s59
	s_mul_i32 s68, s65, s69
	s_add_co_ci_u32 s69, s72, 0
	s_wait_alu 0xfffe
	s_add_nc_u64 s[68:69], s[0:1], s[68:69]
	s_delay_alu instid0(SALU_CYCLE_1) | instskip(SKIP_4) | instid1(SALU_CYCLE_1)
	s_add_co_u32 s64, s64, s68
	s_cselect_b32 s0, -1, 0
	s_wait_alu 0xfffe
	s_cmp_lg_u32 s0, 0
	s_add_co_ci_u32 s65, s65, s69
	s_mul_u64 s[66:67], s[66:67], s[64:65]
	s_delay_alu instid0(SALU_CYCLE_1)
	s_mul_hi_u32 s69, s64, s67
	s_mul_i32 s68, s64, s67
	s_mul_hi_u32 s0, s64, s66
	s_mul_i32 s63, s65, s66
	s_wait_alu 0xfffe
	s_add_nc_u64 s[68:69], s[0:1], s[68:69]
	s_mul_hi_u32 s59, s65, s66
	s_mul_hi_u32 s70, s65, s67
	s_add_co_u32 s0, s68, s63
	s_wait_alu 0xfffe
	s_add_co_ci_u32 s0, s69, s59
	s_mul_i32 s66, s65, s67
	s_add_co_ci_u32 s67, s70, 0
	s_wait_alu 0xfffe
	s_add_nc_u64 s[66:67], s[0:1], s[66:67]
	s_delay_alu instid0(SALU_CYCLE_1)
	s_add_co_u32 s0, s64, s66
	s_cselect_b32 s59, -1, 0
	s_wait_alu 0xfffe
	v_mul_hi_u32 v22, v2, s0
	s_cmp_lg_u32 s59, 0
	v_mad_co_u64_u32 v[17:18], null, v21, s0, 0
	s_add_co_ci_u32 s59, s65, s67
	s_wait_alu 0xfffe
	v_mad_co_u64_u32 v[9:10], null, v2, s59, 0
	v_mad_co_u64_u32 v[19:20], null, v21, s59, 0
	s_delay_alu instid0(VALU_DEP_2) | instskip(SKIP_1) | instid1(VALU_DEP_3)
	v_add_co_u32 v9, vcc_lo, v22, v9
	s_wait_alu 0xfffd
	v_add_co_ci_u32_e64 v10, null, 0, v10, vcc_lo
	s_delay_alu instid0(VALU_DEP_2) | instskip(SKIP_1) | instid1(VALU_DEP_2)
	v_add_co_u32 v9, vcc_lo, v9, v17
	s_wait_alu 0xfffd
	v_add_co_ci_u32_e32 v9, vcc_lo, v10, v18, vcc_lo
	s_wait_alu 0xfffd
	v_add_co_ci_u32_e32 v10, vcc_lo, 0, v20, vcc_lo
	s_delay_alu instid0(VALU_DEP_2) | instskip(SKIP_1) | instid1(VALU_DEP_2)
	v_add_co_u32 v17, vcc_lo, v9, v19
	s_wait_alu 0xfffd
	v_add_co_ci_u32_e64 v18, null, 0, v10, vcc_lo
	s_delay_alu instid0(VALU_DEP_2) | instskip(SKIP_1) | instid1(VALU_DEP_3)
	v_mul_lo_u32 v19, s61, v17
	v_mad_co_u64_u32 v[9:10], null, s60, v17, 0
	v_mul_lo_u32 v20, s60, v18
	s_delay_alu instid0(VALU_DEP_2) | instskip(NEXT) | instid1(VALU_DEP_2)
	v_sub_co_u32 v2, vcc_lo, v2, v9
	v_add3_u32 v10, v10, v20, v19
	s_delay_alu instid0(VALU_DEP_1) | instskip(SKIP_2) | instid1(VALU_DEP_2)
	v_sub_nc_u32_e32 v19, v21, v10
	s_wait_alu 0xfffd
	v_sub_co_ci_u32_e64 v10, null, v21, v10, vcc_lo
	v_subrev_co_ci_u32_e64 v9, null, s61, v19, vcc_lo
	v_add_co_u32 v19, s0, v17, 2
	s_wait_alu 0xf1ff
	v_add_co_ci_u32_e64 v20, null, 0, v18, s0
	v_sub_co_u32 v22, s0, v2, s60
	s_wait_alu 0xf1ff
	v_subrev_co_ci_u32_e64 v9, null, 0, v9, s0
	s_delay_alu instid0(VALU_DEP_2) | instskip(SKIP_2) | instid1(VALU_DEP_3)
	v_cmp_le_u32_e32 vcc_lo, s60, v22
	s_wait_alu 0xfffd
	v_cndmask_b32_e64 v21, 0, -1, vcc_lo
	v_cmp_le_u32_e32 vcc_lo, s61, v9
	s_wait_alu 0xfffd
	v_cndmask_b32_e64 v22, 0, -1, vcc_lo
	;; [unrolled: 3-line block ×4, first 2 shown]
	v_cmp_eq_u32_e32 vcc_lo, s61, v9
	s_wait_alu 0xfffd
	v_cndmask_b32_e32 v9, v22, v21, vcc_lo
	v_add_co_u32 v21, vcc_lo, v17, 1
	s_wait_alu 0xfffd
	v_add_co_ci_u32_e64 v22, null, 0, v18, vcc_lo
	v_cmp_eq_u32_e32 vcc_lo, s61, v10
	v_xor_b32_e32 v10, s58, v25
	s_wait_alu 0xfffd
	v_cndmask_b32_e32 v2, v23, v2, vcc_lo
	v_cmp_ne_u32_e32 vcc_lo, 0, v9
	s_delay_alu instid0(VALU_DEP_2) | instskip(SKIP_3) | instid1(VALU_DEP_1)
	v_cmp_ne_u32_e64 s0, 0, v2
	s_wait_alu 0xfffd
	v_dual_cndmask_b32 v9, v22, v20 :: v_dual_cndmask_b32 v2, v21, v19
	s_wait_alu 0xf1ff
	v_cndmask_b32_e64 v9, v18, v9, s0
	s_delay_alu instid0(VALU_DEP_2) | instskip(NEXT) | instid1(VALU_DEP_2)
	v_cndmask_b32_e64 v2, v17, v2, s0
	v_xor_b32_e32 v17, v9, v10
	s_delay_alu instid0(VALU_DEP_2) | instskip(NEXT) | instid1(VALU_DEP_1)
	v_xor_b32_e32 v2, v2, v10
	v_sub_co_u32 v9, vcc_lo, v2, v10
	s_wait_alu 0xfffd
	s_delay_alu instid0(VALU_DEP_3)
	v_sub_co_ci_u32_e64 v10, null, v17, v10, vcc_lo
.LBB51_53:                              ;   in Loop: Header=BB51_3 Depth=1
	s_wait_alu 0xfffe
	s_and_not1_saveexec_b32 s0, s57
	s_cbranch_execz .LBB51_55
; %bb.54:                               ;   in Loop: Header=BB51_3 Depth=1
	v_rcp_iflag_f32_e32 v2, v28
	s_sub_co_i32 s57, 0, s38
	s_delay_alu instid0(TRANS32_DEP_1) | instskip(NEXT) | instid1(VALU_DEP_1)
	v_mul_f32_e32 v2, 0x4f7ffffe, v2
	v_cvt_u32_f32_e32 v2, v2
	s_wait_alu 0xfffe
	s_delay_alu instid0(VALU_DEP_1) | instskip(NEXT) | instid1(VALU_DEP_1)
	v_mul_lo_u32 v9, s57, v2
	v_mul_hi_u32 v9, v2, v9
	s_delay_alu instid0(VALU_DEP_1) | instskip(NEXT) | instid1(VALU_DEP_1)
	v_add_nc_u32_e32 v2, v2, v9
	v_mul_hi_u32 v2, v26, v2
	s_delay_alu instid0(VALU_DEP_1) | instskip(SKIP_1) | instid1(VALU_DEP_2)
	v_mul_lo_u32 v9, v2, s38
	v_add_nc_u32_e32 v10, 1, v2
	v_sub_nc_u32_e32 v9, v26, v9
	s_delay_alu instid0(VALU_DEP_1) | instskip(SKIP_2) | instid1(VALU_DEP_2)
	v_subrev_nc_u32_e32 v17, s38, v9
	v_cmp_le_u32_e32 vcc_lo, s38, v9
	s_wait_alu 0xfffd
	v_dual_cndmask_b32 v9, v9, v17 :: v_dual_cndmask_b32 v2, v2, v10
	s_delay_alu instid0(VALU_DEP_1) | instskip(NEXT) | instid1(VALU_DEP_2)
	v_cmp_le_u32_e32 vcc_lo, s38, v9
	v_add_nc_u32_e32 v10, 1, v2
	s_wait_alu 0xfffd
	s_delay_alu instid0(VALU_DEP_1)
	v_dual_cndmask_b32 v9, v2, v10 :: v_dual_mov_b32 v10, v1
.LBB51_55:                              ;   in Loop: Header=BB51_3 Depth=1
	s_wait_alu 0xfffe
	s_or_b32 exec_lo, exec_lo, s0
	s_delay_alu instid0(VALU_DEP_1) | instskip(NEXT) | instid1(VALU_DEP_2)
	v_mul_lo_u32 v2, v10, s38
	v_mul_lo_u32 v19, v9, s39
	v_mad_co_u64_u32 v[17:18], null, v9, s38, 0
	v_mul_f64_e32 v[5:6], v[5:6], v[13:14]
	s_mov_b32 s0, exec_lo
	s_delay_alu instid0(VALU_DEP_2) | instskip(SKIP_1) | instid1(VALU_DEP_4)
	v_add3_u32 v2, v18, v19, v2
	v_mul_lo_u32 v18, v10, s12
	v_sub_co_u32 v10, vcc_lo, v15, v17
	v_mul_lo_u32 v15, v9, s13
	s_wait_alu 0xfffd
	v_sub_co_ci_u32_e64 v2, null, v16, v2, vcc_lo
	s_delay_alu instid0(VALU_DEP_3) | instskip(SKIP_2) | instid1(VALU_DEP_3)
	v_add_co_u32 v13, vcc_lo, v3, v10
	v_mad_co_u64_u32 v[9:10], null, v9, s12, 0
	s_wait_alu 0xfffd
	v_add_co_ci_u32_e64 v2, null, v4, v2, vcc_lo
	s_delay_alu instid0(VALU_DEP_3) | instskip(SKIP_1) | instid1(VALU_DEP_3)
	v_mul_lo_u32 v16, v13, s15
	v_mad_co_u64_u32 v[13:14], null, v13, s14, 0
	v_mul_lo_u32 v2, v2, s14
	v_add3_u32 v10, v10, v15, v18
	s_delay_alu instid0(VALU_DEP_1) | instskip(NEXT) | instid1(VALU_DEP_3)
	v_lshlrev_b64_e32 v[9:10], 3, v[9:10]
	v_add3_u32 v14, v14, v16, v2
	v_or_b32_e32 v2, s47, v4
	s_delay_alu instid0(VALU_DEP_3) | instskip(NEXT) | instid1(VALU_DEP_3)
	v_add_co_u32 v9, vcc_lo, s36, v9
	v_lshlrev_b64_e32 v[13:14], 3, v[13:14]
	s_wait_alu 0xfffd
	v_add_co_ci_u32_e64 v10, null, s37, v10, vcc_lo
	s_delay_alu instid0(VALU_DEP_2) | instskip(SKIP_1) | instid1(VALU_DEP_2)
	v_add_co_u32 v9, vcc_lo, v9, v13
	s_wait_alu 0xfffd
	v_add_co_ci_u32_e64 v10, null, v10, v14, vcc_lo
	global_store_b64 v[9:10], v[5:6], off
                                        ; implicit-def: $vgpr5_vgpr6
	v_cmpx_ne_u64_e32 0, v[1:2]
	s_wait_alu 0xfffe
	s_xor_b32 s57, exec_lo, s0
	s_cbranch_execz .LBB51_57
; %bb.56:                               ;   in Loop: Header=BB51_3 Depth=1
	s_ashr_i32 s58, s47, 31
	v_add_co_u32 v2, vcc_lo, v3, v30
	s_wait_alu 0xfffe
	s_mov_b32 s59, s58
	s_wait_alu 0xfffd
	v_add_co_ci_u32_e64 v5, null, v4, v30, vcc_lo
	s_wait_alu 0xfffe
	s_add_nc_u64 s[60:61], s[46:47], s[58:59]
	v_xor_b32_e32 v2, v2, v30
	s_wait_alu 0xfffe
	s_xor_b64 s[60:61], s[60:61], s[58:59]
	v_xor_b32_e32 v15, v5, v30
	s_wait_alu 0xfffe
	s_cvt_f32_u32 s0, s60
	s_cvt_f32_u32 s59, s61
	s_sub_nc_u64 s[66:67], 0, s[60:61]
	s_wait_alu 0xfffe
	s_delay_alu instid0(SALU_CYCLE_1) | instskip(SKIP_1) | instid1(SALU_CYCLE_2)
	s_fmamk_f32 s0, s59, 0x4f800000, s0
	s_wait_alu 0xfffe
	v_s_rcp_f32 s0, s0
	s_delay_alu instid0(TRANS32_DEP_1) | instskip(SKIP_1) | instid1(SALU_CYCLE_2)
	s_mul_f32 s0, s0, 0x5f7ffffc
	s_wait_alu 0xfffe
	s_mul_f32 s59, s0, 0x2f800000
	s_wait_alu 0xfffe
	s_delay_alu instid0(SALU_CYCLE_2) | instskip(SKIP_1) | instid1(SALU_CYCLE_2)
	s_trunc_f32 s59, s59
	s_wait_alu 0xfffe
	s_fmamk_f32 s0, s59, 0xcf800000, s0
	s_cvt_u32_f32 s65, s59
	s_wait_alu 0xfffe
	s_delay_alu instid0(SALU_CYCLE_1) | instskip(NEXT) | instid1(SALU_CYCLE_3)
	s_cvt_u32_f32 s64, s0
	s_mul_u64 s[68:69], s[66:67], s[64:65]
	s_delay_alu instid0(SALU_CYCLE_1)
	s_mul_hi_u32 s71, s64, s69
	s_mul_i32 s70, s64, s69
	s_mul_hi_u32 s0, s64, s68
	s_mul_i32 s63, s65, s68
	s_wait_alu 0xfffe
	s_add_nc_u64 s[70:71], s[0:1], s[70:71]
	s_mul_hi_u32 s59, s65, s68
	s_mul_hi_u32 s72, s65, s69
	s_add_co_u32 s0, s70, s63
	s_wait_alu 0xfffe
	s_add_co_ci_u32 s0, s71, s59
	s_mul_i32 s68, s65, s69
	s_add_co_ci_u32 s69, s72, 0
	s_wait_alu 0xfffe
	s_add_nc_u64 s[68:69], s[0:1], s[68:69]
	s_delay_alu instid0(SALU_CYCLE_1) | instskip(SKIP_4) | instid1(SALU_CYCLE_1)
	s_add_co_u32 s64, s64, s68
	s_cselect_b32 s0, -1, 0
	s_wait_alu 0xfffe
	s_cmp_lg_u32 s0, 0
	s_add_co_ci_u32 s65, s65, s69
	s_mul_u64 s[66:67], s[66:67], s[64:65]
	s_delay_alu instid0(SALU_CYCLE_1)
	s_mul_hi_u32 s69, s64, s67
	s_mul_i32 s68, s64, s67
	s_mul_hi_u32 s0, s64, s66
	s_mul_i32 s63, s65, s66
	s_wait_alu 0xfffe
	s_add_nc_u64 s[68:69], s[0:1], s[68:69]
	s_mul_hi_u32 s59, s65, s66
	s_mul_hi_u32 s70, s65, s67
	s_add_co_u32 s0, s68, s63
	s_wait_alu 0xfffe
	s_add_co_ci_u32 s0, s69, s59
	s_mul_i32 s66, s65, s67
	s_add_co_ci_u32 s67, s70, 0
	s_wait_alu 0xfffe
	s_add_nc_u64 s[66:67], s[0:1], s[66:67]
	s_delay_alu instid0(SALU_CYCLE_1)
	s_add_co_u32 s0, s64, s66
	s_cselect_b32 s59, -1, 0
	s_wait_alu 0xfffe
	v_mul_hi_u32 v16, v2, s0
	s_cmp_lg_u32 s59, 0
	v_mad_co_u64_u32 v[9:10], null, v15, s0, 0
	s_add_co_ci_u32 s59, s65, s67
	s_wait_alu 0xfffe
	v_mad_co_u64_u32 v[5:6], null, v2, s59, 0
	v_mad_co_u64_u32 v[13:14], null, v15, s59, 0
	s_delay_alu instid0(VALU_DEP_2) | instskip(SKIP_1) | instid1(VALU_DEP_3)
	v_add_co_u32 v5, vcc_lo, v16, v5
	s_wait_alu 0xfffd
	v_add_co_ci_u32_e64 v6, null, 0, v6, vcc_lo
	s_delay_alu instid0(VALU_DEP_2) | instskip(SKIP_1) | instid1(VALU_DEP_2)
	v_add_co_u32 v5, vcc_lo, v5, v9
	s_wait_alu 0xfffd
	v_add_co_ci_u32_e32 v5, vcc_lo, v6, v10, vcc_lo
	s_wait_alu 0xfffd
	v_add_co_ci_u32_e32 v6, vcc_lo, 0, v14, vcc_lo
	s_delay_alu instid0(VALU_DEP_2) | instskip(SKIP_1) | instid1(VALU_DEP_2)
	v_add_co_u32 v9, vcc_lo, v5, v13
	s_wait_alu 0xfffd
	v_add_co_ci_u32_e64 v10, null, 0, v6, vcc_lo
	s_delay_alu instid0(VALU_DEP_2) | instskip(SKIP_1) | instid1(VALU_DEP_3)
	v_mul_lo_u32 v13, s61, v9
	v_mad_co_u64_u32 v[5:6], null, s60, v9, 0
	v_mul_lo_u32 v14, s60, v10
	s_delay_alu instid0(VALU_DEP_2) | instskip(NEXT) | instid1(VALU_DEP_2)
	v_sub_co_u32 v2, vcc_lo, v2, v5
	v_add3_u32 v6, v6, v14, v13
	s_delay_alu instid0(VALU_DEP_1) | instskip(SKIP_2) | instid1(VALU_DEP_2)
	v_sub_nc_u32_e32 v13, v15, v6
	s_wait_alu 0xfffd
	v_sub_co_ci_u32_e64 v6, null, v15, v6, vcc_lo
	v_subrev_co_ci_u32_e64 v5, null, s61, v13, vcc_lo
	v_add_co_u32 v13, s0, v9, 2
	s_wait_alu 0xf1ff
	v_add_co_ci_u32_e64 v14, null, 0, v10, s0
	v_sub_co_u32 v16, s0, v2, s60
	s_wait_alu 0xf1ff
	v_subrev_co_ci_u32_e64 v5, null, 0, v5, s0
	s_delay_alu instid0(VALU_DEP_2) | instskip(SKIP_2) | instid1(VALU_DEP_3)
	v_cmp_le_u32_e32 vcc_lo, s60, v16
	s_wait_alu 0xfffd
	v_cndmask_b32_e64 v15, 0, -1, vcc_lo
	v_cmp_le_u32_e32 vcc_lo, s61, v5
	s_wait_alu 0xfffd
	v_cndmask_b32_e64 v16, 0, -1, vcc_lo
	;; [unrolled: 3-line block ×4, first 2 shown]
	v_cmp_eq_u32_e32 vcc_lo, s61, v5
	s_wait_alu 0xfffd
	v_cndmask_b32_e32 v5, v16, v15, vcc_lo
	v_add_co_u32 v15, vcc_lo, v9, 1
	s_wait_alu 0xfffd
	v_add_co_ci_u32_e64 v16, null, 0, v10, vcc_lo
	v_cmp_eq_u32_e32 vcc_lo, s61, v6
	v_xor_b32_e32 v6, s58, v30
	s_wait_alu 0xfffd
	v_cndmask_b32_e32 v2, v17, v2, vcc_lo
	v_cmp_ne_u32_e32 vcc_lo, 0, v5
	s_delay_alu instid0(VALU_DEP_2) | instskip(SKIP_3) | instid1(VALU_DEP_1)
	v_cmp_ne_u32_e64 s0, 0, v2
	s_wait_alu 0xfffd
	v_dual_cndmask_b32 v5, v16, v14 :: v_dual_cndmask_b32 v2, v15, v13
	s_wait_alu 0xf1ff
	v_cndmask_b32_e64 v5, v10, v5, s0
	s_delay_alu instid0(VALU_DEP_2) | instskip(NEXT) | instid1(VALU_DEP_2)
	v_cndmask_b32_e64 v2, v9, v2, s0
	v_xor_b32_e32 v9, v5, v6
	s_delay_alu instid0(VALU_DEP_2) | instskip(NEXT) | instid1(VALU_DEP_1)
	v_xor_b32_e32 v2, v2, v6
	v_sub_co_u32 v5, vcc_lo, v2, v6
	s_wait_alu 0xfffd
	s_delay_alu instid0(VALU_DEP_3)
	v_sub_co_ci_u32_e64 v6, null, v9, v6, vcc_lo
.LBB51_57:                              ;   in Loop: Header=BB51_3 Depth=1
	s_wait_alu 0xfffe
	s_and_not1_saveexec_b32 s0, s57
	s_cbranch_execz .LBB51_2
; %bb.58:                               ;   in Loop: Header=BB51_3 Depth=1
	v_cvt_f32_u32_e32 v2, s46
	s_sub_co_i32 s57, 0, s46
	s_delay_alu instid0(VALU_DEP_1) | instskip(NEXT) | instid1(TRANS32_DEP_1)
	v_rcp_iflag_f32_e32 v2, v2
	v_mul_f32_e32 v2, 0x4f7ffffe, v2
	s_delay_alu instid0(VALU_DEP_1) | instskip(SKIP_1) | instid1(VALU_DEP_1)
	v_cvt_u32_f32_e32 v2, v2
	s_wait_alu 0xfffe
	v_mul_lo_u32 v5, s57, v2
	s_delay_alu instid0(VALU_DEP_1) | instskip(NEXT) | instid1(VALU_DEP_1)
	v_mul_hi_u32 v5, v2, v5
	v_add_nc_u32_e32 v2, v2, v5
	s_delay_alu instid0(VALU_DEP_1) | instskip(NEXT) | instid1(VALU_DEP_1)
	v_mul_hi_u32 v2, v3, v2
	v_mul_lo_u32 v5, v2, s46
	v_add_nc_u32_e32 v6, 1, v2
	s_delay_alu instid0(VALU_DEP_2) | instskip(NEXT) | instid1(VALU_DEP_1)
	v_sub_nc_u32_e32 v5, v3, v5
	v_subrev_nc_u32_e32 v9, s46, v5
	v_cmp_le_u32_e32 vcc_lo, s46, v5
	s_wait_alu 0xfffd
	s_delay_alu instid0(VALU_DEP_2) | instskip(NEXT) | instid1(VALU_DEP_1)
	v_dual_cndmask_b32 v5, v5, v9 :: v_dual_cndmask_b32 v2, v2, v6
	v_cmp_le_u32_e32 vcc_lo, s46, v5
	s_delay_alu instid0(VALU_DEP_2) | instskip(SKIP_1) | instid1(VALU_DEP_1)
	v_add_nc_u32_e32 v6, 1, v2
	s_wait_alu 0xfffd
	v_dual_cndmask_b32 v5, v2, v6 :: v_dual_mov_b32 v6, v1
	s_branch .LBB51_2
.LBB51_59:
	s_endpgm
	.section	.rodata,"a",@progbits
	.p2align	6, 0x0
	.amdhsa_kernel _ZN2at6native12_GLOBAL__N_16kernel17gru_cell_backwardIddlLi2EEEvNS_4cuda6detail10TensorInfoIT_T1_EES9_S9_S9_S9_S8_S8_
		.amdhsa_group_segment_fixed_size 0
		.amdhsa_private_segment_fixed_size 0
		.amdhsa_kernarg_size 2352
		.amdhsa_user_sgpr_count 2
		.amdhsa_user_sgpr_dispatch_ptr 0
		.amdhsa_user_sgpr_queue_ptr 0
		.amdhsa_user_sgpr_kernarg_segment_ptr 1
		.amdhsa_user_sgpr_dispatch_id 0
		.amdhsa_user_sgpr_private_segment_size 0
		.amdhsa_wavefront_size32 1
		.amdhsa_uses_dynamic_stack 0
		.amdhsa_enable_private_segment 0
		.amdhsa_system_sgpr_workgroup_id_x 1
		.amdhsa_system_sgpr_workgroup_id_y 0
		.amdhsa_system_sgpr_workgroup_id_z 0
		.amdhsa_system_sgpr_workgroup_info 0
		.amdhsa_system_vgpr_workitem_id 0
		.amdhsa_next_free_vgpr 45
		.amdhsa_next_free_sgpr 73
		.amdhsa_reserve_vcc 1
		.amdhsa_float_round_mode_32 0
		.amdhsa_float_round_mode_16_64 0
		.amdhsa_float_denorm_mode_32 3
		.amdhsa_float_denorm_mode_16_64 3
		.amdhsa_fp16_overflow 0
		.amdhsa_workgroup_processor_mode 1
		.amdhsa_memory_ordered 1
		.amdhsa_forward_progress 1
		.amdhsa_inst_pref_size 135
		.amdhsa_round_robin_scheduling 0
		.amdhsa_exception_fp_ieee_invalid_op 0
		.amdhsa_exception_fp_denorm_src 0
		.amdhsa_exception_fp_ieee_div_zero 0
		.amdhsa_exception_fp_ieee_overflow 0
		.amdhsa_exception_fp_ieee_underflow 0
		.amdhsa_exception_fp_ieee_inexact 0
		.amdhsa_exception_int_div_zero 0
	.end_amdhsa_kernel
	.section	.text._ZN2at6native12_GLOBAL__N_16kernel17gru_cell_backwardIddlLi2EEEvNS_4cuda6detail10TensorInfoIT_T1_EES9_S9_S9_S9_S8_S8_,"axG",@progbits,_ZN2at6native12_GLOBAL__N_16kernel17gru_cell_backwardIddlLi2EEEvNS_4cuda6detail10TensorInfoIT_T1_EES9_S9_S9_S9_S8_S8_,comdat
.Lfunc_end51:
	.size	_ZN2at6native12_GLOBAL__N_16kernel17gru_cell_backwardIddlLi2EEEvNS_4cuda6detail10TensorInfoIT_T1_EES9_S9_S9_S9_S8_S8_, .Lfunc_end51-_ZN2at6native12_GLOBAL__N_16kernel17gru_cell_backwardIddlLi2EEEvNS_4cuda6detail10TensorInfoIT_T1_EES9_S9_S9_S9_S8_S8_
                                        ; -- End function
	.set _ZN2at6native12_GLOBAL__N_16kernel17gru_cell_backwardIddlLi2EEEvNS_4cuda6detail10TensorInfoIT_T1_EES9_S9_S9_S9_S8_S8_.num_vgpr, 45
	.set _ZN2at6native12_GLOBAL__N_16kernel17gru_cell_backwardIddlLi2EEEvNS_4cuda6detail10TensorInfoIT_T1_EES9_S9_S9_S9_S8_S8_.num_agpr, 0
	.set _ZN2at6native12_GLOBAL__N_16kernel17gru_cell_backwardIddlLi2EEEvNS_4cuda6detail10TensorInfoIT_T1_EES9_S9_S9_S9_S8_S8_.numbered_sgpr, 73
	.set _ZN2at6native12_GLOBAL__N_16kernel17gru_cell_backwardIddlLi2EEEvNS_4cuda6detail10TensorInfoIT_T1_EES9_S9_S9_S9_S8_S8_.num_named_barrier, 0
	.set _ZN2at6native12_GLOBAL__N_16kernel17gru_cell_backwardIddlLi2EEEvNS_4cuda6detail10TensorInfoIT_T1_EES9_S9_S9_S9_S8_S8_.private_seg_size, 0
	.set _ZN2at6native12_GLOBAL__N_16kernel17gru_cell_backwardIddlLi2EEEvNS_4cuda6detail10TensorInfoIT_T1_EES9_S9_S9_S9_S8_S8_.uses_vcc, 1
	.set _ZN2at6native12_GLOBAL__N_16kernel17gru_cell_backwardIddlLi2EEEvNS_4cuda6detail10TensorInfoIT_T1_EES9_S9_S9_S9_S8_S8_.uses_flat_scratch, 0
	.set _ZN2at6native12_GLOBAL__N_16kernel17gru_cell_backwardIddlLi2EEEvNS_4cuda6detail10TensorInfoIT_T1_EES9_S9_S9_S9_S8_S8_.has_dyn_sized_stack, 0
	.set _ZN2at6native12_GLOBAL__N_16kernel17gru_cell_backwardIddlLi2EEEvNS_4cuda6detail10TensorInfoIT_T1_EES9_S9_S9_S9_S8_S8_.has_recursion, 0
	.set _ZN2at6native12_GLOBAL__N_16kernel17gru_cell_backwardIddlLi2EEEvNS_4cuda6detail10TensorInfoIT_T1_EES9_S9_S9_S9_S8_S8_.has_indirect_call, 0
	.section	.AMDGPU.csdata,"",@progbits
; Kernel info:
; codeLenInByte = 17192
; TotalNumSgprs: 75
; NumVgprs: 45
; ScratchSize: 0
; MemoryBound: 0
; FloatMode: 240
; IeeeMode: 1
; LDSByteSize: 0 bytes/workgroup (compile time only)
; SGPRBlocks: 0
; VGPRBlocks: 5
; NumSGPRsForWavesPerEU: 75
; NumVGPRsForWavesPerEU: 45
; Occupancy: 16
; WaveLimiterHint : 1
; COMPUTE_PGM_RSRC2:SCRATCH_EN: 0
; COMPUTE_PGM_RSRC2:USER_SGPR: 2
; COMPUTE_PGM_RSRC2:TRAP_HANDLER: 0
; COMPUTE_PGM_RSRC2:TGID_X_EN: 1
; COMPUTE_PGM_RSRC2:TGID_Y_EN: 0
; COMPUTE_PGM_RSRC2:TGID_Z_EN: 0
; COMPUTE_PGM_RSRC2:TIDIG_COMP_CNT: 0
	.section	.text._ZN2at6native12_GLOBAL__N_16kernel17gru_cell_backwardIffiLi1EEEvNS_4cuda6detail10TensorInfoIT_T1_EES9_S9_S9_S9_S8_S8_,"axG",@progbits,_ZN2at6native12_GLOBAL__N_16kernel17gru_cell_backwardIffiLi1EEEvNS_4cuda6detail10TensorInfoIT_T1_EES9_S9_S9_S9_S8_S8_,comdat
	.globl	_ZN2at6native12_GLOBAL__N_16kernel17gru_cell_backwardIffiLi1EEEvNS_4cuda6detail10TensorInfoIT_T1_EES9_S9_S9_S9_S8_S8_ ; -- Begin function _ZN2at6native12_GLOBAL__N_16kernel17gru_cell_backwardIffiLi1EEEvNS_4cuda6detail10TensorInfoIT_T1_EES9_S9_S9_S9_S8_S8_
	.p2align	8
	.type	_ZN2at6native12_GLOBAL__N_16kernel17gru_cell_backwardIffiLi1EEEvNS_4cuda6detail10TensorInfoIT_T1_EES9_S9_S9_S9_S8_S8_,@function
_ZN2at6native12_GLOBAL__N_16kernel17gru_cell_backwardIffiLi1EEEvNS_4cuda6detail10TensorInfoIT_T1_EES9_S9_S9_S9_S8_S8_: ; @_ZN2at6native12_GLOBAL__N_16kernel17gru_cell_backwardIffiLi1EEEvNS_4cuda6detail10TensorInfoIT_T1_EES9_S9_S9_S9_S8_S8_
; %bb.0:
	s_clause 0x1
	s_load_b32 s4, s[0:1], 0x44c
	s_load_b64 s[2:3], s[0:1], 0x438
	s_wait_kmcnt 0x0
	s_and_b32 s20, s4, 0xffff
	s_mov_b32 s4, exec_lo
	v_mad_co_u64_u32 v[0:1], null, ttmp9, s20, v[0:1]
	s_delay_alu instid0(VALU_DEP_1)
	v_cmpx_gt_i32_e64 s3, v0
	s_cbranch_execz .LBB52_3
; %bb.1:
	s_abs_i32 s14, s2
	s_add_nc_u64 s[8:9], s[0:1], 0x440
	s_cvt_f32_u32 s4, s14
	s_sub_co_i32 s25, 0, s14
	s_lshl_b32 s18, s2, 2
	s_lshl_b32 s19, s2, 1
	v_rcp_iflag_f32_e32 v1, s4
	s_clause 0x3
	s_load_b64 s[4:5], s[0:1], 0x1b0
	s_load_b32 s21, s[0:1], 0x21c
	s_load_b64 s[6:7], s[0:1], 0x288
	s_load_b32 s23, s[0:1], 0x2f4
	s_load_b32 s22, s[8:9], 0x0
	s_clause 0x5
	s_load_b64 s[8:9], s[0:1], 0x0
	s_load_b32 s15, s[0:1], 0x6c
	s_load_b64 s[10:11], s[0:1], 0xd8
	s_load_b32 s16, s[0:1], 0x144
	;; [unrolled: 2-line block ×3, first 2 shown]
	s_ashr_i32 s1, s2, 31
	v_readfirstlane_b32 s17, v1
	s_wait_kmcnt 0x0
	v_mul_lo_u32 v1, v0, s21
	v_mul_lo_u32 v3, v0, s23
	s_mul_f32 s24, s17, 0x4f7ffffe
	s_mul_i32 s20, s22, s20
	s_mov_b32 s17, 0
	s_wait_alu 0xfffe
	s_mul_i32 s21, s20, s21
	s_cvt_u32_f32 s24, s24
	s_mul_i32 s23, s20, s23
	s_delay_alu instid0(SALU_CYCLE_2) | instskip(NEXT) | instid1(SALU_CYCLE_1)
	s_mul_i32 s25, s25, s24
	s_mul_hi_u32 s22, s24, s25
	s_wait_alu 0xfffe
	s_add_co_i32 s22, s24, s22
.LBB52_2:                               ; =>This Inner Loop Header: Depth=1
	v_sub_nc_u32_e32 v4, 0, v0
	v_ashrrev_i32_e32 v5, 31, v0
	v_ashrrev_i32_e32 v2, 31, v1
	s_delay_alu instid0(VALU_DEP_3) | instskip(NEXT) | instid1(VALU_DEP_3)
	v_max_i32_e32 v6, v0, v4
	v_xor_b32_e32 v14, s1, v5
	s_delay_alu instid0(VALU_DEP_3) | instskip(SKIP_1) | instid1(VALU_DEP_3)
	v_lshlrev_b64_e32 v[4:5], 2, v[1:2]
	s_wait_alu 0xfffe
	v_mul_hi_u32 v2, v6, s22
	s_delay_alu instid0(VALU_DEP_2) | instskip(SKIP_1) | instid1(VALU_DEP_3)
	v_add_co_u32 v4, vcc_lo, s4, v4
	s_wait_alu 0xfffd
	v_add_co_ci_u32_e64 v5, null, s5, v5, vcc_lo
	global_load_b32 v19, v[4:5], off
	v_mul_lo_u32 v4, v2, s14
	v_add_nc_u32_e32 v5, 1, v2
	s_delay_alu instid0(VALU_DEP_2) | instskip(NEXT) | instid1(VALU_DEP_1)
	v_sub_nc_u32_e32 v4, v6, v4
	v_subrev_nc_u32_e32 v6, s14, v4
	v_cmp_le_u32_e32 vcc_lo, s14, v4
	s_wait_alu 0xfffd
	v_dual_cndmask_b32 v2, v2, v5 :: v_dual_lshlrev_b32 v7, 2, v14
	s_delay_alu instid0(VALU_DEP_3) | instskip(NEXT) | instid1(VALU_DEP_2)
	v_cndmask_b32_e32 v4, v4, v6, vcc_lo
	v_add_nc_u32_e32 v5, 1, v2
	s_delay_alu instid0(VALU_DEP_2) | instskip(SKIP_1) | instid1(VALU_DEP_2)
	v_cmp_le_u32_e32 vcc_lo, s14, v4
	s_wait_alu 0xfffd
	v_cndmask_b32_e32 v2, v2, v5, vcc_lo
	s_delay_alu instid0(VALU_DEP_1) | instskip(NEXT) | instid1(VALU_DEP_1)
	v_xor_b32_e32 v2, v2, v14
	v_lshlrev_b32_e32 v4, 2, v2
	v_sub_nc_u32_e32 v15, v2, v14
	v_lshlrev_b32_e32 v2, 1, v2
	s_delay_alu instid0(VALU_DEP_3) | instskip(NEXT) | instid1(VALU_DEP_3)
	v_sub_nc_u32_e32 v6, v4, v7
	v_mad_co_u64_u32 v[4:5], null, s18, v15, v[0:1]
	s_delay_alu instid0(VALU_DEP_2)
	v_or_b32_e32 v5, 1, v6
	v_or_b32_e32 v8, 2, v6
	;; [unrolled: 1-line block ×3, first 2 shown]
	v_add_nc_u32_e32 v10, 4, v6
	v_mul_lo_u32 v4, v4, s0
	v_mad_co_u64_u32 v[6:7], null, s2, v5, v[0:1]
	v_mad_co_u64_u32 v[7:8], null, s2, v8, v[0:1]
	;; [unrolled: 1-line block ×4, first 2 shown]
	s_delay_alu instid0(VALU_DEP_4)
	v_mul_lo_u32 v6, v6, s0
	v_ashrrev_i32_e32 v5, 31, v4
	v_mul_lo_u32 v10, v7, s0
	v_add_nc_u32_e32 v1, s21, v1
	v_mul_lo_u32 v8, v8, s0
	v_mul_lo_u32 v12, v9, s0
	v_lshlrev_b64_e32 v[4:5], 2, v[4:5]
	v_ashrrev_i32_e32 v7, 31, v6
	v_ashrrev_i32_e32 v11, 31, v10
	;; [unrolled: 1-line block ×3, first 2 shown]
	s_delay_alu instid0(VALU_DEP_4) | instskip(NEXT) | instid1(VALU_DEP_4)
	v_add_co_u32 v4, vcc_lo, s12, v4
	v_lshlrev_b64_e32 v[6:7], 2, v[6:7]
	v_ashrrev_i32_e32 v13, 31, v12
	s_wait_alu 0xfffd
	v_add_co_ci_u32_e64 v5, null, s13, v5, vcc_lo
	v_lshlrev_b64_e32 v[10:11], 2, v[10:11]
	v_lshlrev_b64_e32 v[8:9], 2, v[8:9]
	v_lshlrev_b64_e32 v[12:13], 2, v[12:13]
	global_load_b32 v20, v[4:5], off
	v_add_co_u32 v4, vcc_lo, s12, v6
	s_wait_alu 0xfffd
	v_add_co_ci_u32_e64 v5, null, s13, v7, vcc_lo
	v_add_co_u32 v6, vcc_lo, s12, v10
	s_wait_alu 0xfffd
	v_add_co_ci_u32_e64 v7, null, s13, v11, vcc_lo
	v_add_co_u32 v8, vcc_lo, s12, v8
	s_wait_alu 0xfffd
	v_add_co_ci_u32_e64 v9, null, s13, v9, vcc_lo
	v_add_co_u32 v10, vcc_lo, s12, v12
	s_wait_alu 0xfffd
	v_add_co_ci_u32_e64 v11, null, s13, v13, vcc_lo
	s_clause 0x3
	global_load_b32 v21, v[4:5], off
	global_load_b32 v22, v[6:7], off
	;; [unrolled: 1-line block ×4, first 2 shown]
	v_lshlrev_b32_e32 v8, 1, v14
	v_mad_co_u64_u32 v[6:7], null, s19, v15, v[0:1]
	v_ashrrev_i32_e32 v4, 31, v3
	s_delay_alu instid0(VALU_DEP_3) | instskip(NEXT) | instid1(VALU_DEP_2)
	v_sub_nc_u32_e32 v2, v2, v8
	v_lshlrev_b64_e32 v[4:5], 2, v[3:4]
	s_delay_alu instid0(VALU_DEP_4) | instskip(NEXT) | instid1(VALU_DEP_3)
	v_mul_lo_u32 v7, v6, s15
	v_or_b32_e32 v8, 1, v2
	v_add_nc_u32_e32 v2, 2, v2
	v_mul_lo_u32 v9, v6, s16
	v_add_nc_u32_e32 v3, s23, v3
	v_add_co_u32 v4, vcc_lo, s6, v4
	v_mad_co_u64_u32 v[11:12], null, s2, v8, v[0:1]
	v_mad_co_u64_u32 v[12:13], null, s2, v2, v[0:1]
	v_ashrrev_i32_e32 v8, 31, v7
	v_add_nc_u32_e32 v0, s20, v0
	v_ashrrev_i32_e32 v10, 31, v9
	s_wait_alu 0xfffd
	v_add_co_ci_u32_e64 v5, null, s7, v5, vcc_lo
	v_mul_lo_u32 v6, v11, s15
	v_mul_lo_u32 v13, v12, s15
	;; [unrolled: 1-line block ×4, first 2 shown]
	v_lshlrev_b64_e32 v[17:18], 2, v[7:8]
	v_lshlrev_b64_e32 v[8:9], 2, v[9:10]
	v_ashrrev_i32_e32 v7, 31, v6
	v_ashrrev_i32_e32 v14, 31, v13
	;; [unrolled: 1-line block ×4, first 2 shown]
	s_delay_alu instid0(VALU_DEP_4) | instskip(NEXT) | instid1(VALU_DEP_4)
	v_lshlrev_b64_e32 v[6:7], 2, v[6:7]
	v_lshlrev_b64_e32 v[13:14], 2, v[13:14]
	s_delay_alu instid0(VALU_DEP_4) | instskip(NEXT) | instid1(VALU_DEP_4)
	v_lshlrev_b64_e32 v[10:11], 2, v[11:12]
	v_lshlrev_b64_e32 v[15:16], 2, v[15:16]
	s_wait_loadcnt 0x3
	v_dual_sub_f32 v2, 1.0, v20 :: v_dual_mul_f32 v25, v21, v19
	s_wait_loadcnt 0x1
	v_sub_f32_e32 v23, v23, v22
	v_cmp_le_i32_e32 vcc_lo, s3, v0
	v_fma_f32 v22, -v22, v22, 1.0
	s_or_b32 s17, vcc_lo, s17
	v_add_co_u32 v17, vcc_lo, s8, v17
	s_wait_alu 0xfffd
	v_add_co_ci_u32_e64 v18, null, s9, v18, vcc_lo
	v_add_co_u32 v8, vcc_lo, s10, v8
	s_wait_alu 0xfffd
	v_add_co_ci_u32_e64 v9, null, s11, v9, vcc_lo
	;; [unrolled: 3-line block ×6, first 2 shown]
	v_sub_f32_e32 v16, 1.0, v21
	s_delay_alu instid0(VALU_DEP_1) | instskip(NEXT) | instid1(VALU_DEP_1)
	v_mul_f32_e32 v26, v16, v19
	v_dual_mul_f32 v19, v23, v19 :: v_dual_mul_f32 v22, v22, v26
	s_delay_alu instid0(VALU_DEP_1) | instskip(SKIP_1) | instid1(VALU_DEP_1)
	v_mul_f32_e32 v16, v16, v19
	s_wait_loadcnt 0x0
	v_dual_mul_f32 v19, v24, v22 :: v_dual_mul_f32 v16, v21, v16
	s_delay_alu instid0(VALU_DEP_1) | instskip(NEXT) | instid1(VALU_DEP_1)
	v_dual_mul_f32 v21, v20, v22 :: v_dual_mul_f32 v2, v2, v19
	v_mul_f32_e32 v2, v20, v2
	s_clause 0x2
	global_store_b32 v[17:18], v2, off
	global_store_b32 v[6:7], v16, off
	;; [unrolled: 1-line block ×3, first 2 shown]
	s_clause 0x2
	global_store_b32 v[8:9], v2, off
	global_store_b32 v[10:11], v16, off
	;; [unrolled: 1-line block ×4, first 2 shown]
	s_wait_alu 0xfffe
	s_and_not1_b32 exec_lo, exec_lo, s17
	s_cbranch_execnz .LBB52_2
.LBB52_3:
	s_endpgm
	.section	.rodata,"a",@progbits
	.p2align	6, 0x0
	.amdhsa_kernel _ZN2at6native12_GLOBAL__N_16kernel17gru_cell_backwardIffiLi1EEEvNS_4cuda6detail10TensorInfoIT_T1_EES9_S9_S9_S9_S8_S8_
		.amdhsa_group_segment_fixed_size 0
		.amdhsa_private_segment_fixed_size 0
		.amdhsa_kernarg_size 1344
		.amdhsa_user_sgpr_count 2
		.amdhsa_user_sgpr_dispatch_ptr 0
		.amdhsa_user_sgpr_queue_ptr 0
		.amdhsa_user_sgpr_kernarg_segment_ptr 1
		.amdhsa_user_sgpr_dispatch_id 0
		.amdhsa_user_sgpr_private_segment_size 0
		.amdhsa_wavefront_size32 1
		.amdhsa_uses_dynamic_stack 0
		.amdhsa_enable_private_segment 0
		.amdhsa_system_sgpr_workgroup_id_x 1
		.amdhsa_system_sgpr_workgroup_id_y 0
		.amdhsa_system_sgpr_workgroup_id_z 0
		.amdhsa_system_sgpr_workgroup_info 0
		.amdhsa_system_vgpr_workitem_id 0
		.amdhsa_next_free_vgpr 27
		.amdhsa_next_free_sgpr 26
		.amdhsa_reserve_vcc 1
		.amdhsa_float_round_mode_32 0
		.amdhsa_float_round_mode_16_64 0
		.amdhsa_float_denorm_mode_32 3
		.amdhsa_float_denorm_mode_16_64 3
		.amdhsa_fp16_overflow 0
		.amdhsa_workgroup_processor_mode 1
		.amdhsa_memory_ordered 1
		.amdhsa_forward_progress 1
		.amdhsa_inst_pref_size 10
		.amdhsa_round_robin_scheduling 0
		.amdhsa_exception_fp_ieee_invalid_op 0
		.amdhsa_exception_fp_denorm_src 0
		.amdhsa_exception_fp_ieee_div_zero 0
		.amdhsa_exception_fp_ieee_overflow 0
		.amdhsa_exception_fp_ieee_underflow 0
		.amdhsa_exception_fp_ieee_inexact 0
		.amdhsa_exception_int_div_zero 0
	.end_amdhsa_kernel
	.section	.text._ZN2at6native12_GLOBAL__N_16kernel17gru_cell_backwardIffiLi1EEEvNS_4cuda6detail10TensorInfoIT_T1_EES9_S9_S9_S9_S8_S8_,"axG",@progbits,_ZN2at6native12_GLOBAL__N_16kernel17gru_cell_backwardIffiLi1EEEvNS_4cuda6detail10TensorInfoIT_T1_EES9_S9_S9_S9_S8_S8_,comdat
.Lfunc_end52:
	.size	_ZN2at6native12_GLOBAL__N_16kernel17gru_cell_backwardIffiLi1EEEvNS_4cuda6detail10TensorInfoIT_T1_EES9_S9_S9_S9_S8_S8_, .Lfunc_end52-_ZN2at6native12_GLOBAL__N_16kernel17gru_cell_backwardIffiLi1EEEvNS_4cuda6detail10TensorInfoIT_T1_EES9_S9_S9_S9_S8_S8_
                                        ; -- End function
	.set _ZN2at6native12_GLOBAL__N_16kernel17gru_cell_backwardIffiLi1EEEvNS_4cuda6detail10TensorInfoIT_T1_EES9_S9_S9_S9_S8_S8_.num_vgpr, 27
	.set _ZN2at6native12_GLOBAL__N_16kernel17gru_cell_backwardIffiLi1EEEvNS_4cuda6detail10TensorInfoIT_T1_EES9_S9_S9_S9_S8_S8_.num_agpr, 0
	.set _ZN2at6native12_GLOBAL__N_16kernel17gru_cell_backwardIffiLi1EEEvNS_4cuda6detail10TensorInfoIT_T1_EES9_S9_S9_S9_S8_S8_.numbered_sgpr, 26
	.set _ZN2at6native12_GLOBAL__N_16kernel17gru_cell_backwardIffiLi1EEEvNS_4cuda6detail10TensorInfoIT_T1_EES9_S9_S9_S9_S8_S8_.num_named_barrier, 0
	.set _ZN2at6native12_GLOBAL__N_16kernel17gru_cell_backwardIffiLi1EEEvNS_4cuda6detail10TensorInfoIT_T1_EES9_S9_S9_S9_S8_S8_.private_seg_size, 0
	.set _ZN2at6native12_GLOBAL__N_16kernel17gru_cell_backwardIffiLi1EEEvNS_4cuda6detail10TensorInfoIT_T1_EES9_S9_S9_S9_S8_S8_.uses_vcc, 1
	.set _ZN2at6native12_GLOBAL__N_16kernel17gru_cell_backwardIffiLi1EEEvNS_4cuda6detail10TensorInfoIT_T1_EES9_S9_S9_S9_S8_S8_.uses_flat_scratch, 0
	.set _ZN2at6native12_GLOBAL__N_16kernel17gru_cell_backwardIffiLi1EEEvNS_4cuda6detail10TensorInfoIT_T1_EES9_S9_S9_S9_S8_S8_.has_dyn_sized_stack, 0
	.set _ZN2at6native12_GLOBAL__N_16kernel17gru_cell_backwardIffiLi1EEEvNS_4cuda6detail10TensorInfoIT_T1_EES9_S9_S9_S9_S8_S8_.has_recursion, 0
	.set _ZN2at6native12_GLOBAL__N_16kernel17gru_cell_backwardIffiLi1EEEvNS_4cuda6detail10TensorInfoIT_T1_EES9_S9_S9_S9_S8_S8_.has_indirect_call, 0
	.section	.AMDGPU.csdata,"",@progbits
; Kernel info:
; codeLenInByte = 1268
; TotalNumSgprs: 28
; NumVgprs: 27
; ScratchSize: 0
; MemoryBound: 0
; FloatMode: 240
; IeeeMode: 1
; LDSByteSize: 0 bytes/workgroup (compile time only)
; SGPRBlocks: 0
; VGPRBlocks: 3
; NumSGPRsForWavesPerEU: 28
; NumVGPRsForWavesPerEU: 27
; Occupancy: 16
; WaveLimiterHint : 1
; COMPUTE_PGM_RSRC2:SCRATCH_EN: 0
; COMPUTE_PGM_RSRC2:USER_SGPR: 2
; COMPUTE_PGM_RSRC2:TRAP_HANDLER: 0
; COMPUTE_PGM_RSRC2:TGID_X_EN: 1
; COMPUTE_PGM_RSRC2:TGID_Y_EN: 0
; COMPUTE_PGM_RSRC2:TGID_Z_EN: 0
; COMPUTE_PGM_RSRC2:TIDIG_COMP_CNT: 0
	.section	.text._ZN2at6native12_GLOBAL__N_16kernel17gru_cell_backwardIffiLi2EEEvNS_4cuda6detail10TensorInfoIT_T1_EES9_S9_S9_S9_S8_S8_,"axG",@progbits,_ZN2at6native12_GLOBAL__N_16kernel17gru_cell_backwardIffiLi2EEEvNS_4cuda6detail10TensorInfoIT_T1_EES9_S9_S9_S9_S8_S8_,comdat
	.globl	_ZN2at6native12_GLOBAL__N_16kernel17gru_cell_backwardIffiLi2EEEvNS_4cuda6detail10TensorInfoIT_T1_EES9_S9_S9_S9_S8_S8_ ; -- Begin function _ZN2at6native12_GLOBAL__N_16kernel17gru_cell_backwardIffiLi2EEEvNS_4cuda6detail10TensorInfoIT_T1_EES9_S9_S9_S9_S8_S8_
	.p2align	8
	.type	_ZN2at6native12_GLOBAL__N_16kernel17gru_cell_backwardIffiLi2EEEvNS_4cuda6detail10TensorInfoIT_T1_EES9_S9_S9_S9_S8_S8_,@function
_ZN2at6native12_GLOBAL__N_16kernel17gru_cell_backwardIffiLi2EEEvNS_4cuda6detail10TensorInfoIT_T1_EES9_S9_S9_S9_S8_S8_: ; @_ZN2at6native12_GLOBAL__N_16kernel17gru_cell_backwardIffiLi2EEEvNS_4cuda6detail10TensorInfoIT_T1_EES9_S9_S9_S9_S8_S8_
; %bb.0:
	s_clause 0x1
	s_load_b32 s2, s[0:1], 0x44c
	s_load_b64 s[4:5], s[0:1], 0x438
	s_mov_b32 s3, exec_lo
	s_wait_kmcnt 0x0
	s_and_b32 s2, s2, 0xffff
	s_delay_alu instid0(SALU_CYCLE_1) | instskip(NEXT) | instid1(VALU_DEP_1)
	v_mad_co_u64_u32 v[0:1], null, ttmp9, s2, v[0:1]
	v_cmpx_gt_i32_e64 s5, v0
	s_cbranch_execz .LBB53_3
; %bb.1:
	s_clause 0x4
	s_load_b32 s3, s[0:1], 0x36c
	s_load_b32 s27, s[0:1], 0xe4
	s_load_b64 s[6:7], s[0:1], 0x144
	s_load_b64 s[8:9], s[0:1], 0x1b0
	s_load_b32 s51, s[0:1], 0x1bc
	s_abs_i32 s26, s4
	s_add_nc_u64 s[16:17], s[0:1], 0x440
	s_cvt_f32_u32 s18, s26
	s_clause 0x4
	s_load_b64 s[10:11], s[0:1], 0x0
	s_load_b32 s28, s[0:1], 0xc
	s_load_b64 s[12:13], s[0:1], 0x6c
	s_load_b64 s[14:15], s[0:1], 0xd8
	s_load_b32 s52, s[0:1], 0x294
	s_load_b32 s38, s[16:17], 0x0
	s_ashr_i32 s30, s4, 31
	s_mov_b32 s31, 0
	v_rcp_iflag_f32_e32 v1, s18
	s_clause 0x4
	s_load_b64 s[16:17], s[0:1], 0x21c
	s_load_b64 s[18:19], s[0:1], 0x288
	;; [unrolled: 1-line block ×5, first 2 shown]
	s_sub_co_i32 s1, 0, s26
	s_lshl_b32 s49, s4, 2
	s_lshl_b32 s50, s4, 1
	v_readfirstlane_b32 s39, v1
	s_wait_kmcnt 0x0
	s_abs_i32 s36, s27
	s_abs_i32 s29, s3
	;; [unrolled: 1-line block ×3, first 2 shown]
	s_cvt_f32_u32 s0, s29
	s_abs_i32 s35, s28
	s_mul_f32 s39, s39, 0x4f7ffffe
	s_cvt_f32_u32 s40, s35
	s_wait_alu 0xfffe
	v_rcp_iflag_f32_e32 v1, s0
	s_cvt_f32_u32 s0, s34
	s_cvt_u32_f32 s39, s39
	s_abs_i32 s37, s52
	s_cvt_f32_u32 s41, s36
	s_wait_alu 0xfffe
	v_rcp_iflag_f32_e32 v2, s0
	s_mul_i32 s1, s1, s39
	s_mul_i32 s38, s38, s2
	s_sub_co_i32 s2, 0, s29
	s_wait_alu 0xfffe
	s_mul_hi_u32 s1, s39, s1
	v_readfirstlane_b32 s0, v1
	v_rcp_iflag_f32_e32 v1, s40
	s_cvt_f32_u32 s42, s37
	s_wait_alu 0xfffe
	s_add_co_i32 s39, s39, s1
	s_sub_co_i32 s46, 0, s37
	s_mul_f32 s0, s0, 0x4f7ffffe
	v_readfirstlane_b32 s40, v2
	v_rcp_iflag_f32_e32 v2, s42
	s_ashr_i32 s33, s3, 31
	s_wait_alu 0xfffe
	s_cvt_u32_f32 s0, s0
	s_mul_f32 s1, s40, 0x4f7ffffe
	v_readfirstlane_b32 s43, v1
	s_wait_alu 0xfffe
	s_mul_i32 s2, s2, s0
	v_rcp_iflag_f32_e32 v1, s41
	s_wait_alu 0xfffe
	s_mul_hi_u32 s2, s0, s2
	s_ashr_i32 s41, s51, 31
	s_wait_alu 0xfffe
	s_add_co_i32 s40, s0, s2
	s_cvt_u32_f32 s0, s1
	s_sub_co_i32 s1, 0, s34
	s_mul_f32 s2, s43, 0x4f7ffffe
	s_sub_co_i32 s43, 0, s35
	s_wait_alu 0xfffe
	s_mul_i32 s1, s1, s0
	s_sub_co_i32 s51, 0, s51
	s_wait_alu 0xfffe
	s_mul_hi_u32 s1, s0, s1
	v_readfirstlane_b32 s44, v1
	s_cvt_u32_f32 s2, s2
	s_wait_alu 0xfffe
	s_add_co_i32 s42, s0, s1
	v_readfirstlane_b32 s0, v2
	s_mul_i32 s43, s43, s2
	s_mul_f32 s45, s44, 0x4f7ffffe
	s_wait_alu 0xfffe
	s_mul_hi_u32 s1, s2, s43
	s_mul_f32 s0, s0, 0x4f7ffffe
	s_wait_alu 0xfffe
	s_add_co_i32 s44, s2, s1
	s_cvt_u32_f32 s1, s45
	s_sub_co_i32 s2, 0, s36
	s_cvt_u32_f32 s0, s0
	s_ashr_i32 s43, s28, 31
	s_wait_alu 0xfffe
	s_mul_i32 s2, s2, s1
	s_ashr_i32 s45, s27, 31
	s_wait_alu 0xfffe
	s_mul_hi_u32 s2, s1, s2
	s_mul_i32 s47, s46, s0
	s_wait_alu 0xfffe
	s_add_co_i32 s46, s1, s2
	s_mul_hi_u32 s1, s0, s47
	s_ashr_i32 s47, s52, 31
	s_wait_alu 0xfffe
	s_add_co_i32 s48, s0, s1
	s_sub_co_i32 s52, 0, s52
.LBB53_2:                               ; =>This Inner Loop Header: Depth=1
	v_sub_nc_u32_e32 v1, 0, v0
	v_ashrrev_i32_e32 v2, 31, v0
	s_delay_alu instid0(VALU_DEP_2) | instskip(NEXT) | instid1(VALU_DEP_2)
	v_max_i32_e32 v1, v0, v1
	v_xor_b32_e32 v3, s30, v2
	v_xor_b32_e32 v4, s41, v2
	;; [unrolled: 1-line block ×3, first 2 shown]
	s_delay_alu instid0(VALU_DEP_4) | instskip(SKIP_1) | instid1(VALU_DEP_2)
	v_mul_hi_u32 v5, v1, s39
	v_mul_hi_u32 v6, v1, s42
	v_mul_lo_u32 v8, v5, s26
	s_delay_alu instid0(VALU_DEP_2) | instskip(SKIP_2) | instid1(VALU_DEP_4)
	v_mul_lo_u32 v9, v6, s34
	v_add_nc_u32_e32 v10, 1, v5
	v_add_nc_u32_e32 v11, 1, v6
	v_sub_nc_u32_e32 v8, v1, v8
	s_delay_alu instid0(VALU_DEP_4) | instskip(NEXT) | instid1(VALU_DEP_2)
	v_sub_nc_u32_e32 v9, v1, v9
	v_subrev_nc_u32_e32 v12, s26, v8
	v_cmp_le_u32_e32 vcc_lo, s26, v8
	s_delay_alu instid0(VALU_DEP_3) | instskip(SKIP_1) | instid1(VALU_DEP_3)
	v_cmp_le_u32_e64 s0, s34, v9
	s_wait_alu 0xfffd
	v_dual_cndmask_b32 v8, v8, v12 :: v_dual_lshlrev_b32 v7, 2, v3
	v_cndmask_b32_e32 v5, v5, v10, vcc_lo
	v_subrev_nc_u32_e32 v10, s34, v9
	s_wait_alu 0xf1ff
	v_cndmask_b32_e64 v6, v6, v11, s0
	v_cmp_le_u32_e32 vcc_lo, s26, v8
	s_delay_alu instid0(VALU_DEP_3) | instskip(NEXT) | instid1(VALU_DEP_3)
	v_cndmask_b32_e64 v9, v9, v10, s0
	v_add_nc_u32_e32 v10, 1, v6
	v_add_nc_u32_e32 v11, 1, v5
	s_wait_alu 0xfffd
	s_delay_alu instid0(VALU_DEP_1) | instskip(SKIP_1) | instid1(VALU_DEP_2)
	v_cndmask_b32_e32 v5, v5, v11, vcc_lo
	v_cmp_le_u32_e32 vcc_lo, s34, v9
	v_xor_b32_e32 v15, v5, v3
	s_wait_alu 0xfffd
	v_cndmask_b32_e32 v6, v6, v10, vcc_lo
	s_delay_alu instid0(VALU_DEP_2) | instskip(NEXT) | instid1(VALU_DEP_2)
	v_sub_nc_u32_e32 v16, v15, v3
	v_xor_b32_e32 v5, v6, v4
	v_lshlrev_b32_e32 v6, 2, v15
	v_lshlrev_b32_e32 v3, 1, v3
	s_delay_alu instid0(VALU_DEP_4) | instskip(NEXT) | instid1(VALU_DEP_4)
	v_mul_lo_u32 v9, s49, v16
	v_sub_nc_u32_e32 v8, v5, v4
	s_delay_alu instid0(VALU_DEP_4) | instskip(NEXT) | instid1(VALU_DEP_2)
	v_sub_nc_u32_e32 v6, v6, v7
	v_mad_co_u64_u32 v[4:5], null, s51, v8, v[0:1]
	s_delay_alu instid0(VALU_DEP_2) | instskip(SKIP_3) | instid1(VALU_DEP_4)
	v_or_b32_e32 v5, 1, v6
	v_add_nc_u32_e32 v11, v0, v9
	v_or_b32_e32 v7, 2, v6
	v_or_b32_e32 v10, 3, v6
	v_mul_lo_u32 v12, s4, v5
	v_mul_lo_u32 v4, v4, s17
	v_ashrrev_i32_e32 v11, 31, v11
	v_mul_lo_u32 v7, s4, v7
	v_mul_lo_u32 v10, s4, v10
	v_add_nc_u32_e32 v13, v0, v12
	v_mad_co_u64_u32 v[4:5], null, v8, s16, v[4:5]
	v_add3_u32 v5, v11, v9, v0
	v_xor_b32_e32 v8, s33, v11
	s_delay_alu instid0(VALU_DEP_4)
	v_ashrrev_i32_e32 v13, 31, v13
	v_add_nc_u32_e32 v14, v0, v7
	v_add_nc_u32_e32 v17, v0, v10
	v_xor_b32_e32 v11, v5, v11
	v_ashrrev_i32_e32 v5, 31, v4
	v_add3_u32 v21, v13, v12, v0
	v_xor_b32_e32 v20, s33, v13
	v_ashrrev_i32_e32 v14, 31, v14
	v_mul_hi_u32 v19, v11, s40
	v_lshlrev_b64_e32 v[4:5], 2, v[4:5]
	v_xor_b32_e32 v13, v21, v13
	v_ashrrev_i32_e32 v17, 31, v17
	v_add3_u32 v23, v14, v7, v0
	v_xor_b32_e32 v22, s33, v14
	v_add_co_u32 v4, vcc_lo, s8, v4
	v_mul_lo_u32 v21, v19, s29
	s_wait_alu 0xfffd
	v_add_co_ci_u32_e64 v5, null, s9, v5, vcc_lo
	v_xor_b32_e32 v14, v23, v14
	v_add_nc_u32_e32 v23, 1, v19
	v_add3_u32 v25, v17, v10, v0
	global_load_b32 v4, v[4:5], off
	v_xor_b32_e32 v24, s33, v17
	v_sub_nc_u32_e32 v5, v11, v21
	v_xor_b32_e32 v17, v25, v17
	v_mul_hi_u32 v25, v13, s40
	s_delay_alu instid0(VALU_DEP_3)
	v_subrev_nc_u32_e32 v36, s29, v5
	v_cmp_le_u32_e32 vcc_lo, s29, v5
	v_add_nc_u32_e32 v6, 4, v6
	v_mul_hi_u32 v28, v17, s40
	s_wait_alu 0xfffd
	v_cndmask_b32_e32 v5, v5, v36, vcc_lo
	s_delay_alu instid0(VALU_DEP_3)
	v_mul_lo_u32 v6, s4, v6
	v_cndmask_b32_e32 v19, v19, v23, vcc_lo
	v_mul_lo_u32 v11, v25, s29
	v_add_nc_u32_e32 v21, 1, v25
	v_cmp_le_u32_e32 vcc_lo, s29, v5
	v_mul_lo_u32 v32, v28, s29
	v_add_nc_u32_e32 v23, 1, v19
	v_add_nc_u32_e32 v33, 1, v28
	;; [unrolled: 1-line block ×3, first 2 shown]
	v_sub_nc_u32_e32 v11, v13, v11
	s_wait_alu 0xfffd
	v_cndmask_b32_e32 v5, v19, v23, vcc_lo
	s_delay_alu instid0(VALU_DEP_3) | instskip(NEXT) | instid1(VALU_DEP_3)
	v_ashrrev_i32_e32 v18, 31, v18
	v_cmp_le_u32_e32 vcc_lo, s29, v11
	v_subrev_nc_u32_e32 v19, s29, v11
	s_delay_alu instid0(VALU_DEP_4) | instskip(NEXT) | instid1(VALU_DEP_4)
	v_xor_b32_e32 v5, v5, v8
	v_add3_u32 v27, v18, v6, v0
	v_xor_b32_e32 v26, s33, v18
	s_wait_alu 0xfffd
	v_cndmask_b32_e32 v11, v11, v19, vcc_lo
	v_sub_nc_u32_e32 v8, v5, v8
	v_xor_b32_e32 v18, v27, v18
	v_mul_hi_u32 v27, v14, s40
	s_delay_alu instid0(VALU_DEP_2) | instskip(NEXT) | instid1(VALU_DEP_2)
	v_mul_hi_u32 v29, v18, s40
	v_mul_lo_u32 v30, v27, s29
	v_add_nc_u32_e32 v31, 1, v27
	s_delay_alu instid0(VALU_DEP_3) | instskip(SKIP_1) | instid1(VALU_DEP_4)
	v_mul_lo_u32 v34, v29, s29
	v_add_nc_u32_e32 v35, 1, v29
	v_sub_nc_u32_e32 v13, v14, v30
	v_sub_nc_u32_e32 v14, v17, v32
	s_delay_alu instid0(VALU_DEP_4) | instskip(SKIP_1) | instid1(VALU_DEP_4)
	v_sub_nc_u32_e32 v17, v18, v34
	v_cndmask_b32_e32 v18, v25, v21, vcc_lo
	v_cmp_le_u32_e64 s0, s29, v13
	v_subrev_nc_u32_e32 v23, s29, v13
	v_cmp_le_u32_e64 s1, s29, v14
	v_cmp_le_u32_e64 s2, s29, v17
	v_add_nc_u32_e32 v19, 1, v18
	s_wait_alu 0xf1ff
	v_cndmask_b32_e64 v21, v27, v31, s0
	v_subrev_nc_u32_e32 v27, s29, v14
	v_cndmask_b32_e64 v13, v13, v23, s0
	v_cmp_le_u32_e32 vcc_lo, s29, v11
	v_cndmask_b32_e64 v25, v28, v33, s1
	v_cndmask_b32_e64 v28, v29, v35, s2
	v_subrev_nc_u32_e32 v29, s29, v17
	v_add_nc_u32_e32 v23, 1, v21
	v_cndmask_b32_e64 v14, v14, v27, s1
	s_wait_alu 0xfffd
	v_cndmask_b32_e32 v5, v18, v19, vcc_lo
	v_cmp_le_u32_e32 vcc_lo, s29, v13
	v_add_nc_u32_e32 v27, 1, v25
	v_cndmask_b32_e64 v17, v17, v29, s2
	v_add_nc_u32_e32 v29, 1, v28
	v_xor_b32_e32 v5, v5, v20
	s_wait_alu 0xfffd
	v_cndmask_b32_e32 v11, v21, v23, vcc_lo
	v_cmp_le_u32_e32 vcc_lo, s29, v14
	s_delay_alu instid0(VALU_DEP_3) | instskip(NEXT) | instid1(VALU_DEP_3)
	v_sub_nc_u32_e32 v18, v5, v20
	v_xor_b32_e32 v11, v11, v22
	s_wait_alu 0xfffd
	v_cndmask_b32_e32 v13, v25, v27, vcc_lo
	v_cmp_le_u32_e32 vcc_lo, s29, v17
	v_mul_lo_u32 v17, v8, s3
	v_sub_nc_u32_e32 v19, v11, v22
	s_delay_alu instid0(VALU_DEP_4) | instskip(SKIP_2) | instid1(VALU_DEP_3)
	v_xor_b32_e32 v13, v13, v24
	s_wait_alu 0xfffd
	v_cndmask_b32_e32 v14, v28, v29, vcc_lo
	v_mul_lo_u32 v11, v19, s3
	s_delay_alu instid0(VALU_DEP_3) | instskip(NEXT) | instid1(VALU_DEP_3)
	v_sub_nc_u32_e32 v13, v13, v24
	v_xor_b32_e32 v14, v14, v26
	v_sub_nc_u32_e32 v5, v9, v17
	v_mul_lo_u32 v9, v18, s3
	s_delay_alu instid0(VALU_DEP_3) | instskip(SKIP_1) | instid1(VALU_DEP_4)
	v_sub_nc_u32_e32 v20, v14, v26
	v_mul_lo_u32 v14, v13, s3
	v_add_nc_u32_e32 v5, v0, v5
	v_sub_nc_u32_e32 v7, v7, v11
	s_delay_alu instid0(VALU_DEP_4) | instskip(SKIP_1) | instid1(VALU_DEP_4)
	v_mul_lo_u32 v17, v20, s3
	v_sub_nc_u32_e32 v9, v12, v9
	v_mul_lo_u32 v5, v5, s25
	s_delay_alu instid0(VALU_DEP_4) | instskip(SKIP_1) | instid1(VALU_DEP_4)
	v_add_nc_u32_e32 v11, v0, v7
	v_sub_nc_u32_e32 v10, v10, v14
	v_add_nc_u32_e32 v9, v0, v9
	v_sub_nc_u32_e32 v6, v6, v17
	s_delay_alu instid0(VALU_DEP_3) | instskip(NEXT) | instid1(VALU_DEP_3)
	v_add_nc_u32_e32 v10, v0, v10
	v_mul_lo_u32 v7, v9, s25
	s_delay_alu instid0(VALU_DEP_3) | instskip(SKIP_3) | instid1(VALU_DEP_4)
	v_add_nc_u32_e32 v12, v0, v6
	v_mad_co_u64_u32 v[5:6], null, v8, s24, v[5:6]
	v_mul_lo_u32 v8, v11, s25
	v_mul_lo_u32 v9, v10, s25
	;; [unrolled: 1-line block ×3, first 2 shown]
	s_delay_alu instid0(VALU_DEP_4) | instskip(NEXT) | instid1(VALU_DEP_4)
	v_ashrrev_i32_e32 v6, 31, v5
	v_mad_co_u64_u32 v[11:12], null, v18, s24, v[7:8]
	s_delay_alu instid0(VALU_DEP_4) | instskip(NEXT) | instid1(VALU_DEP_4)
	v_mad_co_u64_u32 v[7:8], null, v19, s24, v[8:9]
	v_mad_co_u64_u32 v[13:14], null, v13, s24, v[9:10]
	s_delay_alu instid0(VALU_DEP_4) | instskip(NEXT) | instid1(VALU_DEP_4)
	v_lshlrev_b64_e32 v[5:6], 2, v[5:6]
	v_mad_co_u64_u32 v[9:10], null, v20, s24, v[10:11]
	v_ashrrev_i32_e32 v12, 31, v11
	v_ashrrev_i32_e32 v8, 31, v7
	v_ashrrev_i32_e32 v14, 31, v13
	v_add_co_u32 v5, vcc_lo, s22, v5
	s_delay_alu instid0(VALU_DEP_4)
	v_lshlrev_b64_e32 v[11:12], 2, v[11:12]
	v_ashrrev_i32_e32 v10, 31, v9
	s_wait_alu 0xfffd
	v_add_co_ci_u32_e64 v6, null, s23, v6, vcc_lo
	v_lshlrev_b64_e32 v[7:8], 2, v[7:8]
	v_lshlrev_b64_e32 v[13:14], 2, v[13:14]
	;; [unrolled: 1-line block ×3, first 2 shown]
	global_load_b32 v18, v[5:6], off
	v_add_co_u32 v5, vcc_lo, s22, v11
	s_wait_alu 0xfffd
	v_add_co_ci_u32_e64 v6, null, s23, v12, vcc_lo
	v_add_co_u32 v7, vcc_lo, s22, v7
	s_wait_alu 0xfffd
	v_add_co_ci_u32_e64 v8, null, s23, v8, vcc_lo
	;; [unrolled: 3-line block ×4, first 2 shown]
	s_clause 0x3
	global_load_b32 v19, v[5:6], off
	global_load_b32 v20, v[7:8], off
	;; [unrolled: 1-line block ×4, first 2 shown]
	v_mul_hi_u32 v5, v1, s48
	s_delay_alu instid0(VALU_DEP_1) | instskip(SKIP_1) | instid1(VALU_DEP_2)
	v_mul_lo_u32 v6, v5, s37
	v_add_nc_u32_e32 v7, 1, v5
	v_sub_nc_u32_e32 v1, v1, v6
	s_delay_alu instid0(VALU_DEP_1) | instskip(SKIP_3) | instid1(VALU_DEP_3)
	v_subrev_nc_u32_e32 v6, s37, v1
	v_cmp_le_u32_e32 vcc_lo, s37, v1
	s_wait_alu 0xfffd
	v_cndmask_b32_e32 v5, v5, v7, vcc_lo
	v_cndmask_b32_e32 v1, v1, v6, vcc_lo
	v_mul_lo_u32 v7, s50, v16
	s_delay_alu instid0(VALU_DEP_3) | instskip(NEXT) | instid1(VALU_DEP_3)
	v_add_nc_u32_e32 v6, 1, v5
	v_cmp_le_u32_e32 vcc_lo, s37, v1
	s_wait_alu 0xfffd
	s_delay_alu instid0(VALU_DEP_2) | instskip(SKIP_1) | instid1(VALU_DEP_2)
	v_cndmask_b32_e32 v1, v5, v6, vcc_lo
	v_lshlrev_b32_e32 v5, 1, v15
	v_xor_b32_e32 v1, v1, v2
	s_delay_alu instid0(VALU_DEP_2) | instskip(SKIP_1) | instid1(VALU_DEP_3)
	v_sub_nc_u32_e32 v3, v5, v3
	v_add_nc_u32_e32 v5, v0, v7
	v_sub_nc_u32_e32 v6, v1, v2
	s_delay_alu instid0(VALU_DEP_1) | instskip(NEXT) | instid1(VALU_DEP_4)
	v_mad_co_u64_u32 v[1:2], null, s52, v6, v[0:1]
	v_or_b32_e32 v2, 1, v3
	v_add_nc_u32_e32 v3, 2, v3
	s_delay_alu instid0(VALU_DEP_2) | instskip(NEXT) | instid1(VALU_DEP_4)
	v_mul_lo_u32 v8, s4, v2
	v_mul_lo_u32 v1, v1, s21
	s_delay_alu instid0(VALU_DEP_3) | instskip(SKIP_1) | instid1(VALU_DEP_4)
	v_mul_lo_u32 v9, s4, v3
	v_ashrrev_i32_e32 v3, 31, v5
	v_add_nc_u32_e32 v5, v0, v8
	s_delay_alu instid0(VALU_DEP_4) | instskip(NEXT) | instid1(VALU_DEP_3)
	v_mad_co_u64_u32 v[1:2], null, v6, s20, v[1:2]
	v_add3_u32 v2, v3, v7, v0
	v_xor_b32_e32 v6, s43, v3
	v_xor_b32_e32 v11, s45, v3
	v_ashrrev_i32_e32 v5, 31, v5
	v_add_nc_u32_e32 v10, v0, v9
	v_xor_b32_e32 v3, v2, v3
	v_ashrrev_i32_e32 v2, 31, v1
	s_delay_alu instid0(VALU_DEP_4) | instskip(SKIP_1) | instid1(VALU_DEP_4)
	v_add3_u32 v14, v5, v8, v0
	v_xor_b32_e32 v13, s43, v5
	v_mul_hi_u32 v12, v3, s44
	v_mul_hi_u32 v17, v3, s46
	v_xor_b32_e32 v23, s45, v5
	v_xor_b32_e32 v5, v14, v5
	v_ashrrev_i32_e32 v10, 31, v10
	v_lshlrev_b64_e32 v[1:2], 2, v[1:2]
	v_mul_lo_u32 v14, v12, s35
	v_mul_lo_u32 v25, v17, s36
	s_delay_alu instid0(VALU_DEP_4) | instskip(NEXT) | instid1(VALU_DEP_4)
	v_add3_u32 v16, v10, v9, v0
	v_add_co_u32 v1, vcc_lo, s18, v1
	v_mul_hi_u32 v27, v5, s44
	v_mul_hi_u32 v29, v5, s46
	v_xor_b32_e32 v15, s43, v10
	v_sub_nc_u32_e32 v14, v3, v14
	v_sub_nc_u32_e32 v3, v3, v25
	v_xor_b32_e32 v24, s45, v10
	v_xor_b32_e32 v10, v16, v10
	s_wait_alu 0xfffd
	v_add_co_ci_u32_e64 v2, null, s19, v2, vcc_lo
	v_add_nc_u32_e32 v16, 1, v12
	v_add_nc_u32_e32 v26, 1, v17
	v_cmp_le_u32_e32 vcc_lo, s35, v14
	v_cmp_le_u32_e64 s0, s36, v3
	v_mul_lo_u32 v25, v27, s35
	v_mul_lo_u32 v34, v29, s36
	v_mul_hi_u32 v28, v10, s44
	s_wait_alu 0xfffd
	v_cndmask_b32_e32 v12, v12, v16, vcc_lo
	s_wait_alu 0xf1ff
	v_cndmask_b32_e64 v16, v17, v26, s0
	v_subrev_nc_u32_e32 v17, s36, v3
	v_mul_hi_u32 v30, v10, s46
	v_add_nc_u32_e32 v35, 1, v29
	v_sub_nc_u32_e32 v25, v5, v25
	v_sub_nc_u32_e32 v5, v5, v34
	v_cndmask_b32_e64 v3, v3, v17, s0
	v_add_nc_u32_e32 v17, 1, v16
	v_subrev_nc_u32_e32 v38, s35, v14
	v_mul_lo_u32 v32, v28, s35
	v_mul_lo_u32 v36, v30, s36
	v_cmp_le_u32_e64 s1, s36, v3
	s_delay_alu instid0(VALU_DEP_4)
	v_dual_cndmask_b32 v14, v14, v38 :: v_dual_add_nc_u32 v31, 1, v27
	v_add_nc_u32_e32 v33, 1, v28
	v_add_nc_u32_e32 v37, 1, v30
	s_wait_alu 0xf1ff
	v_cndmask_b32_e64 v3, v16, v17, s1
	v_cmp_le_u32_e64 s1, s36, v5
	v_subrev_nc_u32_e32 v17, s36, v5
	v_sub_nc_u32_e32 v32, v10, v32
	v_sub_nc_u32_e32 v10, v10, v36
	v_cmp_le_u32_e32 vcc_lo, s35, v14
	s_wait_alu 0xf1ff
	v_cndmask_b32_e64 v16, v29, v35, s1
	v_cndmask_b32_e64 v5, v5, v17, s1
	v_cmp_le_u32_e64 s0, s35, v32
	v_cmp_le_u32_e64 s2, s36, v10
	v_xor_b32_e32 v3, v3, v11
	v_add_nc_u32_e32 v17, 1, v16
	v_add_nc_u32_e32 v26, 1, v12
	s_wait_alu 0xf1ff
	v_cndmask_b32_e64 v29, v30, v37, s2
	v_subrev_nc_u32_e32 v30, s36, v10
	v_sub_nc_u32_e32 v11, v3, v11
	s_wait_alu 0xfffd
	v_cndmask_b32_e32 v12, v12, v26, vcc_lo
	v_cmp_le_u32_e32 vcc_lo, s35, v25
	v_subrev_nc_u32_e32 v26, s35, v25
	v_cndmask_b32_e64 v10, v10, v30, s2
	v_add_nc_u32_e32 v30, 1, v29
	v_xor_b32_e32 v12, v12, v6
	s_wait_alu 0xfffd
	v_cndmask_b32_e32 v14, v27, v31, vcc_lo
	v_cndmask_b32_e64 v27, v28, v33, s0
	v_subrev_nc_u32_e32 v28, s35, v32
	v_cndmask_b32_e32 v25, v25, v26, vcc_lo
	v_sub_nc_u32_e32 v6, v12, v6
	v_add_nc_u32_e32 v26, 1, v14
	v_add_nc_u32_e32 v31, 1, v27
	v_cndmask_b32_e64 v28, v32, v28, s0
	v_cmp_le_u32_e32 vcc_lo, s35, v25
	s_wait_alu 0xfffd
	v_cndmask_b32_e32 v12, v14, v26, vcc_lo
	s_delay_alu instid0(VALU_DEP_3) | instskip(NEXT) | instid1(VALU_DEP_2)
	v_cmp_le_u32_e32 vcc_lo, s35, v28
	v_xor_b32_e32 v12, v12, v13
	s_wait_alu 0xfffd
	v_cndmask_b32_e32 v14, v27, v31, vcc_lo
	v_cmp_le_u32_e32 vcc_lo, s36, v5
	s_delay_alu instid0(VALU_DEP_3) | instskip(NEXT) | instid1(VALU_DEP_3)
	v_sub_nc_u32_e32 v12, v12, v13
	v_xor_b32_e32 v14, v14, v15
	s_wait_alu 0xfffd
	v_cndmask_b32_e32 v3, v16, v17, vcc_lo
	v_cmp_le_u32_e32 vcc_lo, s36, v10
	v_mul_lo_u32 v10, v6, s28
	v_mul_lo_u32 v16, v11, s27
	v_sub_nc_u32_e32 v14, v14, v15
	v_xor_b32_e32 v3, v3, v23
	s_wait_alu 0xfffd
	v_cndmask_b32_e32 v5, v29, v30, vcc_lo
	s_delay_alu instid0(VALU_DEP_2) | instskip(NEXT) | instid1(VALU_DEP_2)
	v_sub_nc_u32_e32 v17, v3, v23
	v_xor_b32_e32 v5, v5, v24
	v_sub_nc_u32_e32 v3, v7, v10
	v_mul_lo_u32 v10, v14, s28
	s_delay_alu instid0(VALU_DEP_4) | instskip(NEXT) | instid1(VALU_DEP_4)
	v_mul_lo_u32 v13, v17, s27
	v_sub_nc_u32_e32 v23, v5, v24
	v_sub_nc_u32_e32 v5, v7, v16
	v_mul_lo_u32 v7, v12, s28
	v_add_nc_u32_e32 v3, v0, v3
	s_delay_alu instid0(VALU_DEP_4) | instskip(NEXT) | instid1(VALU_DEP_4)
	v_mul_lo_u32 v15, v23, s27
	v_add_nc_u32_e32 v5, v0, v5
	v_sub_nc_u32_e32 v10, v9, v10
	s_delay_alu instid0(VALU_DEP_4)
	v_mul_lo_u32 v3, v3, s13
	v_sub_nc_u32_e32 v7, v8, v7
	v_sub_nc_u32_e32 v8, v8, v13
	v_mul_lo_u32 v5, v5, s7
	v_sub_nc_u32_e32 v9, v9, v15
	v_add_nc_u32_e32 v10, v0, v10
	v_add_nc_u32_e32 v13, v0, v7
	s_wait_loadcnt 0x5
	v_mad_co_u64_u32 v[6:7], null, v6, s12, v[3:4]
	v_add_nc_u32_e32 v15, v0, v8
	v_add_nc_u32_e32 v16, v0, v9
	v_mul_lo_u32 v3, v13, s13
	v_add_nc_u32_e32 v0, s38, v0
	v_mad_co_u64_u32 v[8:9], null, v11, s6, v[5:6]
	s_delay_alu instid0(VALU_DEP_4) | instskip(SKIP_2) | instid1(VALU_DEP_4)
	v_mul_lo_u32 v11, v16, s7
	v_ashrrev_i32_e32 v7, 31, v6
	v_mad_co_u64_u32 v[12:13], null, v12, s12, v[3:4]
	v_ashrrev_i32_e32 v9, 31, v8
	s_delay_alu instid0(VALU_DEP_2)
	v_ashrrev_i32_e32 v13, 31, v12
	s_wait_loadcnt 0x4
	v_sub_f32_e32 v3, 1.0, v18
	v_cmp_le_i32_e32 vcc_lo, s5, v0
	s_or_b32 s31, vcc_lo, s31
	s_wait_loadcnt 0x1
	v_sub_f32_e32 v21, v21, v20
	v_mul_lo_u32 v5, v10, s13
	v_mul_lo_u32 v10, v15, s7
	v_fma_f32 v20, -v20, v20, 1.0
	s_delay_alu instid0(VALU_DEP_3) | instskip(NEXT) | instid1(VALU_DEP_3)
	v_mad_co_u64_u32 v[14:15], null, v14, s12, v[5:6]
	v_mad_co_u64_u32 v[16:17], null, v17, s6, v[10:11]
	;; [unrolled: 1-line block ×3, first 2 shown]
	v_lshlrev_b64_e32 v[5:6], 2, v[6:7]
	v_lshlrev_b64_e32 v[7:8], 2, v[8:9]
	v_ashrrev_i32_e32 v15, 31, v14
	v_lshlrev_b64_e32 v[12:13], 2, v[12:13]
	v_ashrrev_i32_e32 v17, 31, v16
	v_mul_f32_e32 v23, v19, v4
	v_ashrrev_i32_e32 v11, 31, v10
	v_add_co_u32 v5, vcc_lo, s10, v5
	v_lshlrev_b64_e32 v[14:15], 2, v[14:15]
	s_wait_alu 0xfffd
	v_add_co_ci_u32_e64 v6, null, s11, v6, vcc_lo
	v_add_co_u32 v7, vcc_lo, s14, v7
	v_lshlrev_b64_e32 v[16:17], 2, v[16:17]
	s_wait_alu 0xfffd
	v_add_co_ci_u32_e64 v8, null, s15, v8, vcc_lo
	v_lshlrev_b64_e32 v[9:10], 2, v[10:11]
	v_add_co_u32 v11, vcc_lo, s10, v12
	s_wait_alu 0xfffd
	v_add_co_ci_u32_e64 v12, null, s11, v13, vcc_lo
	v_add_co_u32 v13, vcc_lo, s10, v14
	s_wait_alu 0xfffd
	v_add_co_ci_u32_e64 v14, null, s11, v15, vcc_lo
	;; [unrolled: 3-line block ×3, first 2 shown]
	v_sub_f32_e32 v17, 1.0, v19
	v_add_co_u32 v9, vcc_lo, s14, v9
	s_wait_alu 0xfffd
	v_add_co_ci_u32_e64 v10, null, s15, v10, vcc_lo
	s_delay_alu instid0(VALU_DEP_3) | instskip(SKIP_1) | instid1(VALU_DEP_2)
	v_mul_f32_e32 v24, v17, v4
	v_mul_f32_e32 v4, v21, v4
	;; [unrolled: 1-line block ×3, first 2 shown]
	s_delay_alu instid0(VALU_DEP_2) | instskip(SKIP_1) | instid1(VALU_DEP_2)
	v_mul_f32_e32 v4, v17, v4
	s_wait_loadcnt 0x0
	v_mul_f32_e32 v17, v22, v20
	s_delay_alu instid0(VALU_DEP_2) | instskip(SKIP_1) | instid1(VALU_DEP_3)
	v_mul_f32_e32 v4, v19, v4
	v_mul_f32_e32 v19, v18, v20
	;; [unrolled: 1-line block ×3, first 2 shown]
	s_delay_alu instid0(VALU_DEP_1)
	v_mul_f32_e32 v3, v18, v3
	s_clause 0x2
	global_store_b32 v[5:6], v3, off
	global_store_b32 v[11:12], v4, off
	;; [unrolled: 1-line block ×3, first 2 shown]
	s_clause 0x2
	global_store_b32 v[7:8], v3, off
	global_store_b32 v[15:16], v4, off
	;; [unrolled: 1-line block ×4, first 2 shown]
	s_wait_alu 0xfffe
	s_and_not1_b32 exec_lo, exec_lo, s31
	s_cbranch_execnz .LBB53_2
.LBB53_3:
	s_endpgm
	.section	.rodata,"a",@progbits
	.p2align	6, 0x0
	.amdhsa_kernel _ZN2at6native12_GLOBAL__N_16kernel17gru_cell_backwardIffiLi2EEEvNS_4cuda6detail10TensorInfoIT_T1_EES9_S9_S9_S9_S8_S8_
		.amdhsa_group_segment_fixed_size 0
		.amdhsa_private_segment_fixed_size 0
		.amdhsa_kernarg_size 1344
		.amdhsa_user_sgpr_count 2
		.amdhsa_user_sgpr_dispatch_ptr 0
		.amdhsa_user_sgpr_queue_ptr 0
		.amdhsa_user_sgpr_kernarg_segment_ptr 1
		.amdhsa_user_sgpr_dispatch_id 0
		.amdhsa_user_sgpr_private_segment_size 0
		.amdhsa_wavefront_size32 1
		.amdhsa_uses_dynamic_stack 0
		.amdhsa_enable_private_segment 0
		.amdhsa_system_sgpr_workgroup_id_x 1
		.amdhsa_system_sgpr_workgroup_id_y 0
		.amdhsa_system_sgpr_workgroup_id_z 0
		.amdhsa_system_sgpr_workgroup_info 0
		.amdhsa_system_vgpr_workitem_id 0
		.amdhsa_next_free_vgpr 39
		.amdhsa_next_free_sgpr 53
		.amdhsa_reserve_vcc 1
		.amdhsa_float_round_mode_32 0
		.amdhsa_float_round_mode_16_64 0
		.amdhsa_float_denorm_mode_32 3
		.amdhsa_float_denorm_mode_16_64 3
		.amdhsa_fp16_overflow 0
		.amdhsa_workgroup_processor_mode 1
		.amdhsa_memory_ordered 1
		.amdhsa_forward_progress 1
		.amdhsa_inst_pref_size 26
		.amdhsa_round_robin_scheduling 0
		.amdhsa_exception_fp_ieee_invalid_op 0
		.amdhsa_exception_fp_denorm_src 0
		.amdhsa_exception_fp_ieee_div_zero 0
		.amdhsa_exception_fp_ieee_overflow 0
		.amdhsa_exception_fp_ieee_underflow 0
		.amdhsa_exception_fp_ieee_inexact 0
		.amdhsa_exception_int_div_zero 0
	.end_amdhsa_kernel
	.section	.text._ZN2at6native12_GLOBAL__N_16kernel17gru_cell_backwardIffiLi2EEEvNS_4cuda6detail10TensorInfoIT_T1_EES9_S9_S9_S9_S8_S8_,"axG",@progbits,_ZN2at6native12_GLOBAL__N_16kernel17gru_cell_backwardIffiLi2EEEvNS_4cuda6detail10TensorInfoIT_T1_EES9_S9_S9_S9_S8_S8_,comdat
.Lfunc_end53:
	.size	_ZN2at6native12_GLOBAL__N_16kernel17gru_cell_backwardIffiLi2EEEvNS_4cuda6detail10TensorInfoIT_T1_EES9_S9_S9_S9_S8_S8_, .Lfunc_end53-_ZN2at6native12_GLOBAL__N_16kernel17gru_cell_backwardIffiLi2EEEvNS_4cuda6detail10TensorInfoIT_T1_EES9_S9_S9_S9_S8_S8_
                                        ; -- End function
	.set _ZN2at6native12_GLOBAL__N_16kernel17gru_cell_backwardIffiLi2EEEvNS_4cuda6detail10TensorInfoIT_T1_EES9_S9_S9_S9_S8_S8_.num_vgpr, 39
	.set _ZN2at6native12_GLOBAL__N_16kernel17gru_cell_backwardIffiLi2EEEvNS_4cuda6detail10TensorInfoIT_T1_EES9_S9_S9_S9_S8_S8_.num_agpr, 0
	.set _ZN2at6native12_GLOBAL__N_16kernel17gru_cell_backwardIffiLi2EEEvNS_4cuda6detail10TensorInfoIT_T1_EES9_S9_S9_S9_S8_S8_.numbered_sgpr, 53
	.set _ZN2at6native12_GLOBAL__N_16kernel17gru_cell_backwardIffiLi2EEEvNS_4cuda6detail10TensorInfoIT_T1_EES9_S9_S9_S9_S8_S8_.num_named_barrier, 0
	.set _ZN2at6native12_GLOBAL__N_16kernel17gru_cell_backwardIffiLi2EEEvNS_4cuda6detail10TensorInfoIT_T1_EES9_S9_S9_S9_S8_S8_.private_seg_size, 0
	.set _ZN2at6native12_GLOBAL__N_16kernel17gru_cell_backwardIffiLi2EEEvNS_4cuda6detail10TensorInfoIT_T1_EES9_S9_S9_S9_S8_S8_.uses_vcc, 1
	.set _ZN2at6native12_GLOBAL__N_16kernel17gru_cell_backwardIffiLi2EEEvNS_4cuda6detail10TensorInfoIT_T1_EES9_S9_S9_S9_S8_S8_.uses_flat_scratch, 0
	.set _ZN2at6native12_GLOBAL__N_16kernel17gru_cell_backwardIffiLi2EEEvNS_4cuda6detail10TensorInfoIT_T1_EES9_S9_S9_S9_S8_S8_.has_dyn_sized_stack, 0
	.set _ZN2at6native12_GLOBAL__N_16kernel17gru_cell_backwardIffiLi2EEEvNS_4cuda6detail10TensorInfoIT_T1_EES9_S9_S9_S9_S8_S8_.has_recursion, 0
	.set _ZN2at6native12_GLOBAL__N_16kernel17gru_cell_backwardIffiLi2EEEvNS_4cuda6detail10TensorInfoIT_T1_EES9_S9_S9_S9_S8_S8_.has_indirect_call, 0
	.section	.AMDGPU.csdata,"",@progbits
; Kernel info:
; codeLenInByte = 3236
; TotalNumSgprs: 55
; NumVgprs: 39
; ScratchSize: 0
; MemoryBound: 0
; FloatMode: 240
; IeeeMode: 1
; LDSByteSize: 0 bytes/workgroup (compile time only)
; SGPRBlocks: 0
; VGPRBlocks: 4
; NumSGPRsForWavesPerEU: 55
; NumVGPRsForWavesPerEU: 39
; Occupancy: 16
; WaveLimiterHint : 1
; COMPUTE_PGM_RSRC2:SCRATCH_EN: 0
; COMPUTE_PGM_RSRC2:USER_SGPR: 2
; COMPUTE_PGM_RSRC2:TRAP_HANDLER: 0
; COMPUTE_PGM_RSRC2:TGID_X_EN: 1
; COMPUTE_PGM_RSRC2:TGID_Y_EN: 0
; COMPUTE_PGM_RSRC2:TGID_Z_EN: 0
; COMPUTE_PGM_RSRC2:TIDIG_COMP_CNT: 0
	.section	.text._ZN2at6native12_GLOBAL__N_16kernel17gru_cell_backwardIfflLi1EEEvNS_4cuda6detail10TensorInfoIT_T1_EES9_S9_S9_S9_S8_S8_,"axG",@progbits,_ZN2at6native12_GLOBAL__N_16kernel17gru_cell_backwardIfflLi1EEEvNS_4cuda6detail10TensorInfoIT_T1_EES9_S9_S9_S9_S8_S8_,comdat
	.globl	_ZN2at6native12_GLOBAL__N_16kernel17gru_cell_backwardIfflLi1EEEvNS_4cuda6detail10TensorInfoIT_T1_EES9_S9_S9_S9_S8_S8_ ; -- Begin function _ZN2at6native12_GLOBAL__N_16kernel17gru_cell_backwardIfflLi1EEEvNS_4cuda6detail10TensorInfoIT_T1_EES9_S9_S9_S9_S8_S8_
	.p2align	8
	.type	_ZN2at6native12_GLOBAL__N_16kernel17gru_cell_backwardIfflLi1EEEvNS_4cuda6detail10TensorInfoIT_T1_EES9_S9_S9_S9_S8_S8_,@function
_ZN2at6native12_GLOBAL__N_16kernel17gru_cell_backwardIfflLi1EEEvNS_4cuda6detail10TensorInfoIT_T1_EES9_S9_S9_S9_S8_S8_: ; @_ZN2at6native12_GLOBAL__N_16kernel17gru_cell_backwardIfflLi1EEEvNS_4cuda6detail10TensorInfoIT_T1_EES9_S9_S9_S9_S8_S8_
; %bb.0:
	s_clause 0x1
	s_load_b32 s2, s[0:1], 0x83c
	s_load_b128 s[4:7], s[0:1], 0x820
	v_mov_b32_e32 v1, 0
	s_wait_kmcnt 0x0
	s_and_b32 s20, s2, 0xffff
	s_mov_b32 s2, exec_lo
	s_delay_alu instid0(VALU_DEP_1) | instskip(SKIP_1) | instid1(VALU_DEP_1)
	v_mad_co_u64_u32 v[3:4], null, ttmp9, s20, v[0:1]
	v_mov_b32_e32 v4, v1
	v_cmpx_gt_i64_e64 s[6:7], v[3:4]
	s_cbranch_execz .LBB54_7
; %bb.1:
	s_clause 0x1
	s_load_b64 s[24:25], s[0:1], 0x410
	s_load_b64 s[26:27], s[0:1], 0x5b0
	v_cvt_f32_u32_e32 v0, s4
	s_clause 0x1
	s_load_b64 s[28:29], s[0:1], 0x340
	s_load_b64 s[30:31], s[0:1], 0x4e0
	s_add_nc_u64 s[14:15], s[0:1], 0x830
	s_clause 0x3
	s_load_b64 s[2:3], s[0:1], 0x0
	s_load_b64 s[8:9], s[0:1], 0xd0
	;; [unrolled: 1-line block ×4, first 2 shown]
	s_load_b32 s22, s[14:15], 0x0
	s_clause 0x1
	s_load_b64 s[14:15], s[0:1], 0x680
	s_load_b64 s[16:17], s[0:1], 0x750
	s_sub_co_i32 s0, 0, s4
	v_rcp_iflag_f32_e32 v0, v0
	s_mov_b32 s1, 0
	s_lshl_b64 s[18:19], s[4:5], 2
	s_wait_alu 0xfffe
	s_mov_b32 s21, s1
	s_delay_alu instid0(TRANS32_DEP_1)
	v_mul_f32_e32 v0, 0x4f7ffffe, v0
	s_wait_kmcnt 0x0
	v_mul_lo_u32 v2, 0, s24
	v_mul_lo_u32 v9, v3, s25
	v_mad_co_u64_u32 v[5:6], null, v3, s24, 0
	v_mul_lo_u32 v10, 0, s26
	v_mul_lo_u32 v11, v3, s27
	v_mad_co_u64_u32 v[7:8], null, v3, s26, 0
	v_cvt_u32_f32_e32 v0, v0
	s_mul_i32 s20, s22, s20
	v_add3_u32 v6, v6, v9, v2
	s_wait_alu 0xfffe
	s_mul_u64 s[24:25], s[20:21], s[24:25]
	s_mul_u64 s[26:27], s[20:21], s[26:27]
	v_mul_lo_u32 v2, s0, v0
	v_add3_u32 v8, v8, v11, v10
	v_lshlrev_b64_e32 v[5:6], 2, v[5:6]
	s_lshl_b64 s[22:23], s[4:5], 1
	s_wait_alu 0xfffe
	s_lshl_b64 s[24:25], s[24:25], 2
	s_lshl_b64 s[26:27], s[26:27], 2
	v_lshlrev_b64_e32 v[7:8], 2, v[7:8]
	s_mov_b32 s21, 0
	v_mul_hi_u32 v2, v0, v2
	v_add_co_u32 v5, vcc_lo, s28, v5
	s_delay_alu instid0(VALU_DEP_1) | instskip(NEXT) | instid1(VALU_DEP_4)
	v_add_co_ci_u32_e64 v6, null, s29, v6, vcc_lo
	v_add_co_u32 v7, vcc_lo, s30, v7
	s_wait_alu 0xfffd
	v_add_co_ci_u32_e64 v8, null, s31, v8, vcc_lo
	v_add_nc_u32_e32 v0, v0, v2
	s_ashr_i32 s28, s5, 31
	s_branch .LBB54_3
.LBB54_2:                               ;   in Loop: Header=BB54_3 Depth=1
	s_wait_alu 0xfffe
	s_or_b32 exec_lo, exec_lo, s0
	s_delay_alu instid0(VALU_DEP_1) | instskip(SKIP_3) | instid1(VALU_DEP_4)
	v_lshlrev_b64_e32 v[11:12], 2, v[9:10]
	v_mad_co_u64_u32 v[13:14], null, s18, v9, v[3:4]
	v_mul_lo_u32 v17, s18, v10
	v_mul_lo_u32 v18, s19, v9
	v_or_b32_e32 v2, 1, v11
	v_mul_lo_u32 v23, s4, v12
	v_or_b32_e32 v19, 2, v11
	v_mul_lo_u32 v25, v13, s17
	s_delay_alu instid0(VALU_DEP_4)
	v_mul_lo_u32 v20, s5, v2
	v_mad_co_u64_u32 v[15:16], null, s4, v2, v[3:4]
	v_add3_u32 v24, v18, v14, v17
	v_mul_lo_u32 v21, s5, v19
	v_mad_co_u64_u32 v[17:18], null, s4, v19, v[3:4]
	v_or_b32_e32 v2, 3, v11
	v_add3_u32 v16, v20, v16, v23
	v_mul_lo_u32 v26, v15, s17
	v_mad_co_u64_u32 v[14:15], null, v15, s16, 0
	v_mad_co_u64_u32 v[19:20], null, v13, s16, 0
	s_delay_alu instid0(VALU_DEP_4) | instskip(SKIP_4) | instid1(VALU_DEP_4)
	v_mul_lo_u32 v16, v16, s16
	v_add3_u32 v13, v21, v18, v23
	v_mul_lo_u32 v18, s5, v2
	v_mad_co_u64_u32 v[21:22], null, s4, v2, v[3:4]
	v_mul_lo_u32 v2, v24, s16
	v_mul_lo_u32 v24, v13, s16
	v_add_co_u32 v13, vcc_lo, v11, 4
	v_add3_u32 v15, v15, v26, v16
	s_wait_alu 0xfffd
	v_add_co_ci_u32_e64 v16, null, 0, v12, vcc_lo
	v_mul_lo_u32 v26, v17, s17
	v_mad_co_u64_u32 v[11:12], null, v17, s16, 0
	v_add3_u32 v18, v18, v22, v23
	s_delay_alu instid0(VALU_DEP_4)
	v_mul_lo_u32 v23, s4, v16
	v_mul_lo_u32 v27, s5, v13
	v_mad_co_u64_u32 v[16:17], null, s4, v13, v[3:4]
	v_add3_u32 v20, v20, v25, v2
	v_lshlrev_b64_e32 v[13:14], 2, v[14:15]
	v_mul_lo_u32 v2, v18, s16
	v_mul_lo_u32 v15, v21, s17
	v_mad_co_u64_u32 v[21:22], null, v21, s16, 0
	v_add3_u32 v12, v12, v26, v24
	v_add3_u32 v17, v27, v17, v23
	v_mul_lo_u32 v23, v16, s17
	v_add_co_u32 v13, vcc_lo, s14, v13
	s_delay_alu instid0(VALU_DEP_4)
	v_lshlrev_b64_e32 v[11:12], 2, v[11:12]
	v_add3_u32 v22, v22, v15, v2
	v_mul_lo_u32 v2, v17, s16
	v_mad_co_u64_u32 v[15:16], null, v16, s16, 0
	s_wait_alu 0xfffd
	v_add_co_ci_u32_e64 v14, null, s15, v14, vcc_lo
	v_add_co_u32 v11, vcc_lo, s14, v11
	s_wait_alu 0xfffd
	v_add_co_ci_u32_e64 v12, null, s15, v12, vcc_lo
	v_lshlrev_b64_e32 v[17:18], 2, v[21:22]
	v_add3_u32 v16, v16, v23, v2
	s_clause 0x1
	global_load_b32 v21, v[13:14], off
	global_load_b32 v22, v[11:12], off
	v_lshlrev_b64_e32 v[19:20], 2, v[19:20]
	global_load_b32 v2, v[5:6], off
	v_add_co_u32 v11, vcc_lo, s14, v17
	v_lshlrev_b64_e32 v[13:14], 2, v[15:16]
	s_wait_alu 0xfffd
	v_add_co_ci_u32_e64 v12, null, s15, v18, vcc_lo
	v_add_co_u32 v15, vcc_lo, s14, v19
	s_wait_alu 0xfffd
	v_add_co_ci_u32_e64 v16, null, s15, v20, vcc_lo
	global_load_b32 v23, v[11:12], off
	v_add_co_u32 v11, vcc_lo, s14, v13
	s_wait_alu 0xfffd
	v_add_co_ci_u32_e64 v12, null, s15, v14, vcc_lo
	s_clause 0x1
	global_load_b32 v24, v[15:16], off
	global_load_b32 v25, v[11:12], off
	v_lshlrev_b64_e32 v[13:14], 1, v[9:10]
	v_add_co_u32 v5, vcc_lo, v5, s24
	v_mad_co_u64_u32 v[11:12], null, s22, v9, v[3:4]
	v_mul_lo_u32 v15, s22, v10
	v_mul_lo_u32 v9, s23, v9
	s_wait_alu 0xfffd
	v_add_co_ci_u32_e64 v6, null, s25, v6, vcc_lo
	v_add_co_u32 v18, vcc_lo, v13, 2
	v_or_b32_e32 v16, 1, v13
	s_wait_alu 0xfffd
	v_add_co_ci_u32_e64 v19, null, 0, v14, vcc_lo
	v_mul_lo_u32 v17, s4, v14
	v_add3_u32 v20, v9, v12, v15
	v_mul_lo_u32 v28, s5, v16
	v_mad_co_u64_u32 v[13:14], null, s4, v16, v[3:4]
	v_mad_co_u64_u32 v[15:16], null, s4, v18, v[3:4]
	v_mul_lo_u32 v19, s4, v19
	v_mul_lo_u32 v29, s5, v18
	;; [unrolled: 1-line block ×3, first 2 shown]
	v_mad_co_u64_u32 v[9:10], null, v11, s8, 0
	v_mul_lo_u32 v27, v11, s13
	v_mad_co_u64_u32 v[11:12], null, v11, s12, 0
	v_mul_lo_u32 v30, v20, s8
	v_mul_lo_u32 v31, v20, s12
	v_add3_u32 v28, v28, v14, v17
	v_add3_u32 v29, v29, v16, v19
	v_mul_lo_u32 v32, v13, s9
	v_mad_co_u64_u32 v[17:18], null, v13, s8, 0
	v_mul_lo_u32 v33, v15, s9
	v_mad_co_u64_u32 v[19:20], null, v15, s8, 0
	v_add3_u32 v10, v10, v26, v30
	v_add3_u32 v12, v12, v27, v31
	v_mul_lo_u32 v26, v28, s8
	v_mul_lo_u32 v27, v29, s8
	;; [unrolled: 1-line block ×3, first 2 shown]
	v_mad_co_u64_u32 v[13:14], null, v13, s12, 0
	v_mul_lo_u32 v28, v28, s12
	v_mul_lo_u32 v35, v15, s13
	v_mad_co_u64_u32 v[15:16], null, v15, s12, 0
	v_add3_u32 v18, v18, v32, v26
	v_add3_u32 v20, v20, v33, v27
	v_mul_lo_u32 v29, v29, s12
	v_lshlrev_b64_e32 v[9:10], 2, v[9:10]
	v_add3_u32 v14, v14, v34, v28
	v_lshlrev_b64_e32 v[11:12], 2, v[11:12]
	v_lshlrev_b64_e32 v[17:18], 2, v[17:18]
	v_lshlrev_b64_e32 v[19:20], 2, v[19:20]
	v_add_co_u32 v3, vcc_lo, v3, s20
	v_add3_u32 v16, v16, v35, v29
	v_add_co_u32 v9, s0, s2, v9
	s_wait_alu 0xf1ff
	v_add_co_ci_u32_e64 v10, null, s3, v10, s0
	v_add_co_u32 v11, s0, s10, v11
	v_lshlrev_b64_e32 v[13:14], 2, v[13:14]
	s_wait_alu 0xf1ff
	v_add_co_ci_u32_e64 v12, null, s11, v12, s0
	v_lshlrev_b64_e32 v[15:16], 2, v[15:16]
	v_add_co_u32 v17, s0, s2, v17
	s_wait_alu 0xfffd
	v_add_co_ci_u32_e64 v4, null, 0, v4, vcc_lo
	s_wait_alu 0xf1ff
	v_add_co_ci_u32_e64 v18, null, s3, v18, s0
	v_add_co_u32 v19, s0, s2, v19
	s_wait_alu 0xf1ff
	v_add_co_ci_u32_e64 v20, null, s3, v20, s0
	v_add_co_u32 v13, s0, s10, v13
	;; [unrolled: 3-line block ×3, first 2 shown]
	v_cmp_le_i64_e32 vcc_lo, s[6:7], v[3:4]
	s_wait_alu 0xf1ff
	v_add_co_ci_u32_e64 v16, null, s11, v16, s0
	s_or_b32 s21, vcc_lo, s21
	s_wait_loadcnt 0x4
	v_fma_f32 v27, -v22, v22, 1.0
	v_sub_f32_e32 v26, 1.0, v21
	s_wait_loadcnt 0x3
	s_delay_alu instid0(VALU_DEP_1) | instskip(SKIP_2) | instid1(VALU_DEP_2)
	v_mul_f32_e32 v28, v26, v2
	s_wait_loadcnt 0x2
	v_sub_f32_e32 v22, v23, v22
	v_mul_f32_e32 v23, v27, v28
	s_wait_loadcnt 0x1
	v_sub_f32_e32 v27, 1.0, v24
	s_wait_loadcnt 0x0
	s_delay_alu instid0(VALU_DEP_2) | instskip(NEXT) | instid1(VALU_DEP_1)
	v_dual_mul_f32 v25, v25, v23 :: v_dual_mul_f32 v22, v22, v2
	v_dual_mul_f32 v2, v21, v2 :: v_dual_mul_f32 v25, v27, v25
	s_delay_alu instid0(VALU_DEP_1) | instskip(NEXT) | instid1(VALU_DEP_1)
	v_dual_mul_f32 v22, v26, v22 :: v_dual_mul_f32 v25, v24, v25
	v_dual_mul_f32 v22, v21, v22 :: v_dual_mul_f32 v21, v24, v23
	s_clause 0x2
	global_store_b32 v[9:10], v25, off
	global_store_b32 v[17:18], v22, off
	;; [unrolled: 1-line block ×3, first 2 shown]
	s_clause 0x2
	global_store_b32 v[11:12], v25, off
	global_store_b32 v[13:14], v22, off
	;; [unrolled: 1-line block ×4, first 2 shown]
	v_add_co_u32 v7, s0, v7, s26
	s_wait_alu 0xf1ff
	v_add_co_ci_u32_e64 v8, null, s27, v8, s0
	s_wait_alu 0xfffe
	s_and_not1_b32 exec_lo, exec_lo, s21
	s_cbranch_execz .LBB54_7
.LBB54_3:                               ; =>This Inner Loop Header: Depth=1
	v_or_b32_e32 v2, s5, v4
                                        ; implicit-def: $vgpr9_vgpr10
	s_mov_b32 s0, exec_lo
	s_delay_alu instid0(VALU_DEP_1)
	v_cmpx_ne_u64_e32 0, v[1:2]
	s_wait_alu 0xfffe
	s_xor_b32 s33, exec_lo, s0
	s_cbranch_execz .LBB54_5
; %bb.4:                                ;   in Loop: Header=BB54_3 Depth=1
	s_mov_b32 s29, s28
	v_ashrrev_i32_e32 v2, 31, v4
	s_wait_alu 0xfffe
	s_add_nc_u64 s[30:31], s[4:5], s[28:29]
	s_wait_alu 0xfffe
	s_xor_b64 s[30:31], s[30:31], s[28:29]
	v_add_co_u32 v9, vcc_lo, v3, v2
	s_wait_alu 0xfffe
	s_cvt_f32_u32 s0, s30
	s_cvt_f32_u32 s29, s31
	s_sub_nc_u64 s[36:37], 0, s[30:31]
	s_wait_alu 0xfffd
	v_add_co_ci_u32_e64 v10, null, v4, v2, vcc_lo
	s_wait_alu 0xfffe
	s_fmamk_f32 s0, s29, 0x4f800000, s0
	v_xor_b32_e32 v15, v9, v2
	s_delay_alu instid0(VALU_DEP_2) | instskip(SKIP_3) | instid1(TRANS32_DEP_1)
	v_xor_b32_e32 v16, v10, v2
	s_wait_alu 0xfffe
	v_s_rcp_f32 s0, s0
	v_xor_b32_e32 v2, s28, v2
	s_mul_f32 s0, s0, 0x5f7ffffc
	s_wait_alu 0xfffe
	s_delay_alu instid0(SALU_CYCLE_2) | instskip(SKIP_1) | instid1(SALU_CYCLE_2)
	s_mul_f32 s29, s0, 0x2f800000
	s_wait_alu 0xfffe
	s_trunc_f32 s29, s29
	s_wait_alu 0xfffe
	s_delay_alu instid0(SALU_CYCLE_2) | instskip(SKIP_2) | instid1(SALU_CYCLE_1)
	s_fmamk_f32 s0, s29, 0xcf800000, s0
	s_cvt_u32_f32 s35, s29
	s_wait_alu 0xfffe
	s_cvt_u32_f32 s34, s0
	s_delay_alu instid0(SALU_CYCLE_3) | instskip(NEXT) | instid1(SALU_CYCLE_1)
	s_mul_u64 s[38:39], s[36:37], s[34:35]
	s_mul_hi_u32 s41, s34, s39
	s_mul_i32 s40, s34, s39
	s_mul_hi_u32 s0, s34, s38
	s_mul_i32 s42, s35, s38
	s_wait_alu 0xfffe
	s_add_nc_u64 s[40:41], s[0:1], s[40:41]
	s_mul_hi_u32 s29, s35, s38
	s_mul_hi_u32 s43, s35, s39
	s_add_co_u32 s0, s40, s42
	s_wait_alu 0xfffe
	s_add_co_ci_u32 s0, s41, s29
	s_mul_i32 s38, s35, s39
	s_add_co_ci_u32 s39, s43, 0
	s_wait_alu 0xfffe
	s_add_nc_u64 s[38:39], s[0:1], s[38:39]
	s_delay_alu instid0(SALU_CYCLE_1) | instskip(SKIP_4) | instid1(SALU_CYCLE_1)
	s_add_co_u32 s34, s34, s38
	s_cselect_b32 s0, -1, 0
	s_wait_alu 0xfffe
	s_cmp_lg_u32 s0, 0
	s_add_co_ci_u32 s35, s35, s39
	s_mul_u64 s[36:37], s[36:37], s[34:35]
	s_delay_alu instid0(SALU_CYCLE_1)
	s_mul_hi_u32 s39, s34, s37
	s_mul_i32 s38, s34, s37
	s_mul_hi_u32 s0, s34, s36
	s_mul_i32 s40, s35, s36
	s_wait_alu 0xfffe
	s_add_nc_u64 s[38:39], s[0:1], s[38:39]
	s_mul_hi_u32 s29, s35, s36
	s_mul_hi_u32 s41, s35, s37
	s_add_co_u32 s0, s38, s40
	s_wait_alu 0xfffe
	s_add_co_ci_u32 s0, s39, s29
	s_mul_i32 s36, s35, s37
	s_add_co_ci_u32 s37, s41, 0
	s_wait_alu 0xfffe
	s_add_nc_u64 s[36:37], s[0:1], s[36:37]
	s_delay_alu instid0(SALU_CYCLE_1)
	s_add_co_u32 s0, s34, s36
	s_cselect_b32 s29, -1, 0
	s_wait_alu 0xfffe
	v_mul_hi_u32 v17, v15, s0
	s_cmp_lg_u32 s29, 0
	v_mad_co_u64_u32 v[11:12], null, v16, s0, 0
	s_add_co_ci_u32 s29, s35, s37
	s_wait_alu 0xfffe
	v_mad_co_u64_u32 v[9:10], null, v15, s29, 0
	v_mad_co_u64_u32 v[13:14], null, v16, s29, 0
	s_delay_alu instid0(VALU_DEP_2) | instskip(SKIP_1) | instid1(VALU_DEP_3)
	v_add_co_u32 v9, vcc_lo, v17, v9
	s_wait_alu 0xfffd
	v_add_co_ci_u32_e64 v10, null, 0, v10, vcc_lo
	s_delay_alu instid0(VALU_DEP_2) | instskip(SKIP_1) | instid1(VALU_DEP_2)
	v_add_co_u32 v9, vcc_lo, v9, v11
	s_wait_alu 0xfffd
	v_add_co_ci_u32_e32 v9, vcc_lo, v10, v12, vcc_lo
	s_wait_alu 0xfffd
	v_add_co_ci_u32_e32 v10, vcc_lo, 0, v14, vcc_lo
	s_delay_alu instid0(VALU_DEP_2) | instskip(SKIP_1) | instid1(VALU_DEP_2)
	v_add_co_u32 v11, vcc_lo, v9, v13
	s_wait_alu 0xfffd
	v_add_co_ci_u32_e64 v12, null, 0, v10, vcc_lo
	s_delay_alu instid0(VALU_DEP_2) | instskip(SKIP_1) | instid1(VALU_DEP_3)
	v_mul_lo_u32 v13, s31, v11
	v_mad_co_u64_u32 v[9:10], null, s30, v11, 0
	v_mul_lo_u32 v14, s30, v12
	s_delay_alu instid0(VALU_DEP_2) | instskip(NEXT) | instid1(VALU_DEP_2)
	v_sub_co_u32 v9, vcc_lo, v15, v9
	v_add3_u32 v10, v10, v14, v13
	v_add_co_u32 v14, s0, v11, 2
	s_wait_alu 0xf1ff
	v_add_co_ci_u32_e64 v15, null, 0, v12, s0
	s_delay_alu instid0(VALU_DEP_3) | instskip(SKIP_3) | instid1(VALU_DEP_3)
	v_sub_nc_u32_e32 v13, v16, v10
	v_sub_co_u32 v17, s0, v9, s30
	s_wait_alu 0xfffd
	v_sub_co_ci_u32_e64 v10, null, v16, v10, vcc_lo
	v_subrev_co_ci_u32_e64 v13, null, s31, v13, vcc_lo
	s_delay_alu instid0(VALU_DEP_3) | instskip(SKIP_1) | instid1(VALU_DEP_2)
	v_cmp_le_u32_e32 vcc_lo, s30, v17
	s_wait_alu 0xf1ff
	v_subrev_co_ci_u32_e64 v13, null, 0, v13, s0
	s_wait_alu 0xfffd
	v_cndmask_b32_e64 v16, 0, -1, vcc_lo
	s_delay_alu instid0(VALU_DEP_2)
	v_cmp_le_u32_e32 vcc_lo, s31, v13
	s_wait_alu 0xfffd
	v_cndmask_b32_e64 v17, 0, -1, vcc_lo
	v_cmp_le_u32_e32 vcc_lo, s30, v9
	s_wait_alu 0xfffd
	v_cndmask_b32_e64 v9, 0, -1, vcc_lo
	;; [unrolled: 3-line block ×3, first 2 shown]
	v_cmp_eq_u32_e32 vcc_lo, s31, v13
	s_wait_alu 0xfffd
	v_cndmask_b32_e32 v13, v17, v16, vcc_lo
	v_add_co_u32 v16, vcc_lo, v11, 1
	s_wait_alu 0xfffd
	v_add_co_ci_u32_e64 v17, null, 0, v12, vcc_lo
	v_cmp_eq_u32_e32 vcc_lo, s31, v10
	s_wait_alu 0xfffd
	v_cndmask_b32_e32 v9, v18, v9, vcc_lo
	v_cmp_ne_u32_e32 vcc_lo, 0, v13
	s_wait_alu 0xfffd
	v_cndmask_b32_e32 v10, v17, v15, vcc_lo
	s_delay_alu instid0(VALU_DEP_3) | instskip(SKIP_2) | instid1(VALU_DEP_2)
	v_cmp_ne_u32_e64 s0, 0, v9
	v_cndmask_b32_e32 v9, v16, v14, vcc_lo
	s_wait_alu 0xf1ff
	v_cndmask_b32_e64 v10, v12, v10, s0
	s_delay_alu instid0(VALU_DEP_2) | instskip(NEXT) | instid1(VALU_DEP_2)
	v_cndmask_b32_e64 v9, v11, v9, s0
	v_xor_b32_e32 v10, v10, v2
	s_delay_alu instid0(VALU_DEP_2) | instskip(NEXT) | instid1(VALU_DEP_1)
	v_xor_b32_e32 v9, v9, v2
	v_sub_co_u32 v9, vcc_lo, v9, v2
	s_wait_alu 0xfffd
	s_delay_alu instid0(VALU_DEP_3)
	v_sub_co_ci_u32_e64 v10, null, v10, v2, vcc_lo
.LBB54_5:                               ;   in Loop: Header=BB54_3 Depth=1
	s_and_not1_saveexec_b32 s0, s33
	s_cbranch_execz .LBB54_2
; %bb.6:                                ;   in Loop: Header=BB54_3 Depth=1
	v_mul_hi_u32 v2, v3, v0
	s_delay_alu instid0(VALU_DEP_1) | instskip(NEXT) | instid1(VALU_DEP_1)
	v_mul_lo_u32 v9, v2, s4
	v_sub_nc_u32_e32 v9, v3, v9
	s_delay_alu instid0(VALU_DEP_1) | instskip(SKIP_2) | instid1(VALU_DEP_2)
	v_subrev_nc_u32_e32 v11, s4, v9
	v_cmp_le_u32_e32 vcc_lo, s4, v9
	s_wait_alu 0xfffd
	v_dual_cndmask_b32 v9, v9, v11 :: v_dual_add_nc_u32 v10, 1, v2
	s_delay_alu instid0(VALU_DEP_1) | instskip(NEXT) | instid1(VALU_DEP_2)
	v_cndmask_b32_e32 v2, v2, v10, vcc_lo
	v_cmp_le_u32_e32 vcc_lo, s4, v9
	s_delay_alu instid0(VALU_DEP_2) | instskip(SKIP_1) | instid1(VALU_DEP_1)
	v_add_nc_u32_e32 v10, 1, v2
	s_wait_alu 0xfffd
	v_dual_cndmask_b32 v9, v2, v10 :: v_dual_mov_b32 v10, v1
	s_branch .LBB54_2
.LBB54_7:
	s_endpgm
	.section	.rodata,"a",@progbits
	.p2align	6, 0x0
	.amdhsa_kernel _ZN2at6native12_GLOBAL__N_16kernel17gru_cell_backwardIfflLi1EEEvNS_4cuda6detail10TensorInfoIT_T1_EES9_S9_S9_S9_S8_S8_
		.amdhsa_group_segment_fixed_size 0
		.amdhsa_private_segment_fixed_size 0
		.amdhsa_kernarg_size 2352
		.amdhsa_user_sgpr_count 2
		.amdhsa_user_sgpr_dispatch_ptr 0
		.amdhsa_user_sgpr_queue_ptr 0
		.amdhsa_user_sgpr_kernarg_segment_ptr 1
		.amdhsa_user_sgpr_dispatch_id 0
		.amdhsa_user_sgpr_private_segment_size 0
		.amdhsa_wavefront_size32 1
		.amdhsa_uses_dynamic_stack 0
		.amdhsa_enable_private_segment 0
		.amdhsa_system_sgpr_workgroup_id_x 1
		.amdhsa_system_sgpr_workgroup_id_y 0
		.amdhsa_system_sgpr_workgroup_id_z 0
		.amdhsa_system_sgpr_workgroup_info 0
		.amdhsa_system_vgpr_workitem_id 0
		.amdhsa_next_free_vgpr 36
		.amdhsa_next_free_sgpr 44
		.amdhsa_reserve_vcc 1
		.amdhsa_float_round_mode_32 0
		.amdhsa_float_round_mode_16_64 0
		.amdhsa_float_denorm_mode_32 3
		.amdhsa_float_denorm_mode_16_64 3
		.amdhsa_fp16_overflow 0
		.amdhsa_workgroup_processor_mode 1
		.amdhsa_memory_ordered 1
		.amdhsa_forward_progress 1
		.amdhsa_inst_pref_size 21
		.amdhsa_round_robin_scheduling 0
		.amdhsa_exception_fp_ieee_invalid_op 0
		.amdhsa_exception_fp_denorm_src 0
		.amdhsa_exception_fp_ieee_div_zero 0
		.amdhsa_exception_fp_ieee_overflow 0
		.amdhsa_exception_fp_ieee_underflow 0
		.amdhsa_exception_fp_ieee_inexact 0
		.amdhsa_exception_int_div_zero 0
	.end_amdhsa_kernel
	.section	.text._ZN2at6native12_GLOBAL__N_16kernel17gru_cell_backwardIfflLi1EEEvNS_4cuda6detail10TensorInfoIT_T1_EES9_S9_S9_S9_S8_S8_,"axG",@progbits,_ZN2at6native12_GLOBAL__N_16kernel17gru_cell_backwardIfflLi1EEEvNS_4cuda6detail10TensorInfoIT_T1_EES9_S9_S9_S9_S8_S8_,comdat
.Lfunc_end54:
	.size	_ZN2at6native12_GLOBAL__N_16kernel17gru_cell_backwardIfflLi1EEEvNS_4cuda6detail10TensorInfoIT_T1_EES9_S9_S9_S9_S8_S8_, .Lfunc_end54-_ZN2at6native12_GLOBAL__N_16kernel17gru_cell_backwardIfflLi1EEEvNS_4cuda6detail10TensorInfoIT_T1_EES9_S9_S9_S9_S8_S8_
                                        ; -- End function
	.set _ZN2at6native12_GLOBAL__N_16kernel17gru_cell_backwardIfflLi1EEEvNS_4cuda6detail10TensorInfoIT_T1_EES9_S9_S9_S9_S8_S8_.num_vgpr, 36
	.set _ZN2at6native12_GLOBAL__N_16kernel17gru_cell_backwardIfflLi1EEEvNS_4cuda6detail10TensorInfoIT_T1_EES9_S9_S9_S9_S8_S8_.num_agpr, 0
	.set _ZN2at6native12_GLOBAL__N_16kernel17gru_cell_backwardIfflLi1EEEvNS_4cuda6detail10TensorInfoIT_T1_EES9_S9_S9_S9_S8_S8_.numbered_sgpr, 44
	.set _ZN2at6native12_GLOBAL__N_16kernel17gru_cell_backwardIfflLi1EEEvNS_4cuda6detail10TensorInfoIT_T1_EES9_S9_S9_S9_S8_S8_.num_named_barrier, 0
	.set _ZN2at6native12_GLOBAL__N_16kernel17gru_cell_backwardIfflLi1EEEvNS_4cuda6detail10TensorInfoIT_T1_EES9_S9_S9_S9_S8_S8_.private_seg_size, 0
	.set _ZN2at6native12_GLOBAL__N_16kernel17gru_cell_backwardIfflLi1EEEvNS_4cuda6detail10TensorInfoIT_T1_EES9_S9_S9_S9_S8_S8_.uses_vcc, 1
	.set _ZN2at6native12_GLOBAL__N_16kernel17gru_cell_backwardIfflLi1EEEvNS_4cuda6detail10TensorInfoIT_T1_EES9_S9_S9_S9_S8_S8_.uses_flat_scratch, 0
	.set _ZN2at6native12_GLOBAL__N_16kernel17gru_cell_backwardIfflLi1EEEvNS_4cuda6detail10TensorInfoIT_T1_EES9_S9_S9_S9_S8_S8_.has_dyn_sized_stack, 0
	.set _ZN2at6native12_GLOBAL__N_16kernel17gru_cell_backwardIfflLi1EEEvNS_4cuda6detail10TensorInfoIT_T1_EES9_S9_S9_S9_S8_S8_.has_recursion, 0
	.set _ZN2at6native12_GLOBAL__N_16kernel17gru_cell_backwardIfflLi1EEEvNS_4cuda6detail10TensorInfoIT_T1_EES9_S9_S9_S9_S8_S8_.has_indirect_call, 0
	.section	.AMDGPU.csdata,"",@progbits
; Kernel info:
; codeLenInByte = 2596
; TotalNumSgprs: 46
; NumVgprs: 36
; ScratchSize: 0
; MemoryBound: 0
; FloatMode: 240
; IeeeMode: 1
; LDSByteSize: 0 bytes/workgroup (compile time only)
; SGPRBlocks: 0
; VGPRBlocks: 4
; NumSGPRsForWavesPerEU: 46
; NumVGPRsForWavesPerEU: 36
; Occupancy: 16
; WaveLimiterHint : 1
; COMPUTE_PGM_RSRC2:SCRATCH_EN: 0
; COMPUTE_PGM_RSRC2:USER_SGPR: 2
; COMPUTE_PGM_RSRC2:TRAP_HANDLER: 0
; COMPUTE_PGM_RSRC2:TGID_X_EN: 1
; COMPUTE_PGM_RSRC2:TGID_Y_EN: 0
; COMPUTE_PGM_RSRC2:TGID_Z_EN: 0
; COMPUTE_PGM_RSRC2:TIDIG_COMP_CNT: 0
	.section	.text._ZN2at6native12_GLOBAL__N_16kernel17gru_cell_backwardIfflLi2EEEvNS_4cuda6detail10TensorInfoIT_T1_EES9_S9_S9_S9_S8_S8_,"axG",@progbits,_ZN2at6native12_GLOBAL__N_16kernel17gru_cell_backwardIfflLi2EEEvNS_4cuda6detail10TensorInfoIT_T1_EES9_S9_S9_S9_S8_S8_,comdat
	.globl	_ZN2at6native12_GLOBAL__N_16kernel17gru_cell_backwardIfflLi2EEEvNS_4cuda6detail10TensorInfoIT_T1_EES9_S9_S9_S9_S8_S8_ ; -- Begin function _ZN2at6native12_GLOBAL__N_16kernel17gru_cell_backwardIfflLi2EEEvNS_4cuda6detail10TensorInfoIT_T1_EES9_S9_S9_S9_S8_S8_
	.p2align	8
	.type	_ZN2at6native12_GLOBAL__N_16kernel17gru_cell_backwardIfflLi2EEEvNS_4cuda6detail10TensorInfoIT_T1_EES9_S9_S9_S9_S8_S8_,@function
_ZN2at6native12_GLOBAL__N_16kernel17gru_cell_backwardIfflLi2EEEvNS_4cuda6detail10TensorInfoIT_T1_EES9_S9_S9_S9_S8_S8_: ; @_ZN2at6native12_GLOBAL__N_16kernel17gru_cell_backwardIfflLi2EEEvNS_4cuda6detail10TensorInfoIT_T1_EES9_S9_S9_S9_S8_S8_
; %bb.0:
	s_clause 0x1
	s_load_b32 s2, s[0:1], 0x83c
	s_load_b128 s[4:7], s[0:1], 0x820
	v_mov_b32_e32 v1, 0
	s_wait_kmcnt 0x0
	s_and_b32 s33, s2, 0xffff
	s_mov_b32 s2, exec_lo
	s_delay_alu instid0(VALU_DEP_1) | instskip(SKIP_1) | instid1(VALU_DEP_1)
	v_mad_co_u64_u32 v[3:4], null, ttmp9, s33, v[0:1]
	v_mov_b32_e32 v4, v1
	v_cmpx_gt_i64_e64 s[6:7], v[3:4]
	s_cbranch_execz .LBB55_59
; %bb.1:
	s_clause 0x1
	s_load_b64 s[2:3], s[0:1], 0x690
	s_load_b64 s[28:29], s[0:1], 0x680
	v_cvt_f32_u32_e32 v0, s4
	s_add_nc_u64 s[12:13], s[0:1], 0x830
	s_clause 0x3
	s_load_b64 s[30:31], s[0:1], 0x0
	s_load_b64 s[34:35], s[0:1], 0x10
	s_load_b128 s[8:11], s[0:1], 0xd0
	s_load_b64 s[36:37], s[0:1], 0x1a0
	s_load_b32 s48, s[12:13], 0x0
	s_clause 0x8
	s_load_b64 s[38:39], s[0:1], 0x1b0
	s_load_b128 s[12:15], s[0:1], 0x270
	s_load_b64 s[40:41], s[0:1], 0x340
	s_load_b64 s[42:43], s[0:1], 0x350
	s_load_b128 s[16:19], s[0:1], 0x410
	s_load_b64 s[44:45], s[0:1], 0x4e0
	s_load_b64 s[46:47], s[0:1], 0x4f0
	s_load_b128 s[20:23], s[0:1], 0x5b0
	s_load_b128 s[24:27], s[0:1], 0x750
	s_mov_b32 s1, 0
	v_rcp_iflag_f32_e32 v0, v0
	s_lshl_b64 s[50:51], s[4:5], 1
	s_ashr_i32 s56, s5, 31
	s_mov_b32 s62, 0
	s_delay_alu instid0(TRANS32_DEP_1)
	v_mul_f32_e32 v0, 0x4f7ffffe, v0
	s_wait_kmcnt 0x0
	s_mul_i32 s33, s48, s33
	s_lshl_b64 s[48:49], s[4:5], 2
	v_cvt_f32_u32_e32 v2, s2
	v_cvt_u32_f32_e32 v0, v0
	s_sub_nc_u64 s[52:53], 0, s[42:43]
	s_sub_nc_u64 s[54:55], 0, s[46:47]
	s_delay_alu instid0(VALU_DEP_2) | instskip(NEXT) | instid1(TRANS32_DEP_1)
	v_rcp_iflag_f32_e32 v2, v2
	v_mul_f32_e32 v2, 0x4f7ffffe, v2
	s_delay_alu instid0(VALU_DEP_1)
	v_cvt_u32_f32_e32 v13, v2
	s_branch .LBB55_3
.LBB55_2:                               ;   in Loop: Header=BB55_3 Depth=1
	s_wait_alu 0xfffe
	s_or_b32 exec_lo, exec_lo, s0
	s_delay_alu instid0(VALU_DEP_1)
	v_mad_co_u64_u32 v[7:8], null, s54, v5, v[3:4]
	v_mul_lo_u32 v2, s54, v6
	v_mul_lo_u32 v9, s55, v5
	;; [unrolled: 1-line block ×4, first 2 shown]
	v_mad_co_u64_u32 v[5:6], null, v5, s20, 0
	v_add_co_u32 v3, vcc_lo, v3, s33
	s_wait_alu 0xfffd
	v_add_co_ci_u32_e64 v4, null, 0, v4, vcc_lo
	v_add3_u32 v2, v9, v8, v2
	v_mul_lo_u32 v9, v7, s23
	v_mad_co_u64_u32 v[7:8], null, v7, s22, 0
	v_add3_u32 v6, v6, v11, v10
	s_delay_alu instid0(VALU_DEP_4) | instskip(SKIP_1) | instid1(VALU_DEP_3)
	v_mul_lo_u32 v2, v2, s22
	v_mul_f32_e32 v10, v16, v17
	v_lshlrev_b64_e32 v[5:6], 2, v[5:6]
	s_delay_alu instid0(VALU_DEP_3) | instskip(NEXT) | instid1(VALU_DEP_2)
	v_add3_u32 v8, v8, v9, v2
	v_add_co_u32 v2, vcc_lo, s44, v5
	s_wait_alu 0xfffd
	s_delay_alu instid0(VALU_DEP_3) | instskip(NEXT) | instid1(VALU_DEP_3)
	v_add_co_ci_u32_e64 v6, null, s45, v6, vcc_lo
	v_lshlrev_b64_e32 v[7:8], 2, v[7:8]
	v_cmp_le_i64_e32 vcc_lo, s[6:7], v[3:4]
	s_delay_alu instid0(VALU_DEP_2) | instskip(SKIP_1) | instid1(VALU_DEP_3)
	v_add_co_u32 v5, s0, v2, v7
	s_wait_alu 0xf1ff
	v_add_co_ci_u32_e64 v6, null, v6, v8, s0
	s_or_b32 s62, vcc_lo, s62
	global_store_b32 v[5:6], v10, off
	s_and_not1_b32 exec_lo, exec_lo, s62
	s_cbranch_execz .LBB55_59
.LBB55_3:                               ; =>This Inner Loop Header: Depth=1
	v_or_b32_e32 v2, s5, v4
	v_ashrrev_i32_e32 v14, 31, v4
                                        ; implicit-def: $vgpr5_vgpr6
	s_mov_b32 s0, exec_lo
	s_delay_alu instid0(VALU_DEP_2)
	v_cmpx_ne_u64_e32 0, v[1:2]
	s_wait_alu 0xfffe
	s_xor_b32 s60, exec_lo, s0
	s_cbranch_execz .LBB55_5
; %bb.4:                                ;   in Loop: Header=BB55_3 Depth=1
	s_mov_b32 s57, s56
	v_add_co_u32 v2, vcc_lo, v3, v14
	s_wait_alu 0xfffe
	s_add_nc_u64 s[58:59], s[4:5], s[56:57]
	s_wait_alu 0xfffd
	v_add_co_ci_u32_e64 v5, null, v4, v14, vcc_lo
	s_wait_alu 0xfffe
	s_xor_b64 s[58:59], s[58:59], s[56:57]
	v_xor_b32_e32 v2, v2, v14
	s_wait_alu 0xfffe
	s_cvt_f32_u32 s0, s58
	s_cvt_f32_u32 s57, s59
	s_sub_nc_u64 s[66:67], 0, s[58:59]
	v_xor_b32_e32 v11, v5, v14
	s_wait_alu 0xfffe
	s_fmamk_f32 s0, s57, 0x4f800000, s0
	s_wait_alu 0xfffe
	s_delay_alu instid0(SALU_CYCLE_2) | instskip(NEXT) | instid1(TRANS32_DEP_1)
	v_s_rcp_f32 s0, s0
	s_mul_f32 s0, s0, 0x5f7ffffc
	s_wait_alu 0xfffe
	s_delay_alu instid0(SALU_CYCLE_2) | instskip(SKIP_1) | instid1(SALU_CYCLE_2)
	s_mul_f32 s57, s0, 0x2f800000
	s_wait_alu 0xfffe
	s_trunc_f32 s57, s57
	s_wait_alu 0xfffe
	s_delay_alu instid0(SALU_CYCLE_2) | instskip(SKIP_2) | instid1(SALU_CYCLE_1)
	s_fmamk_f32 s0, s57, 0xcf800000, s0
	s_cvt_u32_f32 s65, s57
	s_wait_alu 0xfffe
	s_cvt_u32_f32 s64, s0
	s_delay_alu instid0(SALU_CYCLE_3) | instskip(NEXT) | instid1(SALU_CYCLE_1)
	s_mul_u64 s[68:69], s[66:67], s[64:65]
	s_mul_hi_u32 s71, s64, s69
	s_mul_i32 s70, s64, s69
	s_mul_hi_u32 s0, s64, s68
	s_mul_i32 s61, s65, s68
	s_wait_alu 0xfffe
	s_add_nc_u64 s[70:71], s[0:1], s[70:71]
	s_mul_hi_u32 s57, s65, s68
	s_mul_hi_u32 s63, s65, s69
	s_add_co_u32 s0, s70, s61
	s_wait_alu 0xfffe
	s_add_co_ci_u32 s0, s71, s57
	s_mul_i32 s68, s65, s69
	s_add_co_ci_u32 s69, s63, 0
	s_wait_alu 0xfffe
	s_add_nc_u64 s[68:69], s[0:1], s[68:69]
	s_delay_alu instid0(SALU_CYCLE_1) | instskip(SKIP_4) | instid1(SALU_CYCLE_1)
	s_add_co_u32 s64, s64, s68
	s_cselect_b32 s0, -1, 0
	s_wait_alu 0xfffe
	s_cmp_lg_u32 s0, 0
	s_add_co_ci_u32 s65, s65, s69
	s_mul_u64 s[66:67], s[66:67], s[64:65]
	s_delay_alu instid0(SALU_CYCLE_1)
	s_mul_hi_u32 s69, s64, s67
	s_mul_i32 s68, s64, s67
	s_mul_hi_u32 s0, s64, s66
	s_mul_i32 s61, s65, s66
	s_wait_alu 0xfffe
	s_add_nc_u64 s[68:69], s[0:1], s[68:69]
	s_mul_hi_u32 s57, s65, s66
	s_mul_hi_u32 s63, s65, s67
	s_add_co_u32 s0, s68, s61
	s_wait_alu 0xfffe
	s_add_co_ci_u32 s0, s69, s57
	s_mul_i32 s66, s65, s67
	s_add_co_ci_u32 s67, s63, 0
	s_wait_alu 0xfffe
	s_add_nc_u64 s[66:67], s[0:1], s[66:67]
	s_delay_alu instid0(SALU_CYCLE_1)
	s_add_co_u32 s0, s64, s66
	s_cselect_b32 s57, -1, 0
	s_wait_alu 0xfffe
	v_mul_hi_u32 v12, v2, s0
	s_cmp_lg_u32 s57, 0
	v_mad_co_u64_u32 v[7:8], null, v11, s0, 0
	s_add_co_ci_u32 s57, s65, s67
	s_wait_alu 0xfffe
	v_mad_co_u64_u32 v[5:6], null, v2, s57, 0
	v_mad_co_u64_u32 v[9:10], null, v11, s57, 0
	s_delay_alu instid0(VALU_DEP_2) | instskip(SKIP_1) | instid1(VALU_DEP_3)
	v_add_co_u32 v5, vcc_lo, v12, v5
	s_wait_alu 0xfffd
	v_add_co_ci_u32_e64 v6, null, 0, v6, vcc_lo
	s_delay_alu instid0(VALU_DEP_2) | instskip(SKIP_1) | instid1(VALU_DEP_2)
	v_add_co_u32 v5, vcc_lo, v5, v7
	s_wait_alu 0xfffd
	v_add_co_ci_u32_e32 v5, vcc_lo, v6, v8, vcc_lo
	s_wait_alu 0xfffd
	v_add_co_ci_u32_e32 v6, vcc_lo, 0, v10, vcc_lo
	s_delay_alu instid0(VALU_DEP_2) | instskip(SKIP_1) | instid1(VALU_DEP_2)
	v_add_co_u32 v7, vcc_lo, v5, v9
	s_wait_alu 0xfffd
	v_add_co_ci_u32_e64 v8, null, 0, v6, vcc_lo
	s_delay_alu instid0(VALU_DEP_2) | instskip(SKIP_1) | instid1(VALU_DEP_3)
	v_mul_lo_u32 v9, s59, v7
	v_mad_co_u64_u32 v[5:6], null, s58, v7, 0
	v_mul_lo_u32 v10, s58, v8
	s_delay_alu instid0(VALU_DEP_2) | instskip(NEXT) | instid1(VALU_DEP_2)
	v_sub_co_u32 v2, vcc_lo, v2, v5
	v_add3_u32 v6, v6, v10, v9
	s_delay_alu instid0(VALU_DEP_1) | instskip(SKIP_2) | instid1(VALU_DEP_2)
	v_sub_nc_u32_e32 v9, v11, v6
	s_wait_alu 0xfffd
	v_sub_co_ci_u32_e64 v6, null, v11, v6, vcc_lo
	v_subrev_co_ci_u32_e64 v5, null, s59, v9, vcc_lo
	v_add_co_u32 v9, s0, v7, 2
	s_wait_alu 0xf1ff
	v_add_co_ci_u32_e64 v10, null, 0, v8, s0
	v_sub_co_u32 v12, s0, v2, s58
	s_wait_alu 0xf1ff
	v_subrev_co_ci_u32_e64 v5, null, 0, v5, s0
	s_delay_alu instid0(VALU_DEP_2) | instskip(SKIP_2) | instid1(VALU_DEP_3)
	v_cmp_le_u32_e32 vcc_lo, s58, v12
	s_wait_alu 0xfffd
	v_cndmask_b32_e64 v11, 0, -1, vcc_lo
	v_cmp_le_u32_e32 vcc_lo, s59, v5
	s_wait_alu 0xfffd
	v_cndmask_b32_e64 v12, 0, -1, vcc_lo
	;; [unrolled: 3-line block ×4, first 2 shown]
	v_cmp_eq_u32_e32 vcc_lo, s59, v5
	s_wait_alu 0xfffd
	v_cndmask_b32_e32 v5, v12, v11, vcc_lo
	v_add_co_u32 v11, vcc_lo, v7, 1
	s_wait_alu 0xfffd
	v_add_co_ci_u32_e64 v12, null, 0, v8, vcc_lo
	v_cmp_eq_u32_e32 vcc_lo, s59, v6
	v_xor_b32_e32 v6, s56, v14
	s_wait_alu 0xfffd
	v_cndmask_b32_e32 v2, v15, v2, vcc_lo
	v_cmp_ne_u32_e32 vcc_lo, 0, v5
	s_delay_alu instid0(VALU_DEP_2) | instskip(SKIP_3) | instid1(VALU_DEP_1)
	v_cmp_ne_u32_e64 s0, 0, v2
	s_wait_alu 0xfffd
	v_dual_cndmask_b32 v5, v12, v10 :: v_dual_cndmask_b32 v2, v11, v9
	s_wait_alu 0xf1ff
	v_cndmask_b32_e64 v5, v8, v5, s0
	s_delay_alu instid0(VALU_DEP_2) | instskip(NEXT) | instid1(VALU_DEP_2)
	v_cndmask_b32_e64 v2, v7, v2, s0
	v_xor_b32_e32 v7, v5, v6
	s_delay_alu instid0(VALU_DEP_2) | instskip(NEXT) | instid1(VALU_DEP_1)
	v_xor_b32_e32 v2, v2, v6
	v_sub_co_u32 v5, vcc_lo, v2, v6
	s_wait_alu 0xfffd
	s_delay_alu instid0(VALU_DEP_3)
	v_sub_co_ci_u32_e64 v6, null, v7, v6, vcc_lo
.LBB55_5:                               ;   in Loop: Header=BB55_3 Depth=1
	s_wait_alu 0xfffe
	s_and_not1_saveexec_b32 s0, s60
	s_cbranch_execz .LBB55_7
; %bb.6:                                ;   in Loop: Header=BB55_3 Depth=1
	s_sub_co_i32 s57, 0, s4
	s_wait_alu 0xfffe
	v_mul_lo_u32 v2, s57, v0
	s_delay_alu instid0(VALU_DEP_1) | instskip(NEXT) | instid1(VALU_DEP_1)
	v_mul_hi_u32 v2, v0, v2
	v_add_nc_u32_e32 v2, v0, v2
	s_delay_alu instid0(VALU_DEP_1) | instskip(NEXT) | instid1(VALU_DEP_1)
	v_mul_hi_u32 v2, v3, v2
	v_mul_lo_u32 v5, v2, s4
	v_add_nc_u32_e32 v6, 1, v2
	s_delay_alu instid0(VALU_DEP_2) | instskip(NEXT) | instid1(VALU_DEP_1)
	v_sub_nc_u32_e32 v5, v3, v5
	v_subrev_nc_u32_e32 v7, s4, v5
	v_cmp_le_u32_e32 vcc_lo, s4, v5
	s_wait_alu 0xfffd
	s_delay_alu instid0(VALU_DEP_2) | instskip(NEXT) | instid1(VALU_DEP_1)
	v_dual_cndmask_b32 v5, v5, v7 :: v_dual_cndmask_b32 v2, v2, v6
	v_cmp_le_u32_e32 vcc_lo, s4, v5
	s_delay_alu instid0(VALU_DEP_2) | instskip(SKIP_1) | instid1(VALU_DEP_1)
	v_add_nc_u32_e32 v6, 1, v2
	s_wait_alu 0xfffd
	v_dual_cndmask_b32 v5, v2, v6 :: v_dual_mov_b32 v6, v1
.LBB55_7:                               ;   in Loop: Header=BB55_3 Depth=1
	s_wait_alu 0xfffe
	s_or_b32 exec_lo, exec_lo, s0
	s_delay_alu instid0(VALU_DEP_1) | instskip(NEXT) | instid1(VALU_DEP_2)
	v_mul_lo_u32 v2, s49, v5
	v_mul_lo_u32 v9, s48, v6
	v_mad_co_u64_u32 v[7:8], null, s48, v5, 0
	s_mov_b32 s0, exec_lo
	v_add3_u32 v8, v8, v9, v2
	v_add_co_u32 v11, vcc_lo, v3, v7
                                        ; implicit-def: $vgpr9_vgpr10
	s_wait_alu 0xfffd
	s_delay_alu instid0(VALU_DEP_2) | instskip(NEXT) | instid1(VALU_DEP_1)
	v_add_co_ci_u32_e64 v12, null, v4, v8, vcc_lo
	v_or_b32_e32 v2, s3, v12
	s_delay_alu instid0(VALU_DEP_1)
	v_cmpx_ne_u64_e32 0, v[1:2]
	s_wait_alu 0xfffe
	s_xor_b32 s57, exec_lo, s0
	s_cbranch_execz .LBB55_9
; %bb.8:                                ;   in Loop: Header=BB55_3 Depth=1
	s_ashr_i32 s58, s3, 31
	v_ashrrev_i32_e32 v2, 31, v12
	s_wait_alu 0xfffe
	s_mov_b32 s59, s58
	s_wait_alu 0xfffe
	s_add_nc_u64 s[60:61], s[2:3], s[58:59]
	v_add_co_u32 v9, vcc_lo, v11, v2
	s_wait_alu 0xfffe
	s_xor_b64 s[60:61], s[60:61], s[58:59]
	s_wait_alu 0xfffd
	v_add_co_ci_u32_e64 v10, null, v12, v2, vcc_lo
	s_wait_alu 0xfffe
	s_cvt_f32_u32 s0, s60
	s_cvt_f32_u32 s59, s61
	s_sub_nc_u64 s[66:67], 0, s[60:61]
	v_xor_b32_e32 v17, v9, v2
	v_xor_b32_e32 v18, v10, v2
	s_wait_alu 0xfffe
	s_fmamk_f32 s0, s59, 0x4f800000, s0
	v_xor_b32_e32 v2, s58, v2
	s_wait_alu 0xfffe
	s_delay_alu instid0(SALU_CYCLE_1) | instskip(NEXT) | instid1(TRANS32_DEP_1)
	v_s_rcp_f32 s0, s0
	s_mul_f32 s0, s0, 0x5f7ffffc
	s_wait_alu 0xfffe
	s_delay_alu instid0(SALU_CYCLE_2) | instskip(SKIP_1) | instid1(SALU_CYCLE_2)
	s_mul_f32 s59, s0, 0x2f800000
	s_wait_alu 0xfffe
	s_trunc_f32 s59, s59
	s_wait_alu 0xfffe
	s_delay_alu instid0(SALU_CYCLE_2) | instskip(SKIP_2) | instid1(SALU_CYCLE_1)
	s_fmamk_f32 s0, s59, 0xcf800000, s0
	s_cvt_u32_f32 s65, s59
	s_wait_alu 0xfffe
	s_cvt_u32_f32 s64, s0
	s_delay_alu instid0(SALU_CYCLE_3) | instskip(NEXT) | instid1(SALU_CYCLE_1)
	s_mul_u64 s[68:69], s[66:67], s[64:65]
	s_mul_hi_u32 s71, s64, s69
	s_mul_i32 s70, s64, s69
	s_mul_hi_u32 s0, s64, s68
	s_mul_i32 s63, s65, s68
	s_wait_alu 0xfffe
	s_add_nc_u64 s[70:71], s[0:1], s[70:71]
	s_mul_hi_u32 s59, s65, s68
	s_mul_hi_u32 s72, s65, s69
	s_add_co_u32 s0, s70, s63
	s_wait_alu 0xfffe
	s_add_co_ci_u32 s0, s71, s59
	s_mul_i32 s68, s65, s69
	s_add_co_ci_u32 s69, s72, 0
	s_wait_alu 0xfffe
	s_add_nc_u64 s[68:69], s[0:1], s[68:69]
	s_delay_alu instid0(SALU_CYCLE_1) | instskip(SKIP_4) | instid1(SALU_CYCLE_1)
	s_add_co_u32 s64, s64, s68
	s_cselect_b32 s0, -1, 0
	s_wait_alu 0xfffe
	s_cmp_lg_u32 s0, 0
	s_add_co_ci_u32 s65, s65, s69
	s_mul_u64 s[66:67], s[66:67], s[64:65]
	s_delay_alu instid0(SALU_CYCLE_1)
	s_mul_hi_u32 s69, s64, s67
	s_mul_i32 s68, s64, s67
	s_mul_hi_u32 s0, s64, s66
	s_mul_i32 s63, s65, s66
	s_wait_alu 0xfffe
	s_add_nc_u64 s[68:69], s[0:1], s[68:69]
	s_mul_hi_u32 s59, s65, s66
	s_mul_hi_u32 s70, s65, s67
	s_add_co_u32 s0, s68, s63
	s_wait_alu 0xfffe
	s_add_co_ci_u32 s0, s69, s59
	s_mul_i32 s66, s65, s67
	s_add_co_ci_u32 s67, s70, 0
	s_wait_alu 0xfffe
	s_add_nc_u64 s[66:67], s[0:1], s[66:67]
	s_delay_alu instid0(SALU_CYCLE_1)
	s_add_co_u32 s0, s64, s66
	s_cselect_b32 s59, -1, 0
	s_wait_alu 0xfffe
	v_mul_hi_u32 v19, v17, s0
	s_cmp_lg_u32 s59, 0
	v_mad_co_u64_u32 v[11:12], null, v18, s0, 0
	s_add_co_ci_u32 s59, s65, s67
	s_wait_alu 0xfffe
	v_mad_co_u64_u32 v[9:10], null, v17, s59, 0
	v_mad_co_u64_u32 v[15:16], null, v18, s59, 0
	s_delay_alu instid0(VALU_DEP_2) | instskip(SKIP_1) | instid1(VALU_DEP_3)
	v_add_co_u32 v9, vcc_lo, v19, v9
	s_wait_alu 0xfffd
	v_add_co_ci_u32_e64 v10, null, 0, v10, vcc_lo
	s_delay_alu instid0(VALU_DEP_2) | instskip(SKIP_1) | instid1(VALU_DEP_2)
	v_add_co_u32 v9, vcc_lo, v9, v11
	s_wait_alu 0xfffd
	v_add_co_ci_u32_e32 v9, vcc_lo, v10, v12, vcc_lo
	s_wait_alu 0xfffd
	v_add_co_ci_u32_e32 v10, vcc_lo, 0, v16, vcc_lo
	s_delay_alu instid0(VALU_DEP_2) | instskip(SKIP_1) | instid1(VALU_DEP_2)
	v_add_co_u32 v11, vcc_lo, v9, v15
	s_wait_alu 0xfffd
	v_add_co_ci_u32_e64 v12, null, 0, v10, vcc_lo
	s_delay_alu instid0(VALU_DEP_2) | instskip(SKIP_1) | instid1(VALU_DEP_3)
	v_mul_lo_u32 v15, s61, v11
	v_mad_co_u64_u32 v[9:10], null, s60, v11, 0
	v_mul_lo_u32 v16, s60, v12
	s_delay_alu instid0(VALU_DEP_2) | instskip(NEXT) | instid1(VALU_DEP_2)
	v_sub_co_u32 v9, vcc_lo, v17, v9
	v_add3_u32 v10, v10, v16, v15
	v_add_co_u32 v16, s0, v11, 2
	s_wait_alu 0xf1ff
	v_add_co_ci_u32_e64 v17, null, 0, v12, s0
	s_delay_alu instid0(VALU_DEP_3) | instskip(SKIP_3) | instid1(VALU_DEP_3)
	v_sub_nc_u32_e32 v15, v18, v10
	v_sub_co_u32 v19, s0, v9, s60
	s_wait_alu 0xfffd
	v_sub_co_ci_u32_e64 v10, null, v18, v10, vcc_lo
	v_subrev_co_ci_u32_e64 v15, null, s61, v15, vcc_lo
	s_delay_alu instid0(VALU_DEP_3) | instskip(SKIP_1) | instid1(VALU_DEP_2)
	v_cmp_le_u32_e32 vcc_lo, s60, v19
	s_wait_alu 0xf1ff
	v_subrev_co_ci_u32_e64 v15, null, 0, v15, s0
	s_wait_alu 0xfffd
	v_cndmask_b32_e64 v18, 0, -1, vcc_lo
	s_delay_alu instid0(VALU_DEP_2)
	v_cmp_le_u32_e32 vcc_lo, s61, v15
	s_wait_alu 0xfffd
	v_cndmask_b32_e64 v19, 0, -1, vcc_lo
	v_cmp_le_u32_e32 vcc_lo, s60, v9
	s_wait_alu 0xfffd
	v_cndmask_b32_e64 v9, 0, -1, vcc_lo
	;; [unrolled: 3-line block ×3, first 2 shown]
	v_cmp_eq_u32_e32 vcc_lo, s61, v15
	s_wait_alu 0xfffd
	v_cndmask_b32_e32 v15, v19, v18, vcc_lo
	v_add_co_u32 v18, vcc_lo, v11, 1
	s_wait_alu 0xfffd
	v_add_co_ci_u32_e64 v19, null, 0, v12, vcc_lo
	v_cmp_eq_u32_e32 vcc_lo, s61, v10
	s_wait_alu 0xfffd
	v_cndmask_b32_e32 v9, v20, v9, vcc_lo
	v_cmp_ne_u32_e32 vcc_lo, 0, v15
	s_delay_alu instid0(VALU_DEP_2) | instskip(SKIP_3) | instid1(VALU_DEP_1)
	v_cmp_ne_u32_e64 s0, 0, v9
	s_wait_alu 0xfffd
	v_dual_cndmask_b32 v10, v19, v17 :: v_dual_cndmask_b32 v9, v18, v16
	s_wait_alu 0xf1ff
	v_cndmask_b32_e64 v10, v12, v10, s0
	s_delay_alu instid0(VALU_DEP_2) | instskip(NEXT) | instid1(VALU_DEP_2)
	v_cndmask_b32_e64 v9, v11, v9, s0
                                        ; implicit-def: $vgpr11
	v_xor_b32_e32 v10, v10, v2
	s_delay_alu instid0(VALU_DEP_2) | instskip(NEXT) | instid1(VALU_DEP_1)
	v_xor_b32_e32 v9, v9, v2
	v_sub_co_u32 v9, vcc_lo, v9, v2
	s_wait_alu 0xfffd
	s_delay_alu instid0(VALU_DEP_3)
	v_sub_co_ci_u32_e64 v10, null, v10, v2, vcc_lo
.LBB55_9:                               ;   in Loop: Header=BB55_3 Depth=1
	s_wait_alu 0xfffe
	s_and_not1_saveexec_b32 s0, s57
	s_cbranch_execz .LBB55_11
; %bb.10:                               ;   in Loop: Header=BB55_3 Depth=1
	s_sub_co_i32 s57, 0, s2
	s_wait_alu 0xfffe
	v_mul_lo_u32 v2, s57, v13
	s_delay_alu instid0(VALU_DEP_1) | instskip(NEXT) | instid1(VALU_DEP_1)
	v_mul_hi_u32 v2, v13, v2
	v_add_nc_u32_e32 v2, v13, v2
	s_delay_alu instid0(VALU_DEP_1) | instskip(NEXT) | instid1(VALU_DEP_1)
	v_mul_hi_u32 v2, v11, v2
	v_mul_lo_u32 v9, v2, s2
	s_delay_alu instid0(VALU_DEP_1) | instskip(NEXT) | instid1(VALU_DEP_1)
	v_sub_nc_u32_e32 v9, v11, v9
	v_subrev_nc_u32_e32 v11, s2, v9
	v_cmp_le_u32_e32 vcc_lo, s2, v9
	s_wait_alu 0xfffd
	s_delay_alu instid0(VALU_DEP_2) | instskip(NEXT) | instid1(VALU_DEP_1)
	v_dual_cndmask_b32 v9, v9, v11 :: v_dual_add_nc_u32 v10, 1, v2
	v_cndmask_b32_e32 v2, v2, v10, vcc_lo
	s_delay_alu instid0(VALU_DEP_2) | instskip(NEXT) | instid1(VALU_DEP_2)
	v_cmp_le_u32_e32 vcc_lo, s2, v9
	v_add_nc_u32_e32 v10, 1, v2
	s_wait_alu 0xfffd
	s_delay_alu instid0(VALU_DEP_1)
	v_dual_cndmask_b32 v9, v2, v10 :: v_dual_mov_b32 v10, v1
.LBB55_11:                              ;   in Loop: Header=BB55_3 Depth=1
	s_wait_alu 0xfffe
	s_or_b32 exec_lo, exec_lo, s0
	s_delay_alu instid0(VALU_DEP_1) | instskip(NEXT) | instid1(VALU_DEP_2)
	v_mul_lo_u32 v2, v10, s2
	v_mul_lo_u32 v15, v9, s3
	v_mad_co_u64_u32 v[11:12], null, v9, s2, 0
	s_mov_b32 s0, exec_lo
	v_add3_u32 v2, v12, v15, v2
	v_sub_co_u32 v7, vcc_lo, v7, v11
	v_mul_lo_u32 v12, v10, s24
	v_mul_lo_u32 v11, v9, s25
	s_wait_alu 0xfffd
	v_sub_co_ci_u32_e64 v2, null, v8, v2, vcc_lo
	v_add_co_u32 v10, vcc_lo, v3, v7
	v_mad_co_u64_u32 v[7:8], null, v9, s24, 0
	s_wait_alu 0xfffd
	s_delay_alu instid0(VALU_DEP_3) | instskip(NEXT) | instid1(VALU_DEP_3)
	v_add_co_ci_u32_e64 v2, null, v4, v2, vcc_lo
	v_mul_lo_u32 v15, v10, s27
	v_mad_co_u64_u32 v[9:10], null, v10, s26, 0
	s_delay_alu instid0(VALU_DEP_3) | instskip(SKIP_1) | instid1(VALU_DEP_1)
	v_mul_lo_u32 v2, v2, s26
	v_add3_u32 v8, v8, v11, v12
	v_lshlrev_b64_e32 v[7:8], 2, v[7:8]
	s_delay_alu instid0(VALU_DEP_3) | instskip(NEXT) | instid1(VALU_DEP_2)
	v_add3_u32 v10, v10, v15, v2
	v_add_co_u32 v2, vcc_lo, s28, v7
	s_delay_alu instid0(VALU_DEP_2) | instskip(SKIP_1) | instid1(VALU_DEP_4)
	v_lshlrev_b64_e32 v[9:10], 2, v[9:10]
	s_wait_alu 0xfffd
	v_add_co_ci_u32_e64 v8, null, s29, v8, vcc_lo
	s_delay_alu instid0(VALU_DEP_2) | instskip(SKIP_1) | instid1(VALU_DEP_2)
	v_add_co_u32 v7, vcc_lo, v2, v9
	s_wait_alu 0xfffd
	v_add_co_ci_u32_e64 v8, null, v8, v10, vcc_lo
	v_alignbit_b32 v2, v6, v5, 30
	global_load_b32 v15, v[7:8], off
	v_lshlrev_b64_e32 v[7:8], 2, v[5:6]
	v_mul_lo_u32 v2, s4, v2
	s_delay_alu instid0(VALU_DEP_2) | instskip(SKIP_1) | instid1(VALU_DEP_1)
	v_mul_lo_u32 v11, s5, v7
	v_mad_co_u64_u32 v[9:10], null, s4, v7, s[4:5]
	v_add3_u32 v10, v11, v10, v2
	s_delay_alu instid0(VALU_DEP_2) | instskip(SKIP_1) | instid1(VALU_DEP_2)
	v_add_co_u32 v16, vcc_lo, v3, v9
                                        ; implicit-def: $vgpr11_vgpr12
	s_wait_alu 0xfffd
	v_add_co_ci_u32_e64 v17, null, v4, v10, vcc_lo
	s_delay_alu instid0(VALU_DEP_1) | instskip(NEXT) | instid1(VALU_DEP_1)
	v_or_b32_e32 v2, s3, v17
	v_cmpx_ne_u64_e32 0, v[1:2]
	s_wait_alu 0xfffe
	s_xor_b32 s57, exec_lo, s0
	s_cbranch_execz .LBB55_13
; %bb.12:                               ;   in Loop: Header=BB55_3 Depth=1
	s_ashr_i32 s58, s3, 31
	v_ashrrev_i32_e32 v2, 31, v17
	s_wait_alu 0xfffe
	s_mov_b32 s59, s58
	s_wait_alu 0xfffe
	s_add_nc_u64 s[60:61], s[2:3], s[58:59]
	v_add_co_u32 v11, vcc_lo, v16, v2
	s_wait_alu 0xfffe
	s_xor_b64 s[60:61], s[60:61], s[58:59]
	s_wait_alu 0xfffd
	v_add_co_ci_u32_e64 v12, null, v17, v2, vcc_lo
	s_wait_alu 0xfffe
	s_cvt_f32_u32 s0, s60
	s_cvt_f32_u32 s59, s61
	s_sub_nc_u64 s[66:67], 0, s[60:61]
	v_xor_b32_e32 v20, v11, v2
	v_xor_b32_e32 v21, v12, v2
	s_wait_alu 0xfffe
	s_fmamk_f32 s0, s59, 0x4f800000, s0
	v_xor_b32_e32 v2, s58, v2
	s_wait_alu 0xfffe
	s_delay_alu instid0(SALU_CYCLE_1) | instskip(NEXT) | instid1(TRANS32_DEP_1)
	v_s_rcp_f32 s0, s0
	s_mul_f32 s0, s0, 0x5f7ffffc
	s_wait_alu 0xfffe
	s_delay_alu instid0(SALU_CYCLE_2) | instskip(SKIP_1) | instid1(SALU_CYCLE_2)
	s_mul_f32 s59, s0, 0x2f800000
	s_wait_alu 0xfffe
	s_trunc_f32 s59, s59
	s_wait_alu 0xfffe
	s_delay_alu instid0(SALU_CYCLE_2) | instskip(SKIP_2) | instid1(SALU_CYCLE_1)
	s_fmamk_f32 s0, s59, 0xcf800000, s0
	s_cvt_u32_f32 s65, s59
	s_wait_alu 0xfffe
	s_cvt_u32_f32 s64, s0
	s_delay_alu instid0(SALU_CYCLE_3) | instskip(NEXT) | instid1(SALU_CYCLE_1)
	s_mul_u64 s[68:69], s[66:67], s[64:65]
	s_mul_hi_u32 s71, s64, s69
	s_mul_i32 s70, s64, s69
	s_mul_hi_u32 s0, s64, s68
	s_mul_i32 s63, s65, s68
	s_wait_alu 0xfffe
	s_add_nc_u64 s[70:71], s[0:1], s[70:71]
	s_mul_hi_u32 s59, s65, s68
	s_mul_hi_u32 s72, s65, s69
	s_add_co_u32 s0, s70, s63
	s_wait_alu 0xfffe
	s_add_co_ci_u32 s0, s71, s59
	s_mul_i32 s68, s65, s69
	s_add_co_ci_u32 s69, s72, 0
	s_wait_alu 0xfffe
	s_add_nc_u64 s[68:69], s[0:1], s[68:69]
	s_delay_alu instid0(SALU_CYCLE_1) | instskip(SKIP_4) | instid1(SALU_CYCLE_1)
	s_add_co_u32 s64, s64, s68
	s_cselect_b32 s0, -1, 0
	s_wait_alu 0xfffe
	s_cmp_lg_u32 s0, 0
	s_add_co_ci_u32 s65, s65, s69
	s_mul_u64 s[66:67], s[66:67], s[64:65]
	s_delay_alu instid0(SALU_CYCLE_1)
	s_mul_hi_u32 s69, s64, s67
	s_mul_i32 s68, s64, s67
	s_mul_hi_u32 s0, s64, s66
	s_mul_i32 s63, s65, s66
	s_wait_alu 0xfffe
	s_add_nc_u64 s[68:69], s[0:1], s[68:69]
	s_mul_hi_u32 s59, s65, s66
	s_mul_hi_u32 s70, s65, s67
	s_add_co_u32 s0, s68, s63
	s_wait_alu 0xfffe
	s_add_co_ci_u32 s0, s69, s59
	s_mul_i32 s66, s65, s67
	s_add_co_ci_u32 s67, s70, 0
	s_wait_alu 0xfffe
	s_add_nc_u64 s[66:67], s[0:1], s[66:67]
	s_delay_alu instid0(SALU_CYCLE_1)
	s_add_co_u32 s0, s64, s66
	s_cselect_b32 s59, -1, 0
	s_wait_alu 0xfffe
	v_mul_hi_u32 v22, v20, s0
	s_cmp_lg_u32 s59, 0
	v_mad_co_u64_u32 v[16:17], null, v21, s0, 0
	s_add_co_ci_u32 s59, s65, s67
	s_wait_alu 0xfffe
	v_mad_co_u64_u32 v[11:12], null, v20, s59, 0
	v_mad_co_u64_u32 v[18:19], null, v21, s59, 0
	s_delay_alu instid0(VALU_DEP_2) | instskip(SKIP_1) | instid1(VALU_DEP_3)
	v_add_co_u32 v11, vcc_lo, v22, v11
	s_wait_alu 0xfffd
	v_add_co_ci_u32_e64 v12, null, 0, v12, vcc_lo
	s_delay_alu instid0(VALU_DEP_2) | instskip(SKIP_1) | instid1(VALU_DEP_2)
	v_add_co_u32 v11, vcc_lo, v11, v16
	s_wait_alu 0xfffd
	v_add_co_ci_u32_e32 v11, vcc_lo, v12, v17, vcc_lo
	s_wait_alu 0xfffd
	v_add_co_ci_u32_e32 v12, vcc_lo, 0, v19, vcc_lo
	s_delay_alu instid0(VALU_DEP_2) | instskip(SKIP_1) | instid1(VALU_DEP_2)
	v_add_co_u32 v16, vcc_lo, v11, v18
	s_wait_alu 0xfffd
	v_add_co_ci_u32_e64 v17, null, 0, v12, vcc_lo
	s_delay_alu instid0(VALU_DEP_2) | instskip(SKIP_1) | instid1(VALU_DEP_3)
	v_mul_lo_u32 v18, s61, v16
	v_mad_co_u64_u32 v[11:12], null, s60, v16, 0
	v_mul_lo_u32 v19, s60, v17
	s_delay_alu instid0(VALU_DEP_2) | instskip(NEXT) | instid1(VALU_DEP_2)
	v_sub_co_u32 v11, vcc_lo, v20, v11
	v_add3_u32 v12, v12, v19, v18
	v_add_co_u32 v19, s0, v16, 2
	s_wait_alu 0xf1ff
	v_add_co_ci_u32_e64 v20, null, 0, v17, s0
	s_delay_alu instid0(VALU_DEP_3) | instskip(SKIP_3) | instid1(VALU_DEP_3)
	v_sub_nc_u32_e32 v18, v21, v12
	v_sub_co_u32 v22, s0, v11, s60
	s_wait_alu 0xfffd
	v_sub_co_ci_u32_e64 v12, null, v21, v12, vcc_lo
	v_subrev_co_ci_u32_e64 v18, null, s61, v18, vcc_lo
	s_delay_alu instid0(VALU_DEP_3) | instskip(SKIP_1) | instid1(VALU_DEP_2)
	v_cmp_le_u32_e32 vcc_lo, s60, v22
	s_wait_alu 0xf1ff
	v_subrev_co_ci_u32_e64 v18, null, 0, v18, s0
	s_wait_alu 0xfffd
	v_cndmask_b32_e64 v21, 0, -1, vcc_lo
	s_delay_alu instid0(VALU_DEP_2)
	v_cmp_le_u32_e32 vcc_lo, s61, v18
	s_wait_alu 0xfffd
	v_cndmask_b32_e64 v22, 0, -1, vcc_lo
	v_cmp_le_u32_e32 vcc_lo, s60, v11
	s_wait_alu 0xfffd
	v_cndmask_b32_e64 v11, 0, -1, vcc_lo
	;; [unrolled: 3-line block ×3, first 2 shown]
	v_cmp_eq_u32_e32 vcc_lo, s61, v18
	s_wait_alu 0xfffd
	v_cndmask_b32_e32 v18, v22, v21, vcc_lo
	v_add_co_u32 v21, vcc_lo, v16, 1
	s_wait_alu 0xfffd
	v_add_co_ci_u32_e64 v22, null, 0, v17, vcc_lo
	v_cmp_eq_u32_e32 vcc_lo, s61, v12
	s_wait_alu 0xfffd
	v_cndmask_b32_e32 v11, v23, v11, vcc_lo
	v_cmp_ne_u32_e32 vcc_lo, 0, v18
	s_delay_alu instid0(VALU_DEP_2) | instskip(SKIP_3) | instid1(VALU_DEP_1)
	v_cmp_ne_u32_e64 s0, 0, v11
	s_wait_alu 0xfffd
	v_dual_cndmask_b32 v12, v22, v20 :: v_dual_cndmask_b32 v11, v21, v19
	s_wait_alu 0xf1ff
	v_cndmask_b32_e64 v12, v17, v12, s0
	s_delay_alu instid0(VALU_DEP_2) | instskip(NEXT) | instid1(VALU_DEP_2)
	v_cndmask_b32_e64 v11, v16, v11, s0
                                        ; implicit-def: $vgpr16
	v_xor_b32_e32 v12, v12, v2
	s_delay_alu instid0(VALU_DEP_2) | instskip(NEXT) | instid1(VALU_DEP_1)
	v_xor_b32_e32 v11, v11, v2
	v_sub_co_u32 v11, vcc_lo, v11, v2
	s_wait_alu 0xfffd
	s_delay_alu instid0(VALU_DEP_3)
	v_sub_co_ci_u32_e64 v12, null, v12, v2, vcc_lo
.LBB55_13:                              ;   in Loop: Header=BB55_3 Depth=1
	s_wait_alu 0xfffe
	s_and_not1_saveexec_b32 s0, s57
	s_cbranch_execz .LBB55_15
; %bb.14:                               ;   in Loop: Header=BB55_3 Depth=1
	s_sub_co_i32 s57, 0, s2
	s_wait_alu 0xfffe
	v_mul_lo_u32 v2, s57, v13
	s_delay_alu instid0(VALU_DEP_1) | instskip(NEXT) | instid1(VALU_DEP_1)
	v_mul_hi_u32 v2, v13, v2
	v_add_nc_u32_e32 v2, v13, v2
	s_delay_alu instid0(VALU_DEP_1) | instskip(NEXT) | instid1(VALU_DEP_1)
	v_mul_hi_u32 v2, v16, v2
	v_mul_lo_u32 v11, v2, s2
	v_add_nc_u32_e32 v12, 1, v2
	s_delay_alu instid0(VALU_DEP_2) | instskip(NEXT) | instid1(VALU_DEP_1)
	v_sub_nc_u32_e32 v11, v16, v11
	v_subrev_nc_u32_e32 v16, s2, v11
	v_cmp_le_u32_e32 vcc_lo, s2, v11
	s_wait_alu 0xfffd
	s_delay_alu instid0(VALU_DEP_2) | instskip(SKIP_1) | instid1(VALU_DEP_2)
	v_cndmask_b32_e32 v11, v11, v16, vcc_lo
	v_cndmask_b32_e32 v2, v2, v12, vcc_lo
	v_cmp_le_u32_e32 vcc_lo, s2, v11
	s_delay_alu instid0(VALU_DEP_2) | instskip(SKIP_1) | instid1(VALU_DEP_1)
	v_add_nc_u32_e32 v12, 1, v2
	s_wait_alu 0xfffd
	v_dual_cndmask_b32 v11, v2, v12 :: v_dual_mov_b32 v12, v1
.LBB55_15:                              ;   in Loop: Header=BB55_3 Depth=1
	s_wait_alu 0xfffe
	s_or_b32 exec_lo, exec_lo, s0
	s_delay_alu instid0(VALU_DEP_1) | instskip(NEXT) | instid1(VALU_DEP_2)
	v_mul_lo_u32 v2, v12, s2
	v_mul_lo_u32 v18, v11, s3
	v_mad_co_u64_u32 v[16:17], null, v11, s2, 0
	s_mov_b32 s0, exec_lo
	v_add3_u32 v2, v17, v18, v2
	v_sub_co_u32 v9, vcc_lo, v9, v16
	v_mul_lo_u32 v17, v12, s24
	v_mul_lo_u32 v16, v11, s25
	s_wait_alu 0xfffd
	v_sub_co_ci_u32_e64 v2, null, v10, v2, vcc_lo
	v_add_co_u32 v12, vcc_lo, v3, v9
	v_mad_co_u64_u32 v[9:10], null, v11, s24, 0
	s_wait_alu 0xfffd
	s_delay_alu instid0(VALU_DEP_3) | instskip(NEXT) | instid1(VALU_DEP_3)
	v_add_co_ci_u32_e64 v2, null, v4, v2, vcc_lo
	v_mul_lo_u32 v18, v12, s27
	v_mad_co_u64_u32 v[11:12], null, v12, s26, 0
	s_delay_alu instid0(VALU_DEP_3) | instskip(SKIP_1) | instid1(VALU_DEP_1)
	v_mul_lo_u32 v2, v2, s26
	v_add3_u32 v10, v10, v16, v17
	v_lshlrev_b64_e32 v[9:10], 2, v[9:10]
	s_delay_alu instid0(VALU_DEP_3) | instskip(NEXT) | instid1(VALU_DEP_2)
	v_add3_u32 v12, v12, v18, v2
	v_add_co_u32 v2, vcc_lo, s28, v9
	s_delay_alu instid0(VALU_DEP_2) | instskip(SKIP_1) | instid1(VALU_DEP_4)
	v_lshlrev_b64_e32 v[11:12], 2, v[11:12]
	s_wait_alu 0xfffd
	v_add_co_ci_u32_e64 v10, null, s29, v10, vcc_lo
	s_delay_alu instid0(VALU_DEP_2) | instskip(SKIP_1) | instid1(VALU_DEP_2)
	v_add_co_u32 v9, vcc_lo, v2, v11
	s_wait_alu 0xfffd
	v_add_co_ci_u32_e64 v10, null, v10, v12, vcc_lo
	v_add_co_u32 v2, vcc_lo, v7, 2
	global_load_b32 v16, v[9:10], off
	s_wait_alu 0xfffd
	v_add_co_ci_u32_e64 v9, null, 0, v8, vcc_lo
	v_mul_lo_u32 v11, s5, v2
	s_delay_alu instid0(VALU_DEP_2) | instskip(SKIP_1) | instid1(VALU_DEP_1)
	v_mul_lo_u32 v12, s4, v9
	v_mad_co_u64_u32 v[9:10], null, s4, v2, 0
	v_add3_u32 v10, v10, v12, v11
	s_delay_alu instid0(VALU_DEP_2) | instskip(SKIP_1) | instid1(VALU_DEP_2)
	v_add_co_u32 v17, vcc_lo, v3, v9
                                        ; implicit-def: $vgpr11_vgpr12
	s_wait_alu 0xfffd
	v_add_co_ci_u32_e64 v18, null, v4, v10, vcc_lo
	s_delay_alu instid0(VALU_DEP_1) | instskip(NEXT) | instid1(VALU_DEP_1)
	v_or_b32_e32 v2, s3, v18
	v_cmpx_ne_u64_e32 0, v[1:2]
	s_wait_alu 0xfffe
	s_xor_b32 s57, exec_lo, s0
	s_cbranch_execz .LBB55_17
; %bb.16:                               ;   in Loop: Header=BB55_3 Depth=1
	s_ashr_i32 s58, s3, 31
	v_ashrrev_i32_e32 v2, 31, v18
	s_wait_alu 0xfffe
	s_mov_b32 s59, s58
	s_wait_alu 0xfffe
	s_add_nc_u64 s[60:61], s[2:3], s[58:59]
	v_add_co_u32 v11, vcc_lo, v17, v2
	s_wait_alu 0xfffe
	s_xor_b64 s[60:61], s[60:61], s[58:59]
	s_wait_alu 0xfffd
	v_add_co_ci_u32_e64 v12, null, v18, v2, vcc_lo
	s_wait_alu 0xfffe
	s_cvt_f32_u32 s0, s60
	s_cvt_f32_u32 s59, s61
	s_sub_nc_u64 s[66:67], 0, s[60:61]
	v_xor_b32_e32 v21, v11, v2
	v_xor_b32_e32 v22, v12, v2
	s_wait_alu 0xfffe
	s_fmamk_f32 s0, s59, 0x4f800000, s0
	v_xor_b32_e32 v2, s58, v2
	s_wait_alu 0xfffe
	s_delay_alu instid0(SALU_CYCLE_1) | instskip(NEXT) | instid1(TRANS32_DEP_1)
	v_s_rcp_f32 s0, s0
	s_mul_f32 s0, s0, 0x5f7ffffc
	s_wait_alu 0xfffe
	s_delay_alu instid0(SALU_CYCLE_2) | instskip(SKIP_1) | instid1(SALU_CYCLE_2)
	s_mul_f32 s59, s0, 0x2f800000
	s_wait_alu 0xfffe
	s_trunc_f32 s59, s59
	s_wait_alu 0xfffe
	s_delay_alu instid0(SALU_CYCLE_2) | instskip(SKIP_2) | instid1(SALU_CYCLE_1)
	s_fmamk_f32 s0, s59, 0xcf800000, s0
	s_cvt_u32_f32 s65, s59
	s_wait_alu 0xfffe
	s_cvt_u32_f32 s64, s0
	s_delay_alu instid0(SALU_CYCLE_3) | instskip(NEXT) | instid1(SALU_CYCLE_1)
	s_mul_u64 s[68:69], s[66:67], s[64:65]
	s_mul_hi_u32 s71, s64, s69
	s_mul_i32 s70, s64, s69
	s_mul_hi_u32 s0, s64, s68
	s_mul_i32 s63, s65, s68
	s_wait_alu 0xfffe
	s_add_nc_u64 s[70:71], s[0:1], s[70:71]
	s_mul_hi_u32 s59, s65, s68
	s_mul_hi_u32 s72, s65, s69
	s_add_co_u32 s0, s70, s63
	s_wait_alu 0xfffe
	s_add_co_ci_u32 s0, s71, s59
	s_mul_i32 s68, s65, s69
	s_add_co_ci_u32 s69, s72, 0
	s_wait_alu 0xfffe
	s_add_nc_u64 s[68:69], s[0:1], s[68:69]
	s_delay_alu instid0(SALU_CYCLE_1) | instskip(SKIP_4) | instid1(SALU_CYCLE_1)
	s_add_co_u32 s64, s64, s68
	s_cselect_b32 s0, -1, 0
	s_wait_alu 0xfffe
	s_cmp_lg_u32 s0, 0
	s_add_co_ci_u32 s65, s65, s69
	s_mul_u64 s[66:67], s[66:67], s[64:65]
	s_delay_alu instid0(SALU_CYCLE_1)
	s_mul_hi_u32 s69, s64, s67
	s_mul_i32 s68, s64, s67
	s_mul_hi_u32 s0, s64, s66
	s_mul_i32 s63, s65, s66
	s_wait_alu 0xfffe
	s_add_nc_u64 s[68:69], s[0:1], s[68:69]
	s_mul_hi_u32 s59, s65, s66
	s_mul_hi_u32 s70, s65, s67
	s_add_co_u32 s0, s68, s63
	s_wait_alu 0xfffe
	s_add_co_ci_u32 s0, s69, s59
	s_mul_i32 s66, s65, s67
	s_add_co_ci_u32 s67, s70, 0
	s_wait_alu 0xfffe
	s_add_nc_u64 s[66:67], s[0:1], s[66:67]
	s_delay_alu instid0(SALU_CYCLE_1)
	s_add_co_u32 s0, s64, s66
	s_cselect_b32 s59, -1, 0
	s_wait_alu 0xfffe
	v_mul_hi_u32 v23, v21, s0
	s_cmp_lg_u32 s59, 0
	v_mad_co_u64_u32 v[17:18], null, v22, s0, 0
	s_add_co_ci_u32 s59, s65, s67
	s_wait_alu 0xfffe
	v_mad_co_u64_u32 v[11:12], null, v21, s59, 0
	v_mad_co_u64_u32 v[19:20], null, v22, s59, 0
	s_delay_alu instid0(VALU_DEP_2) | instskip(SKIP_1) | instid1(VALU_DEP_3)
	v_add_co_u32 v11, vcc_lo, v23, v11
	s_wait_alu 0xfffd
	v_add_co_ci_u32_e64 v12, null, 0, v12, vcc_lo
	s_delay_alu instid0(VALU_DEP_2) | instskip(SKIP_1) | instid1(VALU_DEP_2)
	v_add_co_u32 v11, vcc_lo, v11, v17
	s_wait_alu 0xfffd
	v_add_co_ci_u32_e32 v11, vcc_lo, v12, v18, vcc_lo
	s_wait_alu 0xfffd
	v_add_co_ci_u32_e32 v12, vcc_lo, 0, v20, vcc_lo
	s_delay_alu instid0(VALU_DEP_2) | instskip(SKIP_1) | instid1(VALU_DEP_2)
	v_add_co_u32 v17, vcc_lo, v11, v19
	s_wait_alu 0xfffd
	v_add_co_ci_u32_e64 v18, null, 0, v12, vcc_lo
	s_delay_alu instid0(VALU_DEP_2) | instskip(SKIP_1) | instid1(VALU_DEP_3)
	v_mul_lo_u32 v19, s61, v17
	v_mad_co_u64_u32 v[11:12], null, s60, v17, 0
	v_mul_lo_u32 v20, s60, v18
	s_delay_alu instid0(VALU_DEP_2) | instskip(NEXT) | instid1(VALU_DEP_2)
	v_sub_co_u32 v11, vcc_lo, v21, v11
	v_add3_u32 v12, v12, v20, v19
	v_add_co_u32 v20, s0, v17, 2
	s_wait_alu 0xf1ff
	v_add_co_ci_u32_e64 v21, null, 0, v18, s0
	s_delay_alu instid0(VALU_DEP_3) | instskip(SKIP_3) | instid1(VALU_DEP_3)
	v_sub_nc_u32_e32 v19, v22, v12
	v_sub_co_u32 v23, s0, v11, s60
	s_wait_alu 0xfffd
	v_sub_co_ci_u32_e64 v12, null, v22, v12, vcc_lo
	v_subrev_co_ci_u32_e64 v19, null, s61, v19, vcc_lo
	s_delay_alu instid0(VALU_DEP_3) | instskip(SKIP_1) | instid1(VALU_DEP_2)
	v_cmp_le_u32_e32 vcc_lo, s60, v23
	s_wait_alu 0xf1ff
	v_subrev_co_ci_u32_e64 v19, null, 0, v19, s0
	s_wait_alu 0xfffd
	v_cndmask_b32_e64 v22, 0, -1, vcc_lo
	s_delay_alu instid0(VALU_DEP_2)
	v_cmp_le_u32_e32 vcc_lo, s61, v19
	s_wait_alu 0xfffd
	v_cndmask_b32_e64 v23, 0, -1, vcc_lo
	v_cmp_le_u32_e32 vcc_lo, s60, v11
	s_wait_alu 0xfffd
	v_cndmask_b32_e64 v11, 0, -1, vcc_lo
	;; [unrolled: 3-line block ×3, first 2 shown]
	v_cmp_eq_u32_e32 vcc_lo, s61, v19
	s_wait_alu 0xfffd
	v_cndmask_b32_e32 v19, v23, v22, vcc_lo
	v_add_co_u32 v22, vcc_lo, v17, 1
	s_wait_alu 0xfffd
	v_add_co_ci_u32_e64 v23, null, 0, v18, vcc_lo
	v_cmp_eq_u32_e32 vcc_lo, s61, v12
	s_wait_alu 0xfffd
	v_cndmask_b32_e32 v11, v24, v11, vcc_lo
	v_cmp_ne_u32_e32 vcc_lo, 0, v19
	s_wait_alu 0xfffd
	v_cndmask_b32_e32 v12, v23, v21, vcc_lo
	s_delay_alu instid0(VALU_DEP_3) | instskip(SKIP_2) | instid1(VALU_DEP_2)
	v_cmp_ne_u32_e64 s0, 0, v11
	v_cndmask_b32_e32 v11, v22, v20, vcc_lo
	s_wait_alu 0xf1ff
	v_cndmask_b32_e64 v12, v18, v12, s0
	s_delay_alu instid0(VALU_DEP_2) | instskip(NEXT) | instid1(VALU_DEP_2)
	v_cndmask_b32_e64 v11, v17, v11, s0
                                        ; implicit-def: $vgpr17
	v_xor_b32_e32 v12, v12, v2
	s_delay_alu instid0(VALU_DEP_2) | instskip(NEXT) | instid1(VALU_DEP_1)
	v_xor_b32_e32 v11, v11, v2
	v_sub_co_u32 v11, vcc_lo, v11, v2
	s_wait_alu 0xfffd
	s_delay_alu instid0(VALU_DEP_3)
	v_sub_co_ci_u32_e64 v12, null, v12, v2, vcc_lo
.LBB55_17:                              ;   in Loop: Header=BB55_3 Depth=1
	s_wait_alu 0xfffe
	s_and_not1_saveexec_b32 s0, s57
	s_cbranch_execz .LBB55_19
; %bb.18:                               ;   in Loop: Header=BB55_3 Depth=1
	s_sub_co_i32 s57, 0, s2
	s_wait_alu 0xfffe
	v_mul_lo_u32 v2, s57, v13
	s_delay_alu instid0(VALU_DEP_1) | instskip(NEXT) | instid1(VALU_DEP_1)
	v_mul_hi_u32 v2, v13, v2
	v_add_nc_u32_e32 v2, v13, v2
	s_delay_alu instid0(VALU_DEP_1) | instskip(NEXT) | instid1(VALU_DEP_1)
	v_mul_hi_u32 v2, v17, v2
	v_mul_lo_u32 v11, v2, s2
	v_add_nc_u32_e32 v12, 1, v2
	s_delay_alu instid0(VALU_DEP_2) | instskip(NEXT) | instid1(VALU_DEP_1)
	v_sub_nc_u32_e32 v11, v17, v11
	v_subrev_nc_u32_e32 v17, s2, v11
	v_cmp_le_u32_e32 vcc_lo, s2, v11
	s_wait_alu 0xfffd
	s_delay_alu instid0(VALU_DEP_2) | instskip(NEXT) | instid1(VALU_DEP_1)
	v_dual_cndmask_b32 v11, v11, v17 :: v_dual_cndmask_b32 v2, v2, v12
	v_cmp_le_u32_e32 vcc_lo, s2, v11
	s_delay_alu instid0(VALU_DEP_2) | instskip(SKIP_1) | instid1(VALU_DEP_1)
	v_add_nc_u32_e32 v12, 1, v2
	s_wait_alu 0xfffd
	v_dual_cndmask_b32 v11, v2, v12 :: v_dual_mov_b32 v12, v1
.LBB55_19:                              ;   in Loop: Header=BB55_3 Depth=1
	s_wait_alu 0xfffe
	s_or_b32 exec_lo, exec_lo, s0
	s_delay_alu instid0(VALU_DEP_1) | instskip(NEXT) | instid1(VALU_DEP_2)
	v_mul_lo_u32 v2, v12, s2
	v_mul_lo_u32 v19, v11, s3
	v_mad_co_u64_u32 v[17:18], null, v11, s2, 0
	s_mov_b32 s0, exec_lo
	v_add3_u32 v2, v18, v19, v2
	v_sub_co_u32 v9, vcc_lo, v9, v17
	v_mul_lo_u32 v18, v12, s24
	v_mul_lo_u32 v17, v11, s25
	s_wait_alu 0xfffd
	v_sub_co_ci_u32_e64 v2, null, v10, v2, vcc_lo
	v_add_co_u32 v12, vcc_lo, v3, v9
	v_mad_co_u64_u32 v[9:10], null, v11, s24, 0
	s_wait_alu 0xfffd
	s_delay_alu instid0(VALU_DEP_3) | instskip(NEXT) | instid1(VALU_DEP_3)
	v_add_co_ci_u32_e64 v2, null, v4, v2, vcc_lo
	v_mul_lo_u32 v19, v12, s27
	v_mad_co_u64_u32 v[11:12], null, v12, s26, 0
	s_delay_alu instid0(VALU_DEP_3) | instskip(SKIP_1) | instid1(VALU_DEP_1)
	v_mul_lo_u32 v2, v2, s26
	v_add3_u32 v10, v10, v17, v18
	v_lshlrev_b64_e32 v[9:10], 2, v[9:10]
	s_delay_alu instid0(VALU_DEP_3) | instskip(NEXT) | instid1(VALU_DEP_2)
	v_add3_u32 v12, v12, v19, v2
	v_add_co_u32 v2, vcc_lo, s28, v9
	s_delay_alu instid0(VALU_DEP_2) | instskip(SKIP_1) | instid1(VALU_DEP_4)
	v_lshlrev_b64_e32 v[11:12], 2, v[11:12]
	s_wait_alu 0xfffd
	v_add_co_ci_u32_e64 v10, null, s29, v10, vcc_lo
	s_delay_alu instid0(VALU_DEP_2) | instskip(SKIP_1) | instid1(VALU_DEP_2)
	v_add_co_u32 v9, vcc_lo, v2, v11
	s_wait_alu 0xfffd
	v_add_co_ci_u32_e64 v10, null, v10, v12, vcc_lo
	v_add_co_u32 v2, vcc_lo, v7, 3
	global_load_b32 v19, v[9:10], off
	s_wait_alu 0xfffd
	v_add_co_ci_u32_e64 v9, null, 0, v8, vcc_lo
	v_mul_lo_u32 v11, s5, v2
	s_delay_alu instid0(VALU_DEP_2) | instskip(SKIP_1) | instid1(VALU_DEP_1)
	v_mul_lo_u32 v12, s4, v9
	v_mad_co_u64_u32 v[9:10], null, s4, v2, 0
	v_add3_u32 v10, v10, v12, v11
	s_delay_alu instid0(VALU_DEP_2) | instskip(SKIP_1) | instid1(VALU_DEP_2)
	v_add_co_u32 v17, vcc_lo, v3, v9
                                        ; implicit-def: $vgpr11_vgpr12
	s_wait_alu 0xfffd
	v_add_co_ci_u32_e64 v18, null, v4, v10, vcc_lo
	s_delay_alu instid0(VALU_DEP_1) | instskip(NEXT) | instid1(VALU_DEP_1)
	v_or_b32_e32 v2, s3, v18
	v_cmpx_ne_u64_e32 0, v[1:2]
	s_wait_alu 0xfffe
	s_xor_b32 s57, exec_lo, s0
	s_cbranch_execz .LBB55_21
; %bb.20:                               ;   in Loop: Header=BB55_3 Depth=1
	s_ashr_i32 s58, s3, 31
	v_ashrrev_i32_e32 v2, 31, v18
	s_wait_alu 0xfffe
	s_mov_b32 s59, s58
	s_wait_alu 0xfffe
	s_add_nc_u64 s[60:61], s[2:3], s[58:59]
	v_add_co_u32 v11, vcc_lo, v17, v2
	s_wait_alu 0xfffe
	s_xor_b64 s[60:61], s[60:61], s[58:59]
	s_wait_alu 0xfffd
	v_add_co_ci_u32_e64 v12, null, v18, v2, vcc_lo
	s_wait_alu 0xfffe
	s_cvt_f32_u32 s0, s60
	s_cvt_f32_u32 s59, s61
	s_sub_nc_u64 s[66:67], 0, s[60:61]
	v_xor_b32_e32 v22, v11, v2
	v_xor_b32_e32 v23, v12, v2
	s_wait_alu 0xfffe
	s_fmamk_f32 s0, s59, 0x4f800000, s0
	v_xor_b32_e32 v2, s58, v2
	s_wait_alu 0xfffe
	s_delay_alu instid0(SALU_CYCLE_1) | instskip(NEXT) | instid1(TRANS32_DEP_1)
	v_s_rcp_f32 s0, s0
	s_mul_f32 s0, s0, 0x5f7ffffc
	s_wait_alu 0xfffe
	s_delay_alu instid0(SALU_CYCLE_2) | instskip(SKIP_1) | instid1(SALU_CYCLE_2)
	s_mul_f32 s59, s0, 0x2f800000
	s_wait_alu 0xfffe
	s_trunc_f32 s59, s59
	s_wait_alu 0xfffe
	s_delay_alu instid0(SALU_CYCLE_2) | instskip(SKIP_2) | instid1(SALU_CYCLE_1)
	s_fmamk_f32 s0, s59, 0xcf800000, s0
	s_cvt_u32_f32 s65, s59
	s_wait_alu 0xfffe
	s_cvt_u32_f32 s64, s0
	s_delay_alu instid0(SALU_CYCLE_3) | instskip(NEXT) | instid1(SALU_CYCLE_1)
	s_mul_u64 s[68:69], s[66:67], s[64:65]
	s_mul_hi_u32 s71, s64, s69
	s_mul_i32 s70, s64, s69
	s_mul_hi_u32 s0, s64, s68
	s_mul_i32 s63, s65, s68
	s_wait_alu 0xfffe
	s_add_nc_u64 s[70:71], s[0:1], s[70:71]
	s_mul_hi_u32 s59, s65, s68
	s_mul_hi_u32 s72, s65, s69
	s_add_co_u32 s0, s70, s63
	s_wait_alu 0xfffe
	s_add_co_ci_u32 s0, s71, s59
	s_mul_i32 s68, s65, s69
	s_add_co_ci_u32 s69, s72, 0
	s_wait_alu 0xfffe
	s_add_nc_u64 s[68:69], s[0:1], s[68:69]
	s_delay_alu instid0(SALU_CYCLE_1) | instskip(SKIP_4) | instid1(SALU_CYCLE_1)
	s_add_co_u32 s64, s64, s68
	s_cselect_b32 s0, -1, 0
	s_wait_alu 0xfffe
	s_cmp_lg_u32 s0, 0
	s_add_co_ci_u32 s65, s65, s69
	s_mul_u64 s[66:67], s[66:67], s[64:65]
	s_delay_alu instid0(SALU_CYCLE_1)
	s_mul_hi_u32 s69, s64, s67
	s_mul_i32 s68, s64, s67
	s_mul_hi_u32 s0, s64, s66
	s_mul_i32 s63, s65, s66
	s_wait_alu 0xfffe
	s_add_nc_u64 s[68:69], s[0:1], s[68:69]
	s_mul_hi_u32 s59, s65, s66
	s_mul_hi_u32 s70, s65, s67
	s_add_co_u32 s0, s68, s63
	s_wait_alu 0xfffe
	s_add_co_ci_u32 s0, s69, s59
	s_mul_i32 s66, s65, s67
	s_add_co_ci_u32 s67, s70, 0
	s_wait_alu 0xfffe
	s_add_nc_u64 s[66:67], s[0:1], s[66:67]
	s_delay_alu instid0(SALU_CYCLE_1)
	s_add_co_u32 s0, s64, s66
	s_cselect_b32 s59, -1, 0
	s_wait_alu 0xfffe
	v_mul_hi_u32 v24, v22, s0
	s_cmp_lg_u32 s59, 0
	v_mad_co_u64_u32 v[17:18], null, v23, s0, 0
	s_add_co_ci_u32 s59, s65, s67
	s_wait_alu 0xfffe
	v_mad_co_u64_u32 v[11:12], null, v22, s59, 0
	v_mad_co_u64_u32 v[20:21], null, v23, s59, 0
	s_delay_alu instid0(VALU_DEP_2) | instskip(SKIP_1) | instid1(VALU_DEP_3)
	v_add_co_u32 v11, vcc_lo, v24, v11
	s_wait_alu 0xfffd
	v_add_co_ci_u32_e64 v12, null, 0, v12, vcc_lo
	s_delay_alu instid0(VALU_DEP_2) | instskip(SKIP_1) | instid1(VALU_DEP_2)
	v_add_co_u32 v11, vcc_lo, v11, v17
	s_wait_alu 0xfffd
	v_add_co_ci_u32_e32 v11, vcc_lo, v12, v18, vcc_lo
	s_wait_alu 0xfffd
	v_add_co_ci_u32_e32 v12, vcc_lo, 0, v21, vcc_lo
	s_delay_alu instid0(VALU_DEP_2) | instskip(SKIP_1) | instid1(VALU_DEP_2)
	v_add_co_u32 v17, vcc_lo, v11, v20
	s_wait_alu 0xfffd
	v_add_co_ci_u32_e64 v18, null, 0, v12, vcc_lo
	s_delay_alu instid0(VALU_DEP_2) | instskip(SKIP_1) | instid1(VALU_DEP_3)
	v_mul_lo_u32 v20, s61, v17
	v_mad_co_u64_u32 v[11:12], null, s60, v17, 0
	v_mul_lo_u32 v21, s60, v18
	s_delay_alu instid0(VALU_DEP_2) | instskip(NEXT) | instid1(VALU_DEP_2)
	v_sub_co_u32 v11, vcc_lo, v22, v11
	v_add3_u32 v12, v12, v21, v20
	v_add_co_u32 v21, s0, v17, 2
	s_wait_alu 0xf1ff
	v_add_co_ci_u32_e64 v22, null, 0, v18, s0
	s_delay_alu instid0(VALU_DEP_3) | instskip(SKIP_3) | instid1(VALU_DEP_3)
	v_sub_nc_u32_e32 v20, v23, v12
	v_sub_co_u32 v24, s0, v11, s60
	s_wait_alu 0xfffd
	v_sub_co_ci_u32_e64 v12, null, v23, v12, vcc_lo
	v_subrev_co_ci_u32_e64 v20, null, s61, v20, vcc_lo
	s_delay_alu instid0(VALU_DEP_3) | instskip(SKIP_1) | instid1(VALU_DEP_2)
	v_cmp_le_u32_e32 vcc_lo, s60, v24
	s_wait_alu 0xf1ff
	v_subrev_co_ci_u32_e64 v20, null, 0, v20, s0
	s_wait_alu 0xfffd
	v_cndmask_b32_e64 v23, 0, -1, vcc_lo
	s_delay_alu instid0(VALU_DEP_2)
	v_cmp_le_u32_e32 vcc_lo, s61, v20
	s_wait_alu 0xfffd
	v_cndmask_b32_e64 v24, 0, -1, vcc_lo
	v_cmp_le_u32_e32 vcc_lo, s60, v11
	s_wait_alu 0xfffd
	v_cndmask_b32_e64 v11, 0, -1, vcc_lo
	;; [unrolled: 3-line block ×3, first 2 shown]
	v_cmp_eq_u32_e32 vcc_lo, s61, v20
	s_wait_alu 0xfffd
	v_cndmask_b32_e32 v20, v24, v23, vcc_lo
	v_add_co_u32 v23, vcc_lo, v17, 1
	s_wait_alu 0xfffd
	v_add_co_ci_u32_e64 v24, null, 0, v18, vcc_lo
	v_cmp_eq_u32_e32 vcc_lo, s61, v12
	s_wait_alu 0xfffd
	v_cndmask_b32_e32 v11, v25, v11, vcc_lo
	v_cmp_ne_u32_e32 vcc_lo, 0, v20
	s_wait_alu 0xfffd
	v_cndmask_b32_e32 v12, v24, v22, vcc_lo
	s_delay_alu instid0(VALU_DEP_3) | instskip(SKIP_2) | instid1(VALU_DEP_2)
	v_cmp_ne_u32_e64 s0, 0, v11
	v_cndmask_b32_e32 v11, v23, v21, vcc_lo
	s_wait_alu 0xf1ff
	v_cndmask_b32_e64 v12, v18, v12, s0
	s_delay_alu instid0(VALU_DEP_2) | instskip(NEXT) | instid1(VALU_DEP_2)
	v_cndmask_b32_e64 v11, v17, v11, s0
                                        ; implicit-def: $vgpr17
	v_xor_b32_e32 v12, v12, v2
	s_delay_alu instid0(VALU_DEP_2) | instskip(NEXT) | instid1(VALU_DEP_1)
	v_xor_b32_e32 v11, v11, v2
	v_sub_co_u32 v11, vcc_lo, v11, v2
	s_wait_alu 0xfffd
	s_delay_alu instid0(VALU_DEP_3)
	v_sub_co_ci_u32_e64 v12, null, v12, v2, vcc_lo
.LBB55_21:                              ;   in Loop: Header=BB55_3 Depth=1
	s_wait_alu 0xfffe
	s_and_not1_saveexec_b32 s0, s57
	s_cbranch_execz .LBB55_23
; %bb.22:                               ;   in Loop: Header=BB55_3 Depth=1
	s_sub_co_i32 s57, 0, s2
	s_wait_alu 0xfffe
	v_mul_lo_u32 v2, s57, v13
	s_delay_alu instid0(VALU_DEP_1) | instskip(NEXT) | instid1(VALU_DEP_1)
	v_mul_hi_u32 v2, v13, v2
	v_add_nc_u32_e32 v2, v13, v2
	s_delay_alu instid0(VALU_DEP_1) | instskip(NEXT) | instid1(VALU_DEP_1)
	v_mul_hi_u32 v2, v17, v2
	v_mul_lo_u32 v11, v2, s2
	v_add_nc_u32_e32 v12, 1, v2
	s_delay_alu instid0(VALU_DEP_2) | instskip(NEXT) | instid1(VALU_DEP_1)
	v_sub_nc_u32_e32 v11, v17, v11
	v_subrev_nc_u32_e32 v17, s2, v11
	v_cmp_le_u32_e32 vcc_lo, s2, v11
	s_wait_alu 0xfffd
	s_delay_alu instid0(VALU_DEP_2) | instskip(NEXT) | instid1(VALU_DEP_1)
	v_dual_cndmask_b32 v11, v11, v17 :: v_dual_cndmask_b32 v2, v2, v12
	v_cmp_le_u32_e32 vcc_lo, s2, v11
	s_delay_alu instid0(VALU_DEP_2) | instskip(SKIP_1) | instid1(VALU_DEP_1)
	v_add_nc_u32_e32 v12, 1, v2
	s_wait_alu 0xfffd
	v_dual_cndmask_b32 v11, v2, v12 :: v_dual_mov_b32 v12, v1
.LBB55_23:                              ;   in Loop: Header=BB55_3 Depth=1
	s_wait_alu 0xfffe
	s_or_b32 exec_lo, exec_lo, s0
	s_delay_alu instid0(VALU_DEP_1) | instskip(NEXT) | instid1(VALU_DEP_2)
	v_mul_lo_u32 v2, v12, s2
	v_mul_lo_u32 v20, v11, s3
	v_mad_co_u64_u32 v[17:18], null, v11, s2, 0
	s_mov_b32 s0, exec_lo
	v_add3_u32 v2, v18, v20, v2
	v_sub_co_u32 v9, vcc_lo, v9, v17
	v_mul_lo_u32 v18, v12, s24
	v_mul_lo_u32 v17, v11, s25
	s_wait_alu 0xfffd
	v_sub_co_ci_u32_e64 v2, null, v10, v2, vcc_lo
	v_add_co_u32 v12, vcc_lo, v3, v9
	v_mad_co_u64_u32 v[9:10], null, v11, s24, 0
	s_wait_alu 0xfffd
	s_delay_alu instid0(VALU_DEP_3) | instskip(NEXT) | instid1(VALU_DEP_3)
	v_add_co_ci_u32_e64 v2, null, v4, v2, vcc_lo
	v_mul_lo_u32 v20, v12, s27
	v_mad_co_u64_u32 v[11:12], null, v12, s26, 0
	s_delay_alu instid0(VALU_DEP_3) | instskip(SKIP_1) | instid1(VALU_DEP_1)
	v_mul_lo_u32 v2, v2, s26
	v_add3_u32 v10, v10, v17, v18
	v_lshlrev_b64_e32 v[9:10], 2, v[9:10]
	s_delay_alu instid0(VALU_DEP_3) | instskip(NEXT) | instid1(VALU_DEP_2)
	v_add3_u32 v12, v12, v20, v2
	v_add_co_u32 v2, vcc_lo, s28, v9
	s_delay_alu instid0(VALU_DEP_2) | instskip(SKIP_1) | instid1(VALU_DEP_4)
	v_lshlrev_b64_e32 v[11:12], 2, v[11:12]
	s_wait_alu 0xfffd
	v_add_co_ci_u32_e64 v10, null, s29, v10, vcc_lo
	s_delay_alu instid0(VALU_DEP_2) | instskip(SKIP_1) | instid1(VALU_DEP_2)
	v_add_co_u32 v9, vcc_lo, v2, v11
	s_wait_alu 0xfffd
	v_add_co_ci_u32_e64 v10, null, v10, v12, vcc_lo
	v_add_co_u32 v2, vcc_lo, v7, 4
	s_wait_alu 0xfffd
	v_add_co_ci_u32_e64 v7, null, 0, v8, vcc_lo
	global_load_b32 v20, v[9:10], off
	v_mul_lo_u32 v9, s5, v2
	v_mul_lo_u32 v10, s4, v7
	v_mad_co_u64_u32 v[7:8], null, s4, v2, 0
	s_delay_alu instid0(VALU_DEP_1) | instskip(NEXT) | instid1(VALU_DEP_2)
	v_add3_u32 v8, v8, v10, v9
	v_add_co_u32 v11, vcc_lo, v3, v7
                                        ; implicit-def: $vgpr9_vgpr10
	s_wait_alu 0xfffd
	s_delay_alu instid0(VALU_DEP_2) | instskip(NEXT) | instid1(VALU_DEP_1)
	v_add_co_ci_u32_e64 v12, null, v4, v8, vcc_lo
	v_or_b32_e32 v2, s3, v12
	s_delay_alu instid0(VALU_DEP_1)
	v_cmpx_ne_u64_e32 0, v[1:2]
	s_wait_alu 0xfffe
	s_xor_b32 s57, exec_lo, s0
	s_cbranch_execz .LBB55_25
; %bb.24:                               ;   in Loop: Header=BB55_3 Depth=1
	s_ashr_i32 s58, s3, 31
	v_ashrrev_i32_e32 v2, 31, v12
	s_wait_alu 0xfffe
	s_mov_b32 s59, s58
	s_wait_alu 0xfffe
	s_add_nc_u64 s[60:61], s[2:3], s[58:59]
	v_add_co_u32 v9, vcc_lo, v11, v2
	s_wait_alu 0xfffe
	s_xor_b64 s[60:61], s[60:61], s[58:59]
	s_wait_alu 0xfffd
	v_add_co_ci_u32_e64 v10, null, v12, v2, vcc_lo
	s_wait_alu 0xfffe
	s_cvt_f32_u32 s0, s60
	s_cvt_f32_u32 s59, s61
	s_sub_nc_u64 s[66:67], 0, s[60:61]
	v_xor_b32_e32 v21, v9, v2
	v_xor_b32_e32 v22, v10, v2
	s_wait_alu 0xfffe
	s_fmamk_f32 s0, s59, 0x4f800000, s0
	v_xor_b32_e32 v2, s58, v2
	s_wait_alu 0xfffe
	s_delay_alu instid0(SALU_CYCLE_1) | instskip(NEXT) | instid1(TRANS32_DEP_1)
	v_s_rcp_f32 s0, s0
	s_mul_f32 s0, s0, 0x5f7ffffc
	s_wait_alu 0xfffe
	s_delay_alu instid0(SALU_CYCLE_2) | instskip(SKIP_1) | instid1(SALU_CYCLE_2)
	s_mul_f32 s59, s0, 0x2f800000
	s_wait_alu 0xfffe
	s_trunc_f32 s59, s59
	s_wait_alu 0xfffe
	s_delay_alu instid0(SALU_CYCLE_2) | instskip(SKIP_2) | instid1(SALU_CYCLE_1)
	s_fmamk_f32 s0, s59, 0xcf800000, s0
	s_cvt_u32_f32 s65, s59
	s_wait_alu 0xfffe
	s_cvt_u32_f32 s64, s0
	s_delay_alu instid0(SALU_CYCLE_3) | instskip(NEXT) | instid1(SALU_CYCLE_1)
	s_mul_u64 s[68:69], s[66:67], s[64:65]
	s_mul_hi_u32 s71, s64, s69
	s_mul_i32 s70, s64, s69
	s_mul_hi_u32 s0, s64, s68
	s_mul_i32 s63, s65, s68
	s_wait_alu 0xfffe
	s_add_nc_u64 s[70:71], s[0:1], s[70:71]
	s_mul_hi_u32 s59, s65, s68
	s_mul_hi_u32 s72, s65, s69
	s_add_co_u32 s0, s70, s63
	s_wait_alu 0xfffe
	s_add_co_ci_u32 s0, s71, s59
	s_mul_i32 s68, s65, s69
	s_add_co_ci_u32 s69, s72, 0
	s_wait_alu 0xfffe
	s_add_nc_u64 s[68:69], s[0:1], s[68:69]
	s_delay_alu instid0(SALU_CYCLE_1) | instskip(SKIP_4) | instid1(SALU_CYCLE_1)
	s_add_co_u32 s64, s64, s68
	s_cselect_b32 s0, -1, 0
	s_wait_alu 0xfffe
	s_cmp_lg_u32 s0, 0
	s_add_co_ci_u32 s65, s65, s69
	s_mul_u64 s[66:67], s[66:67], s[64:65]
	s_delay_alu instid0(SALU_CYCLE_1)
	s_mul_hi_u32 s69, s64, s67
	s_mul_i32 s68, s64, s67
	s_mul_hi_u32 s0, s64, s66
	s_mul_i32 s63, s65, s66
	s_wait_alu 0xfffe
	s_add_nc_u64 s[68:69], s[0:1], s[68:69]
	s_mul_hi_u32 s59, s65, s66
	s_mul_hi_u32 s70, s65, s67
	s_add_co_u32 s0, s68, s63
	s_wait_alu 0xfffe
	s_add_co_ci_u32 s0, s69, s59
	s_mul_i32 s66, s65, s67
	s_add_co_ci_u32 s67, s70, 0
	s_wait_alu 0xfffe
	s_add_nc_u64 s[66:67], s[0:1], s[66:67]
	s_delay_alu instid0(SALU_CYCLE_1)
	s_add_co_u32 s0, s64, s66
	s_cselect_b32 s59, -1, 0
	s_wait_alu 0xfffe
	v_mul_hi_u32 v23, v21, s0
	s_cmp_lg_u32 s59, 0
	v_mad_co_u64_u32 v[11:12], null, v22, s0, 0
	s_add_co_ci_u32 s59, s65, s67
	s_wait_alu 0xfffe
	v_mad_co_u64_u32 v[9:10], null, v21, s59, 0
	v_mad_co_u64_u32 v[17:18], null, v22, s59, 0
	s_delay_alu instid0(VALU_DEP_2) | instskip(SKIP_1) | instid1(VALU_DEP_3)
	v_add_co_u32 v9, vcc_lo, v23, v9
	s_wait_alu 0xfffd
	v_add_co_ci_u32_e64 v10, null, 0, v10, vcc_lo
	s_delay_alu instid0(VALU_DEP_2) | instskip(SKIP_1) | instid1(VALU_DEP_2)
	v_add_co_u32 v9, vcc_lo, v9, v11
	s_wait_alu 0xfffd
	v_add_co_ci_u32_e32 v9, vcc_lo, v10, v12, vcc_lo
	s_wait_alu 0xfffd
	v_add_co_ci_u32_e32 v10, vcc_lo, 0, v18, vcc_lo
	s_delay_alu instid0(VALU_DEP_2) | instskip(SKIP_1) | instid1(VALU_DEP_2)
	v_add_co_u32 v11, vcc_lo, v9, v17
	s_wait_alu 0xfffd
	v_add_co_ci_u32_e64 v12, null, 0, v10, vcc_lo
	s_delay_alu instid0(VALU_DEP_2) | instskip(SKIP_1) | instid1(VALU_DEP_3)
	v_mul_lo_u32 v17, s61, v11
	v_mad_co_u64_u32 v[9:10], null, s60, v11, 0
	v_mul_lo_u32 v18, s60, v12
	s_delay_alu instid0(VALU_DEP_2) | instskip(NEXT) | instid1(VALU_DEP_2)
	v_sub_co_u32 v9, vcc_lo, v21, v9
	v_add3_u32 v10, v10, v18, v17
	v_add_co_u32 v18, s0, v11, 2
	s_wait_alu 0xf1ff
	v_add_co_ci_u32_e64 v21, null, 0, v12, s0
	s_delay_alu instid0(VALU_DEP_3) | instskip(SKIP_3) | instid1(VALU_DEP_3)
	v_sub_nc_u32_e32 v17, v22, v10
	v_sub_co_u32 v23, s0, v9, s60
	s_wait_alu 0xfffd
	v_sub_co_ci_u32_e64 v10, null, v22, v10, vcc_lo
	v_subrev_co_ci_u32_e64 v17, null, s61, v17, vcc_lo
	s_delay_alu instid0(VALU_DEP_3) | instskip(SKIP_1) | instid1(VALU_DEP_2)
	v_cmp_le_u32_e32 vcc_lo, s60, v23
	s_wait_alu 0xf1ff
	v_subrev_co_ci_u32_e64 v17, null, 0, v17, s0
	s_wait_alu 0xfffd
	v_cndmask_b32_e64 v22, 0, -1, vcc_lo
	s_delay_alu instid0(VALU_DEP_2)
	v_cmp_le_u32_e32 vcc_lo, s61, v17
	s_wait_alu 0xfffd
	v_cndmask_b32_e64 v23, 0, -1, vcc_lo
	v_cmp_le_u32_e32 vcc_lo, s60, v9
	s_wait_alu 0xfffd
	v_cndmask_b32_e64 v9, 0, -1, vcc_lo
	;; [unrolled: 3-line block ×3, first 2 shown]
	v_cmp_eq_u32_e32 vcc_lo, s61, v17
	s_wait_alu 0xfffd
	v_cndmask_b32_e32 v17, v23, v22, vcc_lo
	v_add_co_u32 v22, vcc_lo, v11, 1
	s_wait_alu 0xfffd
	v_add_co_ci_u32_e64 v23, null, 0, v12, vcc_lo
	v_cmp_eq_u32_e32 vcc_lo, s61, v10
	s_wait_alu 0xfffd
	v_cndmask_b32_e32 v9, v24, v9, vcc_lo
	v_cmp_ne_u32_e32 vcc_lo, 0, v17
	s_delay_alu instid0(VALU_DEP_2) | instskip(SKIP_3) | instid1(VALU_DEP_1)
	v_cmp_ne_u32_e64 s0, 0, v9
	s_wait_alu 0xfffd
	v_dual_cndmask_b32 v10, v23, v21 :: v_dual_cndmask_b32 v9, v22, v18
	s_wait_alu 0xf1ff
	v_cndmask_b32_e64 v10, v12, v10, s0
	s_delay_alu instid0(VALU_DEP_2) | instskip(NEXT) | instid1(VALU_DEP_2)
	v_cndmask_b32_e64 v9, v11, v9, s0
                                        ; implicit-def: $vgpr11
	v_xor_b32_e32 v10, v10, v2
	s_delay_alu instid0(VALU_DEP_2) | instskip(NEXT) | instid1(VALU_DEP_1)
	v_xor_b32_e32 v9, v9, v2
	v_sub_co_u32 v9, vcc_lo, v9, v2
	s_wait_alu 0xfffd
	s_delay_alu instid0(VALU_DEP_3)
	v_sub_co_ci_u32_e64 v10, null, v10, v2, vcc_lo
.LBB55_25:                              ;   in Loop: Header=BB55_3 Depth=1
	s_wait_alu 0xfffe
	s_and_not1_saveexec_b32 s0, s57
	s_cbranch_execz .LBB55_27
; %bb.26:                               ;   in Loop: Header=BB55_3 Depth=1
	s_sub_co_i32 s57, 0, s2
	s_wait_alu 0xfffe
	v_mul_lo_u32 v2, s57, v13
	s_delay_alu instid0(VALU_DEP_1) | instskip(NEXT) | instid1(VALU_DEP_1)
	v_mul_hi_u32 v2, v13, v2
	v_add_nc_u32_e32 v2, v13, v2
	s_delay_alu instid0(VALU_DEP_1) | instskip(NEXT) | instid1(VALU_DEP_1)
	v_mul_hi_u32 v2, v11, v2
	v_mul_lo_u32 v9, v2, s2
	s_delay_alu instid0(VALU_DEP_1) | instskip(NEXT) | instid1(VALU_DEP_1)
	v_sub_nc_u32_e32 v9, v11, v9
	v_subrev_nc_u32_e32 v11, s2, v9
	v_cmp_le_u32_e32 vcc_lo, s2, v9
	s_wait_alu 0xfffd
	s_delay_alu instid0(VALU_DEP_2) | instskip(NEXT) | instid1(VALU_DEP_1)
	v_dual_cndmask_b32 v9, v9, v11 :: v_dual_add_nc_u32 v10, 1, v2
	v_cndmask_b32_e32 v2, v2, v10, vcc_lo
	s_delay_alu instid0(VALU_DEP_2) | instskip(NEXT) | instid1(VALU_DEP_2)
	v_cmp_le_u32_e32 vcc_lo, s2, v9
	v_add_nc_u32_e32 v10, 1, v2
	s_wait_alu 0xfffd
	s_delay_alu instid0(VALU_DEP_1)
	v_dual_cndmask_b32 v9, v2, v10 :: v_dual_mov_b32 v10, v1
.LBB55_27:                              ;   in Loop: Header=BB55_3 Depth=1
	s_wait_alu 0xfffe
	s_or_b32 exec_lo, exec_lo, s0
	s_delay_alu instid0(VALU_DEP_1) | instskip(NEXT) | instid1(VALU_DEP_2)
	v_mul_lo_u32 v2, v10, s2
	v_mul_lo_u32 v17, v9, s3
	v_mad_co_u64_u32 v[11:12], null, v9, s2, 0
	s_mov_b32 s0, exec_lo
	v_add3_u32 v2, v12, v17, v2
	v_sub_co_u32 v7, vcc_lo, v7, v11
	v_mul_lo_u32 v12, v10, s24
	v_mul_lo_u32 v11, v9, s25
	s_wait_alu 0xfffd
	v_sub_co_ci_u32_e64 v2, null, v8, v2, vcc_lo
	v_add_co_u32 v10, vcc_lo, v3, v7
	v_mad_co_u64_u32 v[7:8], null, v9, s24, 0
	s_wait_alu 0xfffd
	s_delay_alu instid0(VALU_DEP_3) | instskip(NEXT) | instid1(VALU_DEP_3)
	v_add_co_ci_u32_e64 v2, null, v4, v2, vcc_lo
	v_mul_lo_u32 v17, v10, s27
	v_mad_co_u64_u32 v[9:10], null, v10, s26, 0
	s_delay_alu instid0(VALU_DEP_3) | instskip(SKIP_1) | instid1(VALU_DEP_1)
	v_mul_lo_u32 v2, v2, s26
	v_add3_u32 v8, v8, v11, v12
	v_lshlrev_b64_e32 v[7:8], 2, v[7:8]
	s_delay_alu instid0(VALU_DEP_3) | instskip(NEXT) | instid1(VALU_DEP_2)
	v_add3_u32 v10, v10, v17, v2
	v_add_co_u32 v2, vcc_lo, s28, v7
	s_delay_alu instid0(VALU_DEP_2) | instskip(SKIP_1) | instid1(VALU_DEP_4)
	v_lshlrev_b64_e32 v[9:10], 2, v[9:10]
	s_wait_alu 0xfffd
	v_add_co_ci_u32_e64 v8, null, s29, v8, vcc_lo
	s_delay_alu instid0(VALU_DEP_2) | instskip(SKIP_1) | instid1(VALU_DEP_2)
	v_add_co_u32 v7, vcc_lo, v2, v9
	s_wait_alu 0xfffd
	v_add_co_ci_u32_e64 v8, null, v8, v10, vcc_lo
	v_or_b32_e32 v2, s43, v4
	global_load_b32 v22, v[7:8], off
                                        ; implicit-def: $vgpr7_vgpr8
	v_cmpx_ne_u64_e32 0, v[1:2]
	s_wait_alu 0xfffe
	s_xor_b32 s57, exec_lo, s0
	s_cbranch_execz .LBB55_29
; %bb.28:                               ;   in Loop: Header=BB55_3 Depth=1
	s_ashr_i32 s58, s43, 31
	v_add_co_u32 v2, vcc_lo, v3, v14
	s_wait_alu 0xfffe
	s_mov_b32 s59, s58
	s_wait_alu 0xfffd
	v_add_co_ci_u32_e64 v7, null, v4, v14, vcc_lo
	s_wait_alu 0xfffe
	s_add_nc_u64 s[60:61], s[42:43], s[58:59]
	v_xor_b32_e32 v2, v2, v14
	s_wait_alu 0xfffe
	s_xor_b64 s[60:61], s[60:61], s[58:59]
	v_xor_b32_e32 v17, v7, v14
	s_wait_alu 0xfffe
	s_cvt_f32_u32 s0, s60
	s_cvt_f32_u32 s59, s61
	s_sub_nc_u64 s[66:67], 0, s[60:61]
	s_wait_alu 0xfffe
	s_delay_alu instid0(SALU_CYCLE_1) | instskip(SKIP_1) | instid1(SALU_CYCLE_2)
	s_fmamk_f32 s0, s59, 0x4f800000, s0
	s_wait_alu 0xfffe
	v_s_rcp_f32 s0, s0
	s_delay_alu instid0(TRANS32_DEP_1) | instskip(SKIP_1) | instid1(SALU_CYCLE_2)
	s_mul_f32 s0, s0, 0x5f7ffffc
	s_wait_alu 0xfffe
	s_mul_f32 s59, s0, 0x2f800000
	s_wait_alu 0xfffe
	s_delay_alu instid0(SALU_CYCLE_2) | instskip(SKIP_1) | instid1(SALU_CYCLE_2)
	s_trunc_f32 s59, s59
	s_wait_alu 0xfffe
	s_fmamk_f32 s0, s59, 0xcf800000, s0
	s_cvt_u32_f32 s65, s59
	s_wait_alu 0xfffe
	s_delay_alu instid0(SALU_CYCLE_1) | instskip(NEXT) | instid1(SALU_CYCLE_3)
	s_cvt_u32_f32 s64, s0
	s_mul_u64 s[68:69], s[66:67], s[64:65]
	s_delay_alu instid0(SALU_CYCLE_1)
	s_mul_hi_u32 s71, s64, s69
	s_mul_i32 s70, s64, s69
	s_mul_hi_u32 s0, s64, s68
	s_mul_i32 s63, s65, s68
	s_wait_alu 0xfffe
	s_add_nc_u64 s[70:71], s[0:1], s[70:71]
	s_mul_hi_u32 s59, s65, s68
	s_mul_hi_u32 s72, s65, s69
	s_add_co_u32 s0, s70, s63
	s_wait_alu 0xfffe
	s_add_co_ci_u32 s0, s71, s59
	s_mul_i32 s68, s65, s69
	s_add_co_ci_u32 s69, s72, 0
	s_wait_alu 0xfffe
	s_add_nc_u64 s[68:69], s[0:1], s[68:69]
	s_delay_alu instid0(SALU_CYCLE_1) | instskip(SKIP_4) | instid1(SALU_CYCLE_1)
	s_add_co_u32 s64, s64, s68
	s_cselect_b32 s0, -1, 0
	s_wait_alu 0xfffe
	s_cmp_lg_u32 s0, 0
	s_add_co_ci_u32 s65, s65, s69
	s_mul_u64 s[66:67], s[66:67], s[64:65]
	s_delay_alu instid0(SALU_CYCLE_1)
	s_mul_hi_u32 s69, s64, s67
	s_mul_i32 s68, s64, s67
	s_mul_hi_u32 s0, s64, s66
	s_mul_i32 s63, s65, s66
	s_wait_alu 0xfffe
	s_add_nc_u64 s[68:69], s[0:1], s[68:69]
	s_mul_hi_u32 s59, s65, s66
	s_mul_hi_u32 s70, s65, s67
	s_add_co_u32 s0, s68, s63
	s_wait_alu 0xfffe
	s_add_co_ci_u32 s0, s69, s59
	s_mul_i32 s66, s65, s67
	s_add_co_ci_u32 s67, s70, 0
	s_wait_alu 0xfffe
	s_add_nc_u64 s[66:67], s[0:1], s[66:67]
	s_delay_alu instid0(SALU_CYCLE_1)
	s_add_co_u32 s0, s64, s66
	s_cselect_b32 s59, -1, 0
	s_wait_alu 0xfffe
	v_mul_hi_u32 v18, v2, s0
	s_cmp_lg_u32 s59, 0
	v_mad_co_u64_u32 v[9:10], null, v17, s0, 0
	s_add_co_ci_u32 s59, s65, s67
	s_wait_alu 0xfffe
	v_mad_co_u64_u32 v[7:8], null, v2, s59, 0
	v_mad_co_u64_u32 v[11:12], null, v17, s59, 0
	s_delay_alu instid0(VALU_DEP_2) | instskip(SKIP_1) | instid1(VALU_DEP_3)
	v_add_co_u32 v7, vcc_lo, v18, v7
	s_wait_alu 0xfffd
	v_add_co_ci_u32_e64 v8, null, 0, v8, vcc_lo
	s_delay_alu instid0(VALU_DEP_2) | instskip(SKIP_1) | instid1(VALU_DEP_2)
	v_add_co_u32 v7, vcc_lo, v7, v9
	s_wait_alu 0xfffd
	v_add_co_ci_u32_e32 v7, vcc_lo, v8, v10, vcc_lo
	s_wait_alu 0xfffd
	v_add_co_ci_u32_e32 v8, vcc_lo, 0, v12, vcc_lo
	s_delay_alu instid0(VALU_DEP_2) | instskip(SKIP_1) | instid1(VALU_DEP_2)
	v_add_co_u32 v9, vcc_lo, v7, v11
	s_wait_alu 0xfffd
	v_add_co_ci_u32_e64 v10, null, 0, v8, vcc_lo
	s_delay_alu instid0(VALU_DEP_2) | instskip(SKIP_1) | instid1(VALU_DEP_3)
	v_mul_lo_u32 v11, s61, v9
	v_mad_co_u64_u32 v[7:8], null, s60, v9, 0
	v_mul_lo_u32 v12, s60, v10
	s_delay_alu instid0(VALU_DEP_2) | instskip(NEXT) | instid1(VALU_DEP_2)
	v_sub_co_u32 v2, vcc_lo, v2, v7
	v_add3_u32 v8, v8, v12, v11
	s_delay_alu instid0(VALU_DEP_1) | instskip(SKIP_2) | instid1(VALU_DEP_2)
	v_sub_nc_u32_e32 v11, v17, v8
	s_wait_alu 0xfffd
	v_sub_co_ci_u32_e64 v8, null, v17, v8, vcc_lo
	v_subrev_co_ci_u32_e64 v7, null, s61, v11, vcc_lo
	v_add_co_u32 v11, s0, v9, 2
	s_wait_alu 0xf1ff
	v_add_co_ci_u32_e64 v12, null, 0, v10, s0
	v_sub_co_u32 v18, s0, v2, s60
	s_wait_alu 0xf1ff
	v_subrev_co_ci_u32_e64 v7, null, 0, v7, s0
	s_delay_alu instid0(VALU_DEP_2) | instskip(SKIP_2) | instid1(VALU_DEP_3)
	v_cmp_le_u32_e32 vcc_lo, s60, v18
	s_wait_alu 0xfffd
	v_cndmask_b32_e64 v17, 0, -1, vcc_lo
	v_cmp_le_u32_e32 vcc_lo, s61, v7
	s_wait_alu 0xfffd
	v_cndmask_b32_e64 v18, 0, -1, vcc_lo
	;; [unrolled: 3-line block ×4, first 2 shown]
	v_cmp_eq_u32_e32 vcc_lo, s61, v7
	s_wait_alu 0xfffd
	v_cndmask_b32_e32 v7, v18, v17, vcc_lo
	v_add_co_u32 v17, vcc_lo, v9, 1
	s_wait_alu 0xfffd
	v_add_co_ci_u32_e64 v18, null, 0, v10, vcc_lo
	v_cmp_eq_u32_e32 vcc_lo, s61, v8
	v_xor_b32_e32 v8, s58, v14
	s_wait_alu 0xfffd
	v_cndmask_b32_e32 v2, v21, v2, vcc_lo
	v_cmp_ne_u32_e32 vcc_lo, 0, v7
	s_delay_alu instid0(VALU_DEP_2) | instskip(SKIP_3) | instid1(VALU_DEP_1)
	v_cmp_ne_u32_e64 s0, 0, v2
	s_wait_alu 0xfffd
	v_dual_cndmask_b32 v7, v18, v12 :: v_dual_cndmask_b32 v2, v17, v11
	s_wait_alu 0xf1ff
	v_cndmask_b32_e64 v7, v10, v7, s0
	s_delay_alu instid0(VALU_DEP_2) | instskip(NEXT) | instid1(VALU_DEP_2)
	v_cndmask_b32_e64 v2, v9, v2, s0
	v_xor_b32_e32 v9, v7, v8
	s_delay_alu instid0(VALU_DEP_2) | instskip(NEXT) | instid1(VALU_DEP_1)
	v_xor_b32_e32 v2, v2, v8
	v_sub_co_u32 v7, vcc_lo, v2, v8
	s_wait_alu 0xfffd
	s_delay_alu instid0(VALU_DEP_3)
	v_sub_co_ci_u32_e64 v8, null, v9, v8, vcc_lo
.LBB55_29:                              ;   in Loop: Header=BB55_3 Depth=1
	s_wait_alu 0xfffe
	s_and_not1_saveexec_b32 s0, s57
	s_cbranch_execz .LBB55_31
; %bb.30:                               ;   in Loop: Header=BB55_3 Depth=1
	v_cvt_f32_u32_e32 v2, s42
	s_sub_co_i32 s57, 0, s42
	s_delay_alu instid0(VALU_DEP_1) | instskip(NEXT) | instid1(TRANS32_DEP_1)
	v_rcp_iflag_f32_e32 v2, v2
	v_mul_f32_e32 v2, 0x4f7ffffe, v2
	s_delay_alu instid0(VALU_DEP_1) | instskip(SKIP_1) | instid1(VALU_DEP_1)
	v_cvt_u32_f32_e32 v2, v2
	s_wait_alu 0xfffe
	v_mul_lo_u32 v7, s57, v2
	s_delay_alu instid0(VALU_DEP_1) | instskip(NEXT) | instid1(VALU_DEP_1)
	v_mul_hi_u32 v7, v2, v7
	v_add_nc_u32_e32 v2, v2, v7
	s_delay_alu instid0(VALU_DEP_1) | instskip(NEXT) | instid1(VALU_DEP_1)
	v_mul_hi_u32 v2, v3, v2
	v_mul_lo_u32 v7, v2, s42
	v_add_nc_u32_e32 v8, 1, v2
	s_delay_alu instid0(VALU_DEP_2) | instskip(NEXT) | instid1(VALU_DEP_1)
	v_sub_nc_u32_e32 v7, v3, v7
	v_subrev_nc_u32_e32 v9, s42, v7
	v_cmp_le_u32_e32 vcc_lo, s42, v7
	s_wait_alu 0xfffd
	s_delay_alu instid0(VALU_DEP_2) | instskip(NEXT) | instid1(VALU_DEP_1)
	v_dual_cndmask_b32 v7, v7, v9 :: v_dual_cndmask_b32 v2, v2, v8
	v_cmp_le_u32_e32 vcc_lo, s42, v7
	s_delay_alu instid0(VALU_DEP_2) | instskip(SKIP_1) | instid1(VALU_DEP_1)
	v_add_nc_u32_e32 v8, 1, v2
	s_wait_alu 0xfffd
	v_dual_cndmask_b32 v7, v2, v8 :: v_dual_mov_b32 v8, v1
.LBB55_31:                              ;   in Loop: Header=BB55_3 Depth=1
	s_wait_alu 0xfffe
	s_or_b32 exec_lo, exec_lo, s0
	s_delay_alu instid0(VALU_DEP_1) | instskip(NEXT) | instid1(VALU_DEP_2)
	v_mad_co_u64_u32 v[9:10], null, s52, v7, v[3:4]
	v_mul_lo_u32 v2, s52, v8
	v_mul_lo_u32 v11, s53, v7
	;; [unrolled: 1-line block ×4, first 2 shown]
	v_mad_co_u64_u32 v[7:8], null, v7, s16, 0
	s_mov_b32 s0, exec_lo
	v_add3_u32 v2, v11, v10, v2
	v_mul_lo_u32 v11, v9, s19
	v_mad_co_u64_u32 v[9:10], null, v9, s18, 0
	v_add3_u32 v8, v8, v17, v12
	s_delay_alu instid0(VALU_DEP_4) | instskip(NEXT) | instid1(VALU_DEP_2)
	v_mul_lo_u32 v2, v2, s18
	v_lshlrev_b64_e32 v[7:8], 2, v[7:8]
	s_delay_alu instid0(VALU_DEP_2) | instskip(NEXT) | instid1(VALU_DEP_2)
	v_add3_u32 v10, v10, v11, v2
                                        ; implicit-def: $vgpr11_vgpr12
	v_add_co_u32 v2, vcc_lo, s40, v7
	s_wait_alu 0xfffd
	s_delay_alu instid0(VALU_DEP_3) | instskip(NEXT) | instid1(VALU_DEP_3)
	v_add_co_ci_u32_e64 v8, null, s41, v8, vcc_lo
	v_lshlrev_b64_e32 v[9:10], 2, v[9:10]
	s_delay_alu instid0(VALU_DEP_1) | instskip(SKIP_1) | instid1(VALU_DEP_2)
	v_add_co_u32 v7, vcc_lo, v2, v9
	s_wait_alu 0xfffd
	v_add_co_ci_u32_e64 v8, null, v8, v10, vcc_lo
	v_mul_lo_u32 v2, s51, v5
	v_mul_lo_u32 v9, s50, v6
	global_load_b32 v17, v[7:8], off
	v_mad_co_u64_u32 v[7:8], null, s50, v5, 0
	s_delay_alu instid0(VALU_DEP_1) | instskip(NEXT) | instid1(VALU_DEP_2)
	v_add3_u32 v8, v8, v9, v2
	v_add_co_u32 v23, vcc_lo, v3, v7
	s_wait_alu 0xfffd
	s_delay_alu instid0(VALU_DEP_2) | instskip(NEXT) | instid1(VALU_DEP_1)
	v_add_co_ci_u32_e64 v24, null, v4, v8, vcc_lo
	v_or_b32_e32 v2, s35, v24
	v_ashrrev_i32_e32 v21, 31, v24
	s_delay_alu instid0(VALU_DEP_2)
	v_cmpx_ne_u64_e32 0, v[1:2]
	s_wait_alu 0xfffe
	s_xor_b32 s57, exec_lo, s0
	s_cbranch_execz .LBB55_33
; %bb.32:                               ;   in Loop: Header=BB55_3 Depth=1
	s_ashr_i32 s58, s35, 31
	v_add_co_u32 v2, vcc_lo, v23, v21
	s_wait_alu 0xfffe
	s_mov_b32 s59, s58
	s_wait_alu 0xfffd
	v_add_co_ci_u32_e64 v9, null, v24, v21, vcc_lo
	s_wait_alu 0xfffe
	s_add_nc_u64 s[60:61], s[34:35], s[58:59]
	v_xor_b32_e32 v2, v2, v21
	s_wait_alu 0xfffe
	s_xor_b64 s[60:61], s[60:61], s[58:59]
	v_xor_b32_e32 v18, v9, v21
	s_wait_alu 0xfffe
	s_cvt_f32_u32 s0, s60
	s_cvt_f32_u32 s59, s61
	s_sub_nc_u64 s[66:67], 0, s[60:61]
	s_wait_alu 0xfffe
	s_delay_alu instid0(SALU_CYCLE_1) | instskip(SKIP_1) | instid1(SALU_CYCLE_2)
	s_fmamk_f32 s0, s59, 0x4f800000, s0
	s_wait_alu 0xfffe
	v_s_rcp_f32 s0, s0
	s_delay_alu instid0(TRANS32_DEP_1) | instskip(SKIP_1) | instid1(SALU_CYCLE_2)
	s_mul_f32 s0, s0, 0x5f7ffffc
	s_wait_alu 0xfffe
	s_mul_f32 s59, s0, 0x2f800000
	s_wait_alu 0xfffe
	s_delay_alu instid0(SALU_CYCLE_2) | instskip(SKIP_1) | instid1(SALU_CYCLE_2)
	s_trunc_f32 s59, s59
	s_wait_alu 0xfffe
	s_fmamk_f32 s0, s59, 0xcf800000, s0
	s_cvt_u32_f32 s65, s59
	s_wait_alu 0xfffe
	s_delay_alu instid0(SALU_CYCLE_1) | instskip(NEXT) | instid1(SALU_CYCLE_3)
	s_cvt_u32_f32 s64, s0
	s_mul_u64 s[68:69], s[66:67], s[64:65]
	s_delay_alu instid0(SALU_CYCLE_1)
	s_mul_hi_u32 s71, s64, s69
	s_mul_i32 s70, s64, s69
	s_mul_hi_u32 s0, s64, s68
	s_mul_i32 s63, s65, s68
	s_wait_alu 0xfffe
	s_add_nc_u64 s[70:71], s[0:1], s[70:71]
	s_mul_hi_u32 s59, s65, s68
	s_mul_hi_u32 s72, s65, s69
	s_add_co_u32 s0, s70, s63
	s_wait_alu 0xfffe
	s_add_co_ci_u32 s0, s71, s59
	s_mul_i32 s68, s65, s69
	s_add_co_ci_u32 s69, s72, 0
	s_wait_alu 0xfffe
	s_add_nc_u64 s[68:69], s[0:1], s[68:69]
	s_delay_alu instid0(SALU_CYCLE_1) | instskip(SKIP_4) | instid1(SALU_CYCLE_1)
	s_add_co_u32 s64, s64, s68
	s_cselect_b32 s0, -1, 0
	s_wait_alu 0xfffe
	s_cmp_lg_u32 s0, 0
	s_add_co_ci_u32 s65, s65, s69
	s_mul_u64 s[66:67], s[66:67], s[64:65]
	s_delay_alu instid0(SALU_CYCLE_1)
	s_mul_hi_u32 s69, s64, s67
	s_mul_i32 s68, s64, s67
	s_mul_hi_u32 s0, s64, s66
	s_mul_i32 s63, s65, s66
	s_wait_alu 0xfffe
	s_add_nc_u64 s[68:69], s[0:1], s[68:69]
	s_mul_hi_u32 s59, s65, s66
	s_mul_hi_u32 s70, s65, s67
	s_add_co_u32 s0, s68, s63
	s_wait_alu 0xfffe
	s_add_co_ci_u32 s0, s69, s59
	s_mul_i32 s66, s65, s67
	s_add_co_ci_u32 s67, s70, 0
	s_wait_alu 0xfffe
	s_add_nc_u64 s[66:67], s[0:1], s[66:67]
	s_delay_alu instid0(SALU_CYCLE_1)
	s_add_co_u32 s0, s64, s66
	s_cselect_b32 s59, -1, 0
	s_wait_alu 0xfffe
	v_mul_hi_u32 v27, v2, s0
	s_cmp_lg_u32 s59, 0
	v_mad_co_u64_u32 v[11:12], null, v18, s0, 0
	s_add_co_ci_u32 s59, s65, s67
	s_wait_alu 0xfffe
	v_mad_co_u64_u32 v[9:10], null, v2, s59, 0
	v_mad_co_u64_u32 v[25:26], null, v18, s59, 0
	s_delay_alu instid0(VALU_DEP_2) | instskip(SKIP_1) | instid1(VALU_DEP_3)
	v_add_co_u32 v9, vcc_lo, v27, v9
	s_wait_alu 0xfffd
	v_add_co_ci_u32_e64 v10, null, 0, v10, vcc_lo
	s_delay_alu instid0(VALU_DEP_2) | instskip(SKIP_1) | instid1(VALU_DEP_2)
	v_add_co_u32 v9, vcc_lo, v9, v11
	s_wait_alu 0xfffd
	v_add_co_ci_u32_e32 v9, vcc_lo, v10, v12, vcc_lo
	s_wait_alu 0xfffd
	v_add_co_ci_u32_e32 v10, vcc_lo, 0, v26, vcc_lo
	s_delay_alu instid0(VALU_DEP_2) | instskip(SKIP_1) | instid1(VALU_DEP_2)
	v_add_co_u32 v11, vcc_lo, v9, v25
	s_wait_alu 0xfffd
	v_add_co_ci_u32_e64 v12, null, 0, v10, vcc_lo
	s_delay_alu instid0(VALU_DEP_2) | instskip(SKIP_1) | instid1(VALU_DEP_3)
	v_mul_lo_u32 v25, s61, v11
	v_mad_co_u64_u32 v[9:10], null, s60, v11, 0
	v_mul_lo_u32 v26, s60, v12
	s_delay_alu instid0(VALU_DEP_2) | instskip(NEXT) | instid1(VALU_DEP_2)
	v_sub_co_u32 v2, vcc_lo, v2, v9
	v_add3_u32 v10, v10, v26, v25
	s_delay_alu instid0(VALU_DEP_1) | instskip(SKIP_2) | instid1(VALU_DEP_2)
	v_sub_nc_u32_e32 v25, v18, v10
	s_wait_alu 0xfffd
	v_sub_co_ci_u32_e64 v10, null, v18, v10, vcc_lo
	v_subrev_co_ci_u32_e64 v9, null, s61, v25, vcc_lo
	v_add_co_u32 v25, s0, v11, 2
	s_wait_alu 0xf1ff
	v_add_co_ci_u32_e64 v26, null, 0, v12, s0
	v_sub_co_u32 v27, s0, v2, s60
	s_wait_alu 0xf1ff
	v_subrev_co_ci_u32_e64 v9, null, 0, v9, s0
	s_delay_alu instid0(VALU_DEP_2) | instskip(SKIP_2) | instid1(VALU_DEP_3)
	v_cmp_le_u32_e32 vcc_lo, s60, v27
	s_wait_alu 0xfffd
	v_cndmask_b32_e64 v18, 0, -1, vcc_lo
	v_cmp_le_u32_e32 vcc_lo, s61, v9
	s_wait_alu 0xfffd
	v_cndmask_b32_e64 v27, 0, -1, vcc_lo
	;; [unrolled: 3-line block ×4, first 2 shown]
	v_cmp_eq_u32_e32 vcc_lo, s61, v9
	s_wait_alu 0xfffd
	v_cndmask_b32_e32 v9, v27, v18, vcc_lo
	v_add_co_u32 v18, vcc_lo, v11, 1
	s_wait_alu 0xfffd
	v_add_co_ci_u32_e64 v27, null, 0, v12, vcc_lo
	v_cmp_eq_u32_e32 vcc_lo, s61, v10
	v_xor_b32_e32 v10, s58, v21
	s_wait_alu 0xfffd
	v_cndmask_b32_e32 v2, v28, v2, vcc_lo
	v_cmp_ne_u32_e32 vcc_lo, 0, v9
	s_delay_alu instid0(VALU_DEP_2) | instskip(SKIP_3) | instid1(VALU_DEP_1)
	v_cmp_ne_u32_e64 s0, 0, v2
	s_wait_alu 0xfffd
	v_dual_cndmask_b32 v2, v18, v25 :: v_dual_cndmask_b32 v9, v27, v26
	s_wait_alu 0xf1ff
	v_cndmask_b32_e64 v2, v11, v2, s0
	s_delay_alu instid0(VALU_DEP_2) | instskip(NEXT) | instid1(VALU_DEP_2)
	v_cndmask_b32_e64 v9, v12, v9, s0
	v_xor_b32_e32 v2, v2, v10
	s_delay_alu instid0(VALU_DEP_2) | instskip(NEXT) | instid1(VALU_DEP_2)
	v_xor_b32_e32 v9, v9, v10
	v_sub_co_u32 v11, vcc_lo, v2, v10
	s_wait_alu 0xfffd
	s_delay_alu instid0(VALU_DEP_2)
	v_sub_co_ci_u32_e64 v12, null, v9, v10, vcc_lo
.LBB55_33:                              ;   in Loop: Header=BB55_3 Depth=1
	s_wait_alu 0xfffe
	s_or_saveexec_b32 s0, s57
	v_cvt_f32_u32_e32 v30, s34
	s_wait_alu 0xfffe
	s_xor_b32 exec_lo, exec_lo, s0
	s_cbranch_execz .LBB55_35
; %bb.34:                               ;   in Loop: Header=BB55_3 Depth=1
	s_delay_alu instid0(VALU_DEP_1) | instskip(SKIP_2) | instid1(TRANS32_DEP_1)
	v_rcp_iflag_f32_e32 v2, v30
	s_sub_co_i32 s57, 0, s34
	v_mov_b32_e32 v12, v1
	v_mul_f32_e32 v2, 0x4f7ffffe, v2
	s_delay_alu instid0(VALU_DEP_1) | instskip(SKIP_1) | instid1(VALU_DEP_1)
	v_cvt_u32_f32_e32 v2, v2
	s_wait_alu 0xfffe
	v_mul_lo_u32 v9, s57, v2
	s_delay_alu instid0(VALU_DEP_1) | instskip(NEXT) | instid1(VALU_DEP_1)
	v_mul_hi_u32 v9, v2, v9
	v_add_nc_u32_e32 v2, v2, v9
	s_delay_alu instid0(VALU_DEP_1) | instskip(NEXT) | instid1(VALU_DEP_1)
	v_mul_hi_u32 v2, v23, v2
	v_mul_lo_u32 v9, v2, s34
	v_add_nc_u32_e32 v10, 1, v2
	s_delay_alu instid0(VALU_DEP_2) | instskip(NEXT) | instid1(VALU_DEP_1)
	v_sub_nc_u32_e32 v9, v23, v9
	v_subrev_nc_u32_e32 v11, s34, v9
	v_cmp_le_u32_e32 vcc_lo, s34, v9
	s_wait_alu 0xfffd
	s_delay_alu instid0(VALU_DEP_2) | instskip(NEXT) | instid1(VALU_DEP_1)
	v_dual_cndmask_b32 v9, v9, v11 :: v_dual_cndmask_b32 v2, v2, v10
	v_cmp_le_u32_e32 vcc_lo, s34, v9
	s_delay_alu instid0(VALU_DEP_2) | instskip(SKIP_1) | instid1(VALU_DEP_1)
	v_add_nc_u32_e32 v10, 1, v2
	s_wait_alu 0xfffd
	v_cndmask_b32_e32 v11, v2, v10, vcc_lo
.LBB55_35:                              ;   in Loop: Header=BB55_3 Depth=1
	s_or_b32 exec_lo, exec_lo, s0
	v_mul_lo_u32 v2, v12, s34
	s_delay_alu instid0(VALU_DEP_2)
	v_mul_lo_u32 v18, v11, s35
	v_mad_co_u64_u32 v[9:10], null, v11, s34, 0
	s_wait_loadcnt 0x4
	v_dual_sub_f32 v27, 1.0, v16 :: v_dual_sub_f32 v28, 1.0, v15
	s_wait_loadcnt 0x3
	v_fma_f32 v25, -v19, v19, 1.0
	v_mul_lo_u32 v29, v12, s8
	v_mul_lo_u32 v31, v11, s9
	v_mad_co_u64_u32 v[11:12], null, v11, s8, 0
	v_add3_u32 v2, v10, v18, v2
	s_wait_loadcnt 0x0
	v_mul_f32_e32 v10, v27, v17
	v_sub_co_u32 v9, vcc_lo, v7, v9
	s_mov_b32 s0, exec_lo
	s_wait_alu 0xfffd
	v_sub_co_ci_u32_e64 v2, null, v8, v2, vcc_lo
	v_mul_f32_e32 v18, v25, v10
	v_add_co_u32 v25, vcc_lo, v3, v9
	s_wait_alu 0xfffd
	s_delay_alu instid0(VALU_DEP_3) | instskip(SKIP_3) | instid1(VALU_DEP_4)
	v_add_co_ci_u32_e64 v2, null, v4, v2, vcc_lo
	v_lshlrev_b64_e32 v[9:10], 1, v[5:6]
	v_alignbit_b32 v5, v6, v5, 31
	v_mul_lo_u32 v32, v25, s11
	v_mul_lo_u32 v2, v2, s10
	v_mad_co_u64_u32 v[25:26], null, v25, s10, 0
	s_delay_alu instid0(VALU_DEP_4)
	v_mul_lo_u32 v33, s4, v5
	v_mul_lo_u32 v34, s5, v9
	v_mad_co_u64_u32 v[5:6], null, s4, v9, s[4:5]
	v_add3_u32 v12, v12, v31, v29
	v_mul_f32_e32 v22, v22, v18
	v_add3_u32 v26, v26, v32, v2
	s_delay_alu instid0(VALU_DEP_3) | instskip(SKIP_1) | instid1(VALU_DEP_3)
	v_lshlrev_b64_e32 v[11:12], 2, v[11:12]
	v_add3_u32 v6, v34, v6, v33
	v_lshlrev_b64_e32 v[31:32], 2, v[25:26]
	v_add_co_u32 v25, vcc_lo, v3, v5
	v_mul_f32_e32 v22, v28, v22
	s_wait_alu 0xfffd
	v_add_co_ci_u32_e64 v26, null, v4, v6, vcc_lo
	v_add_co_u32 v11, vcc_lo, s30, v11
	s_wait_alu 0xfffd
	v_add_co_ci_u32_e64 v12, null, s31, v12, vcc_lo
	v_mul_f32_e32 v28, v15, v22
	s_delay_alu instid0(VALU_DEP_3)
	v_add_co_u32 v11, vcc_lo, v11, v31
	v_or_b32_e32 v2, s35, v26
	s_wait_alu 0xfffd
	v_add_co_ci_u32_e64 v12, null, v12, v32, vcc_lo
	v_ashrrev_i32_e32 v22, 31, v26
	global_store_b32 v[11:12], v28, off
                                        ; implicit-def: $vgpr11_vgpr12
	v_cmpx_ne_u64_e32 0, v[1:2]
	s_wait_alu 0xfffe
	s_xor_b32 s57, exec_lo, s0
	s_cbranch_execz .LBB55_37
; %bb.36:                               ;   in Loop: Header=BB55_3 Depth=1
	s_ashr_i32 s58, s35, 31
	v_add_co_u32 v2, vcc_lo, v25, v22
	s_wait_alu 0xfffe
	s_mov_b32 s59, s58
	s_wait_alu 0xfffd
	v_add_co_ci_u32_e64 v11, null, v26, v22, vcc_lo
	s_wait_alu 0xfffe
	s_add_nc_u64 s[60:61], s[34:35], s[58:59]
	v_xor_b32_e32 v2, v2, v22
	s_wait_alu 0xfffe
	s_xor_b64 s[60:61], s[60:61], s[58:59]
	v_xor_b32_e32 v29, v11, v22
	s_wait_alu 0xfffe
	s_cvt_f32_u32 s0, s60
	s_cvt_f32_u32 s59, s61
	s_sub_nc_u64 s[66:67], 0, s[60:61]
	s_wait_alu 0xfffe
	s_delay_alu instid0(SALU_CYCLE_1) | instskip(SKIP_1) | instid1(SALU_CYCLE_2)
	s_fmamk_f32 s0, s59, 0x4f800000, s0
	s_wait_alu 0xfffe
	v_s_rcp_f32 s0, s0
	s_delay_alu instid0(TRANS32_DEP_1) | instskip(SKIP_1) | instid1(SALU_CYCLE_2)
	s_mul_f32 s0, s0, 0x5f7ffffc
	s_wait_alu 0xfffe
	s_mul_f32 s59, s0, 0x2f800000
	s_wait_alu 0xfffe
	s_delay_alu instid0(SALU_CYCLE_2) | instskip(SKIP_1) | instid1(SALU_CYCLE_2)
	s_trunc_f32 s59, s59
	s_wait_alu 0xfffe
	s_fmamk_f32 s0, s59, 0xcf800000, s0
	s_cvt_u32_f32 s65, s59
	s_wait_alu 0xfffe
	s_delay_alu instid0(SALU_CYCLE_1) | instskip(NEXT) | instid1(SALU_CYCLE_3)
	s_cvt_u32_f32 s64, s0
	s_mul_u64 s[68:69], s[66:67], s[64:65]
	s_delay_alu instid0(SALU_CYCLE_1)
	s_mul_hi_u32 s71, s64, s69
	s_mul_i32 s70, s64, s69
	s_mul_hi_u32 s0, s64, s68
	s_mul_i32 s63, s65, s68
	s_wait_alu 0xfffe
	s_add_nc_u64 s[70:71], s[0:1], s[70:71]
	s_mul_hi_u32 s59, s65, s68
	s_mul_hi_u32 s72, s65, s69
	s_add_co_u32 s0, s70, s63
	s_wait_alu 0xfffe
	s_add_co_ci_u32 s0, s71, s59
	s_mul_i32 s68, s65, s69
	s_add_co_ci_u32 s69, s72, 0
	s_wait_alu 0xfffe
	s_add_nc_u64 s[68:69], s[0:1], s[68:69]
	s_delay_alu instid0(SALU_CYCLE_1) | instskip(SKIP_4) | instid1(SALU_CYCLE_1)
	s_add_co_u32 s64, s64, s68
	s_cselect_b32 s0, -1, 0
	s_wait_alu 0xfffe
	s_cmp_lg_u32 s0, 0
	s_add_co_ci_u32 s65, s65, s69
	s_mul_u64 s[66:67], s[66:67], s[64:65]
	s_delay_alu instid0(SALU_CYCLE_1)
	s_mul_hi_u32 s69, s64, s67
	s_mul_i32 s68, s64, s67
	s_mul_hi_u32 s0, s64, s66
	s_mul_i32 s63, s65, s66
	s_wait_alu 0xfffe
	s_add_nc_u64 s[68:69], s[0:1], s[68:69]
	s_mul_hi_u32 s59, s65, s66
	s_mul_hi_u32 s70, s65, s67
	s_add_co_u32 s0, s68, s63
	s_wait_alu 0xfffe
	s_add_co_ci_u32 s0, s69, s59
	s_mul_i32 s66, s65, s67
	s_add_co_ci_u32 s67, s70, 0
	s_wait_alu 0xfffe
	s_add_nc_u64 s[66:67], s[0:1], s[66:67]
	s_delay_alu instid0(SALU_CYCLE_1)
	s_add_co_u32 s0, s64, s66
	s_cselect_b32 s59, -1, 0
	s_wait_alu 0xfffe
	v_mul_hi_u32 v35, v2, s0
	s_cmp_lg_u32 s59, 0
	v_mad_co_u64_u32 v[31:32], null, v29, s0, 0
	s_add_co_ci_u32 s59, s65, s67
	s_wait_alu 0xfffe
	v_mad_co_u64_u32 v[11:12], null, v2, s59, 0
	v_mad_co_u64_u32 v[33:34], null, v29, s59, 0
	s_delay_alu instid0(VALU_DEP_2) | instskip(SKIP_1) | instid1(VALU_DEP_3)
	v_add_co_u32 v11, vcc_lo, v35, v11
	s_wait_alu 0xfffd
	v_add_co_ci_u32_e64 v12, null, 0, v12, vcc_lo
	s_delay_alu instid0(VALU_DEP_2) | instskip(SKIP_1) | instid1(VALU_DEP_2)
	v_add_co_u32 v11, vcc_lo, v11, v31
	s_wait_alu 0xfffd
	v_add_co_ci_u32_e32 v11, vcc_lo, v12, v32, vcc_lo
	s_wait_alu 0xfffd
	v_add_co_ci_u32_e32 v12, vcc_lo, 0, v34, vcc_lo
	s_delay_alu instid0(VALU_DEP_2) | instskip(SKIP_1) | instid1(VALU_DEP_2)
	v_add_co_u32 v31, vcc_lo, v11, v33
	s_wait_alu 0xfffd
	v_add_co_ci_u32_e64 v32, null, 0, v12, vcc_lo
	s_delay_alu instid0(VALU_DEP_2) | instskip(SKIP_1) | instid1(VALU_DEP_3)
	v_mul_lo_u32 v33, s61, v31
	v_mad_co_u64_u32 v[11:12], null, s60, v31, 0
	v_mul_lo_u32 v34, s60, v32
	s_delay_alu instid0(VALU_DEP_2) | instskip(NEXT) | instid1(VALU_DEP_2)
	v_sub_co_u32 v2, vcc_lo, v2, v11
	v_add3_u32 v12, v12, v34, v33
	s_delay_alu instid0(VALU_DEP_1) | instskip(SKIP_2) | instid1(VALU_DEP_2)
	v_sub_nc_u32_e32 v33, v29, v12
	s_wait_alu 0xfffd
	v_sub_co_ci_u32_e64 v12, null, v29, v12, vcc_lo
	v_subrev_co_ci_u32_e64 v11, null, s61, v33, vcc_lo
	v_add_co_u32 v33, s0, v31, 2
	s_wait_alu 0xf1ff
	v_add_co_ci_u32_e64 v34, null, 0, v32, s0
	v_sub_co_u32 v35, s0, v2, s60
	s_wait_alu 0xf1ff
	v_subrev_co_ci_u32_e64 v11, null, 0, v11, s0
	s_delay_alu instid0(VALU_DEP_2) | instskip(SKIP_2) | instid1(VALU_DEP_3)
	v_cmp_le_u32_e32 vcc_lo, s60, v35
	s_wait_alu 0xfffd
	v_cndmask_b32_e64 v29, 0, -1, vcc_lo
	v_cmp_le_u32_e32 vcc_lo, s61, v11
	s_wait_alu 0xfffd
	v_cndmask_b32_e64 v35, 0, -1, vcc_lo
	;; [unrolled: 3-line block ×4, first 2 shown]
	v_cmp_eq_u32_e32 vcc_lo, s61, v11
	s_wait_alu 0xfffd
	v_cndmask_b32_e32 v11, v35, v29, vcc_lo
	v_add_co_u32 v29, vcc_lo, v31, 1
	s_wait_alu 0xfffd
	v_add_co_ci_u32_e64 v35, null, 0, v32, vcc_lo
	v_cmp_eq_u32_e32 vcc_lo, s61, v12
	v_xor_b32_e32 v12, s58, v22
	s_wait_alu 0xfffd
	v_cndmask_b32_e32 v2, v36, v2, vcc_lo
	v_cmp_ne_u32_e32 vcc_lo, 0, v11
	s_delay_alu instid0(VALU_DEP_2) | instskip(SKIP_3) | instid1(VALU_DEP_1)
	v_cmp_ne_u32_e64 s0, 0, v2
	s_wait_alu 0xfffd
	v_dual_cndmask_b32 v11, v35, v34 :: v_dual_cndmask_b32 v2, v29, v33
	s_wait_alu 0xf1ff
	v_cndmask_b32_e64 v11, v32, v11, s0
	s_delay_alu instid0(VALU_DEP_2) | instskip(NEXT) | instid1(VALU_DEP_2)
	v_cndmask_b32_e64 v2, v31, v2, s0
	v_xor_b32_e32 v29, v11, v12
	s_delay_alu instid0(VALU_DEP_2) | instskip(NEXT) | instid1(VALU_DEP_1)
	v_xor_b32_e32 v2, v2, v12
	v_sub_co_u32 v11, vcc_lo, v2, v12
	s_wait_alu 0xfffd
	s_delay_alu instid0(VALU_DEP_3)
	v_sub_co_ci_u32_e64 v12, null, v29, v12, vcc_lo
.LBB55_37:                              ;   in Loop: Header=BB55_3 Depth=1
	s_wait_alu 0xfffe
	s_and_not1_saveexec_b32 s0, s57
	s_cbranch_execz .LBB55_39
; %bb.38:                               ;   in Loop: Header=BB55_3 Depth=1
	v_rcp_iflag_f32_e32 v2, v30
	s_sub_co_i32 s57, 0, s34
	s_delay_alu instid0(TRANS32_DEP_1) | instskip(NEXT) | instid1(VALU_DEP_1)
	v_mul_f32_e32 v2, 0x4f7ffffe, v2
	v_cvt_u32_f32_e32 v2, v2
	s_wait_alu 0xfffe
	s_delay_alu instid0(VALU_DEP_1) | instskip(NEXT) | instid1(VALU_DEP_1)
	v_mul_lo_u32 v11, s57, v2
	v_mul_hi_u32 v11, v2, v11
	s_delay_alu instid0(VALU_DEP_1) | instskip(NEXT) | instid1(VALU_DEP_1)
	v_add_nc_u32_e32 v2, v2, v11
	v_mul_hi_u32 v2, v25, v2
	s_delay_alu instid0(VALU_DEP_1) | instskip(SKIP_1) | instid1(VALU_DEP_2)
	v_mul_lo_u32 v11, v2, s34
	v_add_nc_u32_e32 v12, 1, v2
	v_sub_nc_u32_e32 v11, v25, v11
	s_delay_alu instid0(VALU_DEP_1) | instskip(SKIP_2) | instid1(VALU_DEP_2)
	v_subrev_nc_u32_e32 v29, s34, v11
	v_cmp_le_u32_e32 vcc_lo, s34, v11
	s_wait_alu 0xfffd
	v_dual_cndmask_b32 v11, v11, v29 :: v_dual_cndmask_b32 v2, v2, v12
	s_delay_alu instid0(VALU_DEP_1) | instskip(NEXT) | instid1(VALU_DEP_2)
	v_cmp_le_u32_e32 vcc_lo, s34, v11
	v_add_nc_u32_e32 v12, 1, v2
	s_wait_alu 0xfffd
	s_delay_alu instid0(VALU_DEP_1)
	v_dual_cndmask_b32 v11, v2, v12 :: v_dual_mov_b32 v12, v1
.LBB55_39:                              ;   in Loop: Header=BB55_3 Depth=1
	s_wait_alu 0xfffe
	s_or_b32 exec_lo, exec_lo, s0
	s_delay_alu instid0(VALU_DEP_1) | instskip(NEXT) | instid1(VALU_DEP_2)
	v_mul_lo_u32 v2, v12, s34
	v_mul_lo_u32 v29, v11, s35
	v_mad_co_u64_u32 v[31:32], null, v11, s34, 0
	v_sub_f32_e32 v19, v20, v19
	s_mov_b32 s0, exec_lo
	s_delay_alu instid0(VALU_DEP_2) | instskip(SKIP_1) | instid1(VALU_DEP_4)
	v_add3_u32 v2, v32, v29, v2
	v_mul_lo_u32 v29, v12, s8
	v_sub_co_u32 v12, vcc_lo, v5, v31
	v_mul_lo_u32 v31, v11, s9
	s_wait_alu 0xfffd
	v_sub_co_ci_u32_e64 v2, null, v6, v2, vcc_lo
	s_delay_alu instid0(VALU_DEP_3) | instskip(SKIP_2) | instid1(VALU_DEP_3)
	v_add_co_u32 v20, vcc_lo, v3, v12
	v_mad_co_u64_u32 v[11:12], null, v11, s8, 0
	s_wait_alu 0xfffd
	v_add_co_ci_u32_e64 v2, null, v4, v2, vcc_lo
	v_add_co_u32 v9, vcc_lo, v9, 2
	s_wait_alu 0xfffd
	v_add_co_ci_u32_e64 v10, null, 0, v10, vcc_lo
	v_mul_f32_e32 v32, v19, v17
	v_mul_lo_u32 v33, v20, s11
	v_mul_lo_u32 v2, v2, s10
	v_mad_co_u64_u32 v[19:20], null, v20, s10, 0
	v_mul_lo_u32 v34, s5, v9
	v_mul_lo_u32 v35, s4, v10
	v_mad_co_u64_u32 v[9:10], null, s4, v9, 0
	v_add3_u32 v12, v12, v31, v29
	v_mul_f32_e32 v27, v27, v32
	v_add3_u32 v20, v20, v33, v2
	s_delay_alu instid0(VALU_DEP_3) | instskip(SKIP_1) | instid1(VALU_DEP_3)
	v_lshlrev_b64_e32 v[11:12], 2, v[11:12]
	v_add3_u32 v10, v10, v35, v34
	v_lshlrev_b64_e32 v[31:32], 2, v[19:20]
	v_add_co_u32 v20, vcc_lo, v3, v9
	v_mul_f32_e32 v29, v16, v27
	s_wait_alu 0xfffd
	v_add_co_ci_u32_e64 v27, null, v4, v10, vcc_lo
	v_add_co_u32 v11, vcc_lo, s30, v11
	s_wait_alu 0xfffd
	v_add_co_ci_u32_e64 v12, null, s31, v12, vcc_lo
	s_delay_alu instid0(VALU_DEP_3) | instskip(NEXT) | instid1(VALU_DEP_3)
	v_or_b32_e32 v2, s35, v27
	v_add_co_u32 v11, vcc_lo, v11, v31
	s_wait_alu 0xfffd
	s_delay_alu instid0(VALU_DEP_3)
	v_add_co_ci_u32_e64 v12, null, v12, v32, vcc_lo
	v_ashrrev_i32_e32 v19, 31, v27
	global_store_b32 v[11:12], v29, off
                                        ; implicit-def: $vgpr11_vgpr12
	v_cmpx_ne_u64_e32 0, v[1:2]
	s_wait_alu 0xfffe
	s_xor_b32 s57, exec_lo, s0
	s_cbranch_execz .LBB55_41
; %bb.40:                               ;   in Loop: Header=BB55_3 Depth=1
	s_ashr_i32 s58, s35, 31
	v_add_co_u32 v2, vcc_lo, v20, v19
	s_wait_alu 0xfffe
	s_mov_b32 s59, s58
	s_wait_alu 0xfffd
	v_add_co_ci_u32_e64 v11, null, v27, v19, vcc_lo
	s_wait_alu 0xfffe
	s_add_nc_u64 s[60:61], s[34:35], s[58:59]
	v_xor_b32_e32 v2, v2, v19
	s_wait_alu 0xfffe
	s_xor_b64 s[60:61], s[60:61], s[58:59]
	v_xor_b32_e32 v34, v11, v19
	s_wait_alu 0xfffe
	s_cvt_f32_u32 s0, s60
	s_cvt_f32_u32 s59, s61
	s_sub_nc_u64 s[66:67], 0, s[60:61]
	s_wait_alu 0xfffe
	s_delay_alu instid0(SALU_CYCLE_1) | instskip(SKIP_1) | instid1(SALU_CYCLE_2)
	s_fmamk_f32 s0, s59, 0x4f800000, s0
	s_wait_alu 0xfffe
	v_s_rcp_f32 s0, s0
	s_delay_alu instid0(TRANS32_DEP_1) | instskip(SKIP_1) | instid1(SALU_CYCLE_2)
	s_mul_f32 s0, s0, 0x5f7ffffc
	s_wait_alu 0xfffe
	s_mul_f32 s59, s0, 0x2f800000
	s_wait_alu 0xfffe
	s_delay_alu instid0(SALU_CYCLE_2) | instskip(SKIP_1) | instid1(SALU_CYCLE_2)
	s_trunc_f32 s59, s59
	s_wait_alu 0xfffe
	s_fmamk_f32 s0, s59, 0xcf800000, s0
	s_cvt_u32_f32 s65, s59
	s_wait_alu 0xfffe
	s_delay_alu instid0(SALU_CYCLE_1) | instskip(NEXT) | instid1(SALU_CYCLE_3)
	s_cvt_u32_f32 s64, s0
	s_mul_u64 s[68:69], s[66:67], s[64:65]
	s_delay_alu instid0(SALU_CYCLE_1)
	s_mul_hi_u32 s71, s64, s69
	s_mul_i32 s70, s64, s69
	s_mul_hi_u32 s0, s64, s68
	s_mul_i32 s63, s65, s68
	s_wait_alu 0xfffe
	s_add_nc_u64 s[70:71], s[0:1], s[70:71]
	s_mul_hi_u32 s59, s65, s68
	s_mul_hi_u32 s72, s65, s69
	s_add_co_u32 s0, s70, s63
	s_wait_alu 0xfffe
	s_add_co_ci_u32 s0, s71, s59
	s_mul_i32 s68, s65, s69
	s_add_co_ci_u32 s69, s72, 0
	s_wait_alu 0xfffe
	s_add_nc_u64 s[68:69], s[0:1], s[68:69]
	s_delay_alu instid0(SALU_CYCLE_1) | instskip(SKIP_4) | instid1(SALU_CYCLE_1)
	s_add_co_u32 s64, s64, s68
	s_cselect_b32 s0, -1, 0
	s_wait_alu 0xfffe
	s_cmp_lg_u32 s0, 0
	s_add_co_ci_u32 s65, s65, s69
	s_mul_u64 s[66:67], s[66:67], s[64:65]
	s_delay_alu instid0(SALU_CYCLE_1)
	s_mul_hi_u32 s69, s64, s67
	s_mul_i32 s68, s64, s67
	s_mul_hi_u32 s0, s64, s66
	s_mul_i32 s63, s65, s66
	s_wait_alu 0xfffe
	s_add_nc_u64 s[68:69], s[0:1], s[68:69]
	s_mul_hi_u32 s59, s65, s66
	s_mul_hi_u32 s70, s65, s67
	s_add_co_u32 s0, s68, s63
	s_wait_alu 0xfffe
	s_add_co_ci_u32 s0, s69, s59
	s_mul_i32 s66, s65, s67
	s_add_co_ci_u32 s67, s70, 0
	s_wait_alu 0xfffe
	s_add_nc_u64 s[66:67], s[0:1], s[66:67]
	s_delay_alu instid0(SALU_CYCLE_1)
	s_add_co_u32 s0, s64, s66
	s_cselect_b32 s59, -1, 0
	s_wait_alu 0xfffe
	v_mul_hi_u32 v35, v2, s0
	s_cmp_lg_u32 s59, 0
	v_mad_co_u64_u32 v[30:31], null, v34, s0, 0
	s_add_co_ci_u32 s59, s65, s67
	s_wait_alu 0xfffe
	v_mad_co_u64_u32 v[11:12], null, v2, s59, 0
	v_mad_co_u64_u32 v[32:33], null, v34, s59, 0
	s_delay_alu instid0(VALU_DEP_2) | instskip(SKIP_1) | instid1(VALU_DEP_3)
	v_add_co_u32 v11, vcc_lo, v35, v11
	s_wait_alu 0xfffd
	v_add_co_ci_u32_e64 v12, null, 0, v12, vcc_lo
	s_delay_alu instid0(VALU_DEP_2) | instskip(SKIP_1) | instid1(VALU_DEP_2)
	v_add_co_u32 v11, vcc_lo, v11, v30
	s_wait_alu 0xfffd
	v_add_co_ci_u32_e32 v11, vcc_lo, v12, v31, vcc_lo
	s_wait_alu 0xfffd
	v_add_co_ci_u32_e32 v12, vcc_lo, 0, v33, vcc_lo
	s_delay_alu instid0(VALU_DEP_2) | instskip(SKIP_1) | instid1(VALU_DEP_2)
	v_add_co_u32 v30, vcc_lo, v11, v32
	s_wait_alu 0xfffd
	v_add_co_ci_u32_e64 v31, null, 0, v12, vcc_lo
	s_delay_alu instid0(VALU_DEP_2) | instskip(SKIP_1) | instid1(VALU_DEP_3)
	v_mul_lo_u32 v32, s61, v30
	v_mad_co_u64_u32 v[11:12], null, s60, v30, 0
	v_mul_lo_u32 v33, s60, v31
	s_delay_alu instid0(VALU_DEP_2) | instskip(NEXT) | instid1(VALU_DEP_2)
	v_sub_co_u32 v2, vcc_lo, v2, v11
	v_add3_u32 v12, v12, v33, v32
	s_delay_alu instid0(VALU_DEP_1) | instskip(SKIP_2) | instid1(VALU_DEP_2)
	v_sub_nc_u32_e32 v32, v34, v12
	s_wait_alu 0xfffd
	v_sub_co_ci_u32_e64 v12, null, v34, v12, vcc_lo
	v_subrev_co_ci_u32_e64 v11, null, s61, v32, vcc_lo
	v_add_co_u32 v32, s0, v30, 2
	s_wait_alu 0xf1ff
	v_add_co_ci_u32_e64 v33, null, 0, v31, s0
	v_sub_co_u32 v35, s0, v2, s60
	s_wait_alu 0xf1ff
	v_subrev_co_ci_u32_e64 v11, null, 0, v11, s0
	s_delay_alu instid0(VALU_DEP_2) | instskip(SKIP_2) | instid1(VALU_DEP_3)
	v_cmp_le_u32_e32 vcc_lo, s60, v35
	s_wait_alu 0xfffd
	v_cndmask_b32_e64 v34, 0, -1, vcc_lo
	v_cmp_le_u32_e32 vcc_lo, s61, v11
	s_wait_alu 0xfffd
	v_cndmask_b32_e64 v35, 0, -1, vcc_lo
	;; [unrolled: 3-line block ×4, first 2 shown]
	v_cmp_eq_u32_e32 vcc_lo, s61, v11
	s_wait_alu 0xfffd
	v_cndmask_b32_e32 v11, v35, v34, vcc_lo
	v_add_co_u32 v34, vcc_lo, v30, 1
	s_wait_alu 0xfffd
	v_add_co_ci_u32_e64 v35, null, 0, v31, vcc_lo
	v_cmp_eq_u32_e32 vcc_lo, s61, v12
	v_xor_b32_e32 v12, s58, v19
	s_wait_alu 0xfffd
	v_cndmask_b32_e32 v2, v36, v2, vcc_lo
	v_cmp_ne_u32_e32 vcc_lo, 0, v11
	s_wait_alu 0xfffd
	v_cndmask_b32_e32 v11, v35, v33, vcc_lo
	s_delay_alu instid0(VALU_DEP_3) | instskip(SKIP_2) | instid1(VALU_DEP_2)
	v_cmp_ne_u32_e64 s0, 0, v2
	v_cndmask_b32_e32 v2, v34, v32, vcc_lo
	s_wait_alu 0xf1ff
	v_cndmask_b32_e64 v11, v31, v11, s0
	s_delay_alu instid0(VALU_DEP_2) | instskip(NEXT) | instid1(VALU_DEP_2)
	v_cndmask_b32_e64 v2, v30, v2, s0
	v_xor_b32_e32 v30, v11, v12
	s_delay_alu instid0(VALU_DEP_2) | instskip(NEXT) | instid1(VALU_DEP_1)
	v_xor_b32_e32 v2, v2, v12
	v_sub_co_u32 v11, vcc_lo, v2, v12
	s_wait_alu 0xfffd
	s_delay_alu instid0(VALU_DEP_3)
	v_sub_co_ci_u32_e64 v12, null, v30, v12, vcc_lo
                                        ; implicit-def: $vgpr30
.LBB55_41:                              ;   in Loop: Header=BB55_3 Depth=1
	s_wait_alu 0xfffe
	s_and_not1_saveexec_b32 s0, s57
	s_cbranch_execz .LBB55_43
; %bb.42:                               ;   in Loop: Header=BB55_3 Depth=1
	v_rcp_iflag_f32_e32 v2, v30
	s_sub_co_i32 s57, 0, s34
	s_delay_alu instid0(TRANS32_DEP_1) | instskip(NEXT) | instid1(VALU_DEP_1)
	v_mul_f32_e32 v2, 0x4f7ffffe, v2
	v_cvt_u32_f32_e32 v2, v2
	s_wait_alu 0xfffe
	s_delay_alu instid0(VALU_DEP_1) | instskip(NEXT) | instid1(VALU_DEP_1)
	v_mul_lo_u32 v11, s57, v2
	v_mul_hi_u32 v11, v2, v11
	s_delay_alu instid0(VALU_DEP_1) | instskip(NEXT) | instid1(VALU_DEP_1)
	v_add_nc_u32_e32 v2, v2, v11
	v_mul_hi_u32 v2, v20, v2
	s_delay_alu instid0(VALU_DEP_1) | instskip(SKIP_1) | instid1(VALU_DEP_2)
	v_mul_lo_u32 v11, v2, s34
	v_add_nc_u32_e32 v12, 1, v2
	v_sub_nc_u32_e32 v11, v20, v11
	s_delay_alu instid0(VALU_DEP_1) | instskip(SKIP_2) | instid1(VALU_DEP_2)
	v_subrev_nc_u32_e32 v30, s34, v11
	v_cmp_le_u32_e32 vcc_lo, s34, v11
	s_wait_alu 0xfffd
	v_dual_cndmask_b32 v11, v11, v30 :: v_dual_cndmask_b32 v2, v2, v12
	s_delay_alu instid0(VALU_DEP_1) | instskip(NEXT) | instid1(VALU_DEP_2)
	v_cmp_le_u32_e32 vcc_lo, s34, v11
	v_add_nc_u32_e32 v12, 1, v2
	s_wait_alu 0xfffd
	s_delay_alu instid0(VALU_DEP_1)
	v_dual_cndmask_b32 v11, v2, v12 :: v_dual_mov_b32 v12, v1
.LBB55_43:                              ;   in Loop: Header=BB55_3 Depth=1
	s_wait_alu 0xfffe
	s_or_b32 exec_lo, exec_lo, s0
	s_delay_alu instid0(VALU_DEP_1) | instskip(NEXT) | instid1(VALU_DEP_2)
	v_mul_lo_u32 v2, v12, s34
	v_mul_lo_u32 v32, v11, s35
	v_mad_co_u64_u32 v[30:31], null, v11, s34, 0
	v_mul_lo_u32 v33, v11, s9
	s_mov_b32 s0, exec_lo
	s_delay_alu instid0(VALU_DEP_2) | instskip(SKIP_1) | instid1(VALU_DEP_4)
	v_add3_u32 v2, v31, v32, v2
	v_mul_lo_u32 v32, v12, s8
	v_sub_co_u32 v12, vcc_lo, v9, v30
	s_wait_alu 0xfffd
	s_delay_alu instid0(VALU_DEP_3) | instskip(NEXT) | instid1(VALU_DEP_2)
	v_sub_co_ci_u32_e64 v2, null, v10, v2, vcc_lo
	v_add_co_u32 v30, vcc_lo, v3, v12
	v_mad_co_u64_u32 v[11:12], null, v11, s8, 0
	s_wait_alu 0xfffd
	s_delay_alu instid0(VALU_DEP_3) | instskip(NEXT) | instid1(VALU_DEP_3)
	v_add_co_ci_u32_e64 v2, null, v4, v2, vcc_lo
	v_mul_lo_u32 v34, v30, s11
	v_mad_co_u64_u32 v[30:31], null, v30, s10, 0
	s_delay_alu instid0(VALU_DEP_3) | instskip(SKIP_1) | instid1(VALU_DEP_1)
	v_mul_lo_u32 v2, v2, s10
	v_add3_u32 v12, v12, v33, v32
	v_lshlrev_b64_e32 v[11:12], 2, v[11:12]
	s_delay_alu instid0(VALU_DEP_3) | instskip(SKIP_1) | instid1(VALU_DEP_3)
	v_add3_u32 v31, v31, v34, v2
	v_or_b32_e32 v2, s39, v24
	v_add_co_u32 v11, vcc_lo, s30, v11
	s_delay_alu instid0(VALU_DEP_3) | instskip(SKIP_2) | instid1(VALU_DEP_2)
	v_lshlrev_b64_e32 v[30:31], 2, v[30:31]
	s_wait_alu 0xfffd
	v_add_co_ci_u32_e64 v12, null, s31, v12, vcc_lo
	v_add_co_u32 v11, vcc_lo, v11, v30
	s_wait_alu 0xfffd
	s_delay_alu instid0(VALU_DEP_2)
	v_add_co_ci_u32_e64 v12, null, v12, v31, vcc_lo
	global_store_b32 v[11:12], v18, off
                                        ; implicit-def: $vgpr11_vgpr12
	v_cmpx_ne_u64_e32 0, v[1:2]
	s_wait_alu 0xfffe
	s_xor_b32 s57, exec_lo, s0
	s_cbranch_execz .LBB55_45
; %bb.44:                               ;   in Loop: Header=BB55_3 Depth=1
	s_ashr_i32 s58, s39, 31
	v_add_co_u32 v2, vcc_lo, v23, v21
	s_wait_alu 0xfffe
	s_mov_b32 s59, s58
	s_wait_alu 0xfffd
	v_add_co_ci_u32_e64 v11, null, v24, v21, vcc_lo
	s_wait_alu 0xfffe
	s_add_nc_u64 s[60:61], s[38:39], s[58:59]
	v_xor_b32_e32 v2, v2, v21
	s_wait_alu 0xfffe
	s_xor_b64 s[60:61], s[60:61], s[58:59]
	v_xor_b32_e32 v32, v11, v21
	s_wait_alu 0xfffe
	s_cvt_f32_u32 s0, s60
	s_cvt_f32_u32 s59, s61
	s_sub_nc_u64 s[66:67], 0, s[60:61]
	s_wait_alu 0xfffe
	s_delay_alu instid0(SALU_CYCLE_1) | instskip(SKIP_1) | instid1(SALU_CYCLE_2)
	s_fmamk_f32 s0, s59, 0x4f800000, s0
	s_wait_alu 0xfffe
	v_s_rcp_f32 s0, s0
	s_delay_alu instid0(TRANS32_DEP_1) | instskip(SKIP_1) | instid1(SALU_CYCLE_2)
	s_mul_f32 s0, s0, 0x5f7ffffc
	s_wait_alu 0xfffe
	s_mul_f32 s59, s0, 0x2f800000
	s_wait_alu 0xfffe
	s_delay_alu instid0(SALU_CYCLE_2) | instskip(SKIP_1) | instid1(SALU_CYCLE_2)
	s_trunc_f32 s59, s59
	s_wait_alu 0xfffe
	s_fmamk_f32 s0, s59, 0xcf800000, s0
	s_cvt_u32_f32 s65, s59
	s_wait_alu 0xfffe
	s_delay_alu instid0(SALU_CYCLE_1) | instskip(NEXT) | instid1(SALU_CYCLE_3)
	s_cvt_u32_f32 s64, s0
	s_mul_u64 s[68:69], s[66:67], s[64:65]
	s_delay_alu instid0(SALU_CYCLE_1)
	s_mul_hi_u32 s71, s64, s69
	s_mul_i32 s70, s64, s69
	s_mul_hi_u32 s0, s64, s68
	s_mul_i32 s63, s65, s68
	s_wait_alu 0xfffe
	s_add_nc_u64 s[70:71], s[0:1], s[70:71]
	s_mul_hi_u32 s59, s65, s68
	s_mul_hi_u32 s72, s65, s69
	s_add_co_u32 s0, s70, s63
	s_wait_alu 0xfffe
	s_add_co_ci_u32 s0, s71, s59
	s_mul_i32 s68, s65, s69
	s_add_co_ci_u32 s69, s72, 0
	s_wait_alu 0xfffe
	s_add_nc_u64 s[68:69], s[0:1], s[68:69]
	s_delay_alu instid0(SALU_CYCLE_1) | instskip(SKIP_4) | instid1(SALU_CYCLE_1)
	s_add_co_u32 s64, s64, s68
	s_cselect_b32 s0, -1, 0
	s_wait_alu 0xfffe
	s_cmp_lg_u32 s0, 0
	s_add_co_ci_u32 s65, s65, s69
	s_mul_u64 s[66:67], s[66:67], s[64:65]
	s_delay_alu instid0(SALU_CYCLE_1)
	s_mul_hi_u32 s69, s64, s67
	s_mul_i32 s68, s64, s67
	s_mul_hi_u32 s0, s64, s66
	s_mul_i32 s63, s65, s66
	s_wait_alu 0xfffe
	s_add_nc_u64 s[68:69], s[0:1], s[68:69]
	s_mul_hi_u32 s59, s65, s66
	s_mul_hi_u32 s70, s65, s67
	s_add_co_u32 s0, s68, s63
	s_wait_alu 0xfffe
	s_add_co_ci_u32 s0, s69, s59
	s_mul_i32 s66, s65, s67
	s_add_co_ci_u32 s67, s70, 0
	s_wait_alu 0xfffe
	s_add_nc_u64 s[66:67], s[0:1], s[66:67]
	s_delay_alu instid0(SALU_CYCLE_1)
	s_add_co_u32 s0, s64, s66
	s_cselect_b32 s59, -1, 0
	s_wait_alu 0xfffe
	v_mul_hi_u32 v33, v2, s0
	s_cmp_lg_u32 s59, 0
	v_mad_co_u64_u32 v[23:24], null, v32, s0, 0
	s_add_co_ci_u32 s59, s65, s67
	s_wait_alu 0xfffe
	v_mad_co_u64_u32 v[11:12], null, v2, s59, 0
	v_mad_co_u64_u32 v[30:31], null, v32, s59, 0
	s_delay_alu instid0(VALU_DEP_2) | instskip(SKIP_1) | instid1(VALU_DEP_3)
	v_add_co_u32 v11, vcc_lo, v33, v11
	s_wait_alu 0xfffd
	v_add_co_ci_u32_e64 v12, null, 0, v12, vcc_lo
	s_delay_alu instid0(VALU_DEP_2) | instskip(SKIP_1) | instid1(VALU_DEP_2)
	v_add_co_u32 v11, vcc_lo, v11, v23
	s_wait_alu 0xfffd
	v_add_co_ci_u32_e32 v11, vcc_lo, v12, v24, vcc_lo
	s_wait_alu 0xfffd
	v_add_co_ci_u32_e32 v12, vcc_lo, 0, v31, vcc_lo
	s_delay_alu instid0(VALU_DEP_2) | instskip(SKIP_1) | instid1(VALU_DEP_2)
	v_add_co_u32 v23, vcc_lo, v11, v30
	s_wait_alu 0xfffd
	v_add_co_ci_u32_e64 v24, null, 0, v12, vcc_lo
	s_delay_alu instid0(VALU_DEP_2) | instskip(SKIP_1) | instid1(VALU_DEP_3)
	v_mul_lo_u32 v30, s61, v23
	v_mad_co_u64_u32 v[11:12], null, s60, v23, 0
	v_mul_lo_u32 v31, s60, v24
	s_delay_alu instid0(VALU_DEP_2) | instskip(NEXT) | instid1(VALU_DEP_2)
	v_sub_co_u32 v2, vcc_lo, v2, v11
	v_add3_u32 v12, v12, v31, v30
	s_delay_alu instid0(VALU_DEP_1) | instskip(SKIP_2) | instid1(VALU_DEP_2)
	v_sub_nc_u32_e32 v30, v32, v12
	s_wait_alu 0xfffd
	v_sub_co_ci_u32_e64 v12, null, v32, v12, vcc_lo
	v_subrev_co_ci_u32_e64 v11, null, s61, v30, vcc_lo
	v_add_co_u32 v30, s0, v23, 2
	s_wait_alu 0xf1ff
	v_add_co_ci_u32_e64 v31, null, 0, v24, s0
	v_sub_co_u32 v33, s0, v2, s60
	s_wait_alu 0xf1ff
	v_subrev_co_ci_u32_e64 v11, null, 0, v11, s0
	s_delay_alu instid0(VALU_DEP_2) | instskip(SKIP_2) | instid1(VALU_DEP_3)
	v_cmp_le_u32_e32 vcc_lo, s60, v33
	s_wait_alu 0xfffd
	v_cndmask_b32_e64 v32, 0, -1, vcc_lo
	v_cmp_le_u32_e32 vcc_lo, s61, v11
	s_wait_alu 0xfffd
	v_cndmask_b32_e64 v33, 0, -1, vcc_lo
	;; [unrolled: 3-line block ×4, first 2 shown]
	v_cmp_eq_u32_e32 vcc_lo, s61, v11
	s_wait_alu 0xfffd
	v_cndmask_b32_e32 v11, v33, v32, vcc_lo
	v_add_co_u32 v32, vcc_lo, v23, 1
	s_wait_alu 0xfffd
	v_add_co_ci_u32_e64 v33, null, 0, v24, vcc_lo
	v_cmp_eq_u32_e32 vcc_lo, s61, v12
	v_xor_b32_e32 v12, s58, v21
	s_wait_alu 0xfffd
	v_cndmask_b32_e32 v2, v34, v2, vcc_lo
	v_cmp_ne_u32_e32 vcc_lo, 0, v11
	s_delay_alu instid0(VALU_DEP_2) | instskip(SKIP_3) | instid1(VALU_DEP_1)
	v_cmp_ne_u32_e64 s0, 0, v2
	s_wait_alu 0xfffd
	v_dual_cndmask_b32 v11, v33, v31 :: v_dual_cndmask_b32 v2, v32, v30
	s_wait_alu 0xf1ff
	v_cndmask_b32_e64 v11, v24, v11, s0
	s_delay_alu instid0(VALU_DEP_2) | instskip(NEXT) | instid1(VALU_DEP_2)
	v_cndmask_b32_e64 v2, v23, v2, s0
                                        ; implicit-def: $vgpr23
	v_xor_b32_e32 v21, v11, v12
	s_delay_alu instid0(VALU_DEP_2) | instskip(NEXT) | instid1(VALU_DEP_1)
	v_xor_b32_e32 v2, v2, v12
	v_sub_co_u32 v11, vcc_lo, v2, v12
	s_wait_alu 0xfffd
	s_delay_alu instid0(VALU_DEP_3)
	v_sub_co_ci_u32_e64 v12, null, v21, v12, vcc_lo
.LBB55_45:                              ;   in Loop: Header=BB55_3 Depth=1
	s_wait_alu 0xfffe
	s_or_saveexec_b32 s0, s57
	v_cvt_f32_u32_e32 v21, s38
	s_wait_alu 0xfffe
	s_xor_b32 exec_lo, exec_lo, s0
	s_cbranch_execz .LBB55_47
; %bb.46:                               ;   in Loop: Header=BB55_3 Depth=1
	s_delay_alu instid0(VALU_DEP_1) | instskip(SKIP_1) | instid1(TRANS32_DEP_1)
	v_rcp_iflag_f32_e32 v2, v21
	s_sub_co_i32 s57, 0, s38
	v_mul_f32_e32 v2, 0x4f7ffffe, v2
	s_delay_alu instid0(VALU_DEP_1) | instskip(SKIP_1) | instid1(VALU_DEP_1)
	v_cvt_u32_f32_e32 v2, v2
	s_wait_alu 0xfffe
	v_mul_lo_u32 v11, s57, v2
	s_delay_alu instid0(VALU_DEP_1) | instskip(NEXT) | instid1(VALU_DEP_1)
	v_mul_hi_u32 v11, v2, v11
	v_add_nc_u32_e32 v2, v2, v11
	s_delay_alu instid0(VALU_DEP_1) | instskip(NEXT) | instid1(VALU_DEP_1)
	v_mul_hi_u32 v2, v23, v2
	v_mul_lo_u32 v11, v2, s38
	v_add_nc_u32_e32 v12, 1, v2
	s_delay_alu instid0(VALU_DEP_2) | instskip(NEXT) | instid1(VALU_DEP_1)
	v_sub_nc_u32_e32 v11, v23, v11
	v_subrev_nc_u32_e32 v23, s38, v11
	v_cmp_le_u32_e32 vcc_lo, s38, v11
	s_wait_alu 0xfffd
	s_delay_alu instid0(VALU_DEP_2) | instskip(NEXT) | instid1(VALU_DEP_1)
	v_dual_cndmask_b32 v11, v11, v23 :: v_dual_cndmask_b32 v2, v2, v12
	v_cmp_le_u32_e32 vcc_lo, s38, v11
	s_delay_alu instid0(VALU_DEP_2) | instskip(SKIP_1) | instid1(VALU_DEP_1)
	v_add_nc_u32_e32 v12, 1, v2
	s_wait_alu 0xfffd
	v_dual_cndmask_b32 v11, v2, v12 :: v_dual_mov_b32 v12, v1
.LBB55_47:                              ;   in Loop: Header=BB55_3 Depth=1
	s_or_b32 exec_lo, exec_lo, s0
	s_delay_alu instid0(VALU_DEP_1) | instskip(NEXT) | instid1(VALU_DEP_2)
	v_mul_lo_u32 v2, v12, s38
	v_mul_lo_u32 v30, v11, s39
	v_mad_co_u64_u32 v[23:24], null, v11, s38, 0
	s_mov_b32 s0, exec_lo
	v_add3_u32 v2, v24, v30, v2
	v_sub_co_u32 v7, vcc_lo, v7, v23
	v_mul_lo_u32 v24, v12, s12
	v_mul_lo_u32 v23, v11, s13
	s_wait_alu 0xfffd
	v_sub_co_ci_u32_e64 v2, null, v8, v2, vcc_lo
	v_add_co_u32 v12, vcc_lo, v3, v7
	v_mad_co_u64_u32 v[7:8], null, v11, s12, 0
	s_wait_alu 0xfffd
	s_delay_alu instid0(VALU_DEP_3) | instskip(NEXT) | instid1(VALU_DEP_3)
	v_add_co_ci_u32_e64 v2, null, v4, v2, vcc_lo
	v_mul_lo_u32 v30, v12, s15
	v_mad_co_u64_u32 v[11:12], null, v12, s14, 0
	s_delay_alu instid0(VALU_DEP_3) | instskip(SKIP_1) | instid1(VALU_DEP_1)
	v_mul_lo_u32 v2, v2, s14
	v_add3_u32 v8, v8, v23, v24
	v_lshlrev_b64_e32 v[7:8], 2, v[7:8]
	s_delay_alu instid0(VALU_DEP_3) | instskip(SKIP_1) | instid1(VALU_DEP_3)
	v_add3_u32 v12, v12, v30, v2
	v_or_b32_e32 v2, s39, v26
	v_add_co_u32 v7, vcc_lo, s36, v7
	s_delay_alu instid0(VALU_DEP_3) | instskip(SKIP_2) | instid1(VALU_DEP_2)
	v_lshlrev_b64_e32 v[11:12], 2, v[11:12]
	s_wait_alu 0xfffd
	v_add_co_ci_u32_e64 v8, null, s37, v8, vcc_lo
	v_add_co_u32 v7, vcc_lo, v7, v11
	s_wait_alu 0xfffd
	s_delay_alu instid0(VALU_DEP_2)
	v_add_co_ci_u32_e64 v8, null, v8, v12, vcc_lo
	global_store_b32 v[7:8], v28, off
                                        ; implicit-def: $vgpr7_vgpr8
	v_cmpx_ne_u64_e32 0, v[1:2]
	s_wait_alu 0xfffe
	s_xor_b32 s57, exec_lo, s0
	s_cbranch_execz .LBB55_49
; %bb.48:                               ;   in Loop: Header=BB55_3 Depth=1
	s_ashr_i32 s58, s39, 31
	v_add_co_u32 v2, vcc_lo, v25, v22
	s_wait_alu 0xfffe
	s_mov_b32 s59, s58
	s_wait_alu 0xfffd
	v_add_co_ci_u32_e64 v7, null, v26, v22, vcc_lo
	s_wait_alu 0xfffe
	s_add_nc_u64 s[60:61], s[38:39], s[58:59]
	v_xor_b32_e32 v2, v2, v22
	s_wait_alu 0xfffe
	s_xor_b64 s[60:61], s[60:61], s[58:59]
	v_xor_b32_e32 v25, v7, v22
	s_wait_alu 0xfffe
	s_cvt_f32_u32 s0, s60
	s_cvt_f32_u32 s59, s61
	s_sub_nc_u64 s[66:67], 0, s[60:61]
	s_wait_alu 0xfffe
	s_delay_alu instid0(SALU_CYCLE_1) | instskip(SKIP_1) | instid1(SALU_CYCLE_2)
	s_fmamk_f32 s0, s59, 0x4f800000, s0
	s_wait_alu 0xfffe
	v_s_rcp_f32 s0, s0
	s_delay_alu instid0(TRANS32_DEP_1) | instskip(SKIP_1) | instid1(SALU_CYCLE_2)
	s_mul_f32 s0, s0, 0x5f7ffffc
	s_wait_alu 0xfffe
	s_mul_f32 s59, s0, 0x2f800000
	s_wait_alu 0xfffe
	s_delay_alu instid0(SALU_CYCLE_2) | instskip(SKIP_1) | instid1(SALU_CYCLE_2)
	s_trunc_f32 s59, s59
	s_wait_alu 0xfffe
	s_fmamk_f32 s0, s59, 0xcf800000, s0
	s_cvt_u32_f32 s65, s59
	s_wait_alu 0xfffe
	s_delay_alu instid0(SALU_CYCLE_1) | instskip(NEXT) | instid1(SALU_CYCLE_3)
	s_cvt_u32_f32 s64, s0
	s_mul_u64 s[68:69], s[66:67], s[64:65]
	s_delay_alu instid0(SALU_CYCLE_1)
	s_mul_hi_u32 s71, s64, s69
	s_mul_i32 s70, s64, s69
	s_mul_hi_u32 s0, s64, s68
	s_mul_i32 s63, s65, s68
	s_wait_alu 0xfffe
	s_add_nc_u64 s[70:71], s[0:1], s[70:71]
	s_mul_hi_u32 s59, s65, s68
	s_mul_hi_u32 s72, s65, s69
	s_add_co_u32 s0, s70, s63
	s_wait_alu 0xfffe
	s_add_co_ci_u32 s0, s71, s59
	s_mul_i32 s68, s65, s69
	s_add_co_ci_u32 s69, s72, 0
	s_wait_alu 0xfffe
	s_add_nc_u64 s[68:69], s[0:1], s[68:69]
	s_delay_alu instid0(SALU_CYCLE_1) | instskip(SKIP_4) | instid1(SALU_CYCLE_1)
	s_add_co_u32 s64, s64, s68
	s_cselect_b32 s0, -1, 0
	s_wait_alu 0xfffe
	s_cmp_lg_u32 s0, 0
	s_add_co_ci_u32 s65, s65, s69
	s_mul_u64 s[66:67], s[66:67], s[64:65]
	s_delay_alu instid0(SALU_CYCLE_1)
	s_mul_hi_u32 s69, s64, s67
	s_mul_i32 s68, s64, s67
	s_mul_hi_u32 s0, s64, s66
	s_mul_i32 s63, s65, s66
	s_wait_alu 0xfffe
	s_add_nc_u64 s[68:69], s[0:1], s[68:69]
	s_mul_hi_u32 s59, s65, s66
	s_mul_hi_u32 s70, s65, s67
	s_add_co_u32 s0, s68, s63
	s_wait_alu 0xfffe
	s_add_co_ci_u32 s0, s69, s59
	s_mul_i32 s66, s65, s67
	s_add_co_ci_u32 s67, s70, 0
	s_wait_alu 0xfffe
	s_add_nc_u64 s[66:67], s[0:1], s[66:67]
	s_delay_alu instid0(SALU_CYCLE_1)
	s_add_co_u32 s0, s64, s66
	s_cselect_b32 s59, -1, 0
	s_wait_alu 0xfffe
	v_mul_hi_u32 v26, v2, s0
	s_cmp_lg_u32 s59, 0
	v_mad_co_u64_u32 v[11:12], null, v25, s0, 0
	s_add_co_ci_u32 s59, s65, s67
	s_wait_alu 0xfffe
	v_mad_co_u64_u32 v[7:8], null, v2, s59, 0
	v_mad_co_u64_u32 v[23:24], null, v25, s59, 0
	s_delay_alu instid0(VALU_DEP_2) | instskip(SKIP_1) | instid1(VALU_DEP_3)
	v_add_co_u32 v7, vcc_lo, v26, v7
	s_wait_alu 0xfffd
	v_add_co_ci_u32_e64 v8, null, 0, v8, vcc_lo
	s_delay_alu instid0(VALU_DEP_2) | instskip(SKIP_1) | instid1(VALU_DEP_2)
	v_add_co_u32 v7, vcc_lo, v7, v11
	s_wait_alu 0xfffd
	v_add_co_ci_u32_e32 v7, vcc_lo, v8, v12, vcc_lo
	s_wait_alu 0xfffd
	v_add_co_ci_u32_e32 v8, vcc_lo, 0, v24, vcc_lo
	s_delay_alu instid0(VALU_DEP_2) | instskip(SKIP_1) | instid1(VALU_DEP_2)
	v_add_co_u32 v11, vcc_lo, v7, v23
	s_wait_alu 0xfffd
	v_add_co_ci_u32_e64 v12, null, 0, v8, vcc_lo
	s_delay_alu instid0(VALU_DEP_2) | instskip(SKIP_1) | instid1(VALU_DEP_3)
	v_mul_lo_u32 v23, s61, v11
	v_mad_co_u64_u32 v[7:8], null, s60, v11, 0
	v_mul_lo_u32 v24, s60, v12
	s_delay_alu instid0(VALU_DEP_2) | instskip(NEXT) | instid1(VALU_DEP_2)
	v_sub_co_u32 v2, vcc_lo, v2, v7
	v_add3_u32 v8, v8, v24, v23
	s_delay_alu instid0(VALU_DEP_1) | instskip(SKIP_2) | instid1(VALU_DEP_2)
	v_sub_nc_u32_e32 v23, v25, v8
	s_wait_alu 0xfffd
	v_sub_co_ci_u32_e64 v8, null, v25, v8, vcc_lo
	v_subrev_co_ci_u32_e64 v7, null, s61, v23, vcc_lo
	v_add_co_u32 v23, s0, v11, 2
	s_wait_alu 0xf1ff
	v_add_co_ci_u32_e64 v24, null, 0, v12, s0
	v_sub_co_u32 v26, s0, v2, s60
	s_wait_alu 0xf1ff
	v_subrev_co_ci_u32_e64 v7, null, 0, v7, s0
	s_delay_alu instid0(VALU_DEP_2) | instskip(SKIP_2) | instid1(VALU_DEP_3)
	v_cmp_le_u32_e32 vcc_lo, s60, v26
	s_wait_alu 0xfffd
	v_cndmask_b32_e64 v25, 0, -1, vcc_lo
	v_cmp_le_u32_e32 vcc_lo, s61, v7
	s_wait_alu 0xfffd
	v_cndmask_b32_e64 v26, 0, -1, vcc_lo
	;; [unrolled: 3-line block ×4, first 2 shown]
	v_cmp_eq_u32_e32 vcc_lo, s61, v7
	s_wait_alu 0xfffd
	v_cndmask_b32_e32 v7, v26, v25, vcc_lo
	v_add_co_u32 v25, vcc_lo, v11, 1
	s_wait_alu 0xfffd
	v_add_co_ci_u32_e64 v26, null, 0, v12, vcc_lo
	v_cmp_eq_u32_e32 vcc_lo, s61, v8
	v_xor_b32_e32 v8, s58, v22
	s_wait_alu 0xfffd
	v_cndmask_b32_e32 v2, v28, v2, vcc_lo
	v_cmp_ne_u32_e32 vcc_lo, 0, v7
	s_delay_alu instid0(VALU_DEP_2) | instskip(SKIP_3) | instid1(VALU_DEP_1)
	v_cmp_ne_u32_e64 s0, 0, v2
	s_wait_alu 0xfffd
	v_dual_cndmask_b32 v7, v26, v24 :: v_dual_cndmask_b32 v2, v25, v23
                                        ; implicit-def: $vgpr25
	s_wait_alu 0xf1ff
	v_cndmask_b32_e64 v7, v12, v7, s0
	s_delay_alu instid0(VALU_DEP_2) | instskip(NEXT) | instid1(VALU_DEP_2)
	v_cndmask_b32_e64 v2, v11, v2, s0
	v_xor_b32_e32 v11, v7, v8
	s_delay_alu instid0(VALU_DEP_2) | instskip(NEXT) | instid1(VALU_DEP_1)
	v_xor_b32_e32 v2, v2, v8
	v_sub_co_u32 v7, vcc_lo, v2, v8
	s_wait_alu 0xfffd
	s_delay_alu instid0(VALU_DEP_3)
	v_sub_co_ci_u32_e64 v8, null, v11, v8, vcc_lo
.LBB55_49:                              ;   in Loop: Header=BB55_3 Depth=1
	s_wait_alu 0xfffe
	s_and_not1_saveexec_b32 s0, s57
	s_cbranch_execz .LBB55_51
; %bb.50:                               ;   in Loop: Header=BB55_3 Depth=1
	v_rcp_iflag_f32_e32 v2, v21
	s_sub_co_i32 s57, 0, s38
	s_delay_alu instid0(TRANS32_DEP_1) | instskip(NEXT) | instid1(VALU_DEP_1)
	v_mul_f32_e32 v2, 0x4f7ffffe, v2
	v_cvt_u32_f32_e32 v2, v2
	s_wait_alu 0xfffe
	s_delay_alu instid0(VALU_DEP_1) | instskip(NEXT) | instid1(VALU_DEP_1)
	v_mul_lo_u32 v7, s57, v2
	v_mul_hi_u32 v7, v2, v7
	s_delay_alu instid0(VALU_DEP_1) | instskip(NEXT) | instid1(VALU_DEP_1)
	v_add_nc_u32_e32 v2, v2, v7
	v_mul_hi_u32 v2, v25, v2
	s_delay_alu instid0(VALU_DEP_1) | instskip(SKIP_1) | instid1(VALU_DEP_2)
	v_mul_lo_u32 v7, v2, s38
	v_add_nc_u32_e32 v8, 1, v2
	v_sub_nc_u32_e32 v7, v25, v7
	s_delay_alu instid0(VALU_DEP_1) | instskip(SKIP_2) | instid1(VALU_DEP_2)
	v_subrev_nc_u32_e32 v11, s38, v7
	v_cmp_le_u32_e32 vcc_lo, s38, v7
	s_wait_alu 0xfffd
	v_dual_cndmask_b32 v7, v7, v11 :: v_dual_cndmask_b32 v2, v2, v8
	s_delay_alu instid0(VALU_DEP_1) | instskip(NEXT) | instid1(VALU_DEP_2)
	v_cmp_le_u32_e32 vcc_lo, s38, v7
	v_add_nc_u32_e32 v8, 1, v2
	s_wait_alu 0xfffd
	s_delay_alu instid0(VALU_DEP_1)
	v_dual_cndmask_b32 v7, v2, v8 :: v_dual_mov_b32 v8, v1
.LBB55_51:                              ;   in Loop: Header=BB55_3 Depth=1
	s_wait_alu 0xfffe
	s_or_b32 exec_lo, exec_lo, s0
	s_delay_alu instid0(VALU_DEP_1) | instskip(NEXT) | instid1(VALU_DEP_2)
	v_mul_lo_u32 v2, v8, s38
	v_mul_lo_u32 v22, v7, s39
	v_mad_co_u64_u32 v[11:12], null, v7, s38, 0
	s_mov_b32 s0, exec_lo
	v_add3_u32 v2, v12, v22, v2
	v_sub_co_u32 v5, vcc_lo, v5, v11
	v_mul_lo_u32 v12, v8, s12
	v_mul_lo_u32 v11, v7, s13
	s_wait_alu 0xfffd
	v_sub_co_ci_u32_e64 v2, null, v6, v2, vcc_lo
	v_add_co_u32 v8, vcc_lo, v3, v5
	v_mad_co_u64_u32 v[5:6], null, v7, s12, 0
	s_wait_alu 0xfffd
	s_delay_alu instid0(VALU_DEP_3) | instskip(NEXT) | instid1(VALU_DEP_3)
	v_add_co_ci_u32_e64 v2, null, v4, v2, vcc_lo
	v_mul_lo_u32 v22, v8, s15
	v_mad_co_u64_u32 v[7:8], null, v8, s14, 0
	s_delay_alu instid0(VALU_DEP_3) | instskip(SKIP_1) | instid1(VALU_DEP_1)
	v_mul_lo_u32 v2, v2, s14
	v_add3_u32 v6, v6, v11, v12
	v_lshlrev_b64_e32 v[5:6], 2, v[5:6]
	s_delay_alu instid0(VALU_DEP_3) | instskip(SKIP_1) | instid1(VALU_DEP_3)
	v_add3_u32 v8, v8, v22, v2
	v_or_b32_e32 v2, s39, v27
	v_add_co_u32 v5, vcc_lo, s36, v5
	s_delay_alu instid0(VALU_DEP_3) | instskip(SKIP_2) | instid1(VALU_DEP_2)
	v_lshlrev_b64_e32 v[7:8], 2, v[7:8]
	s_wait_alu 0xfffd
	v_add_co_ci_u32_e64 v6, null, s37, v6, vcc_lo
	v_add_co_u32 v5, vcc_lo, v5, v7
	s_wait_alu 0xfffd
	s_delay_alu instid0(VALU_DEP_2)
	v_add_co_ci_u32_e64 v6, null, v6, v8, vcc_lo
	global_store_b32 v[5:6], v29, off
                                        ; implicit-def: $vgpr5_vgpr6
	v_cmpx_ne_u64_e32 0, v[1:2]
	s_wait_alu 0xfffe
	s_xor_b32 s57, exec_lo, s0
	s_cbranch_execz .LBB55_53
; %bb.52:                               ;   in Loop: Header=BB55_3 Depth=1
	s_ashr_i32 s58, s39, 31
	v_add_co_u32 v2, vcc_lo, v20, v19
	s_wait_alu 0xfffe
	s_mov_b32 s59, s58
	s_wait_alu 0xfffd
	v_add_co_ci_u32_e64 v5, null, v27, v19, vcc_lo
	s_wait_alu 0xfffe
	s_add_nc_u64 s[60:61], s[38:39], s[58:59]
	v_xor_b32_e32 v2, v2, v19
	s_wait_alu 0xfffe
	s_xor_b64 s[60:61], s[60:61], s[58:59]
	v_xor_b32_e32 v20, v5, v19
	s_wait_alu 0xfffe
	s_cvt_f32_u32 s0, s60
	s_cvt_f32_u32 s59, s61
	s_sub_nc_u64 s[66:67], 0, s[60:61]
	s_wait_alu 0xfffe
	s_delay_alu instid0(SALU_CYCLE_1) | instskip(SKIP_1) | instid1(SALU_CYCLE_2)
	s_fmamk_f32 s0, s59, 0x4f800000, s0
	s_wait_alu 0xfffe
	v_s_rcp_f32 s0, s0
	s_delay_alu instid0(TRANS32_DEP_1) | instskip(SKIP_1) | instid1(SALU_CYCLE_2)
	s_mul_f32 s0, s0, 0x5f7ffffc
	s_wait_alu 0xfffe
	s_mul_f32 s59, s0, 0x2f800000
	s_wait_alu 0xfffe
	s_delay_alu instid0(SALU_CYCLE_2) | instskip(SKIP_1) | instid1(SALU_CYCLE_2)
	s_trunc_f32 s59, s59
	s_wait_alu 0xfffe
	s_fmamk_f32 s0, s59, 0xcf800000, s0
	s_cvt_u32_f32 s65, s59
	s_wait_alu 0xfffe
	s_delay_alu instid0(SALU_CYCLE_1) | instskip(NEXT) | instid1(SALU_CYCLE_3)
	s_cvt_u32_f32 s64, s0
	s_mul_u64 s[68:69], s[66:67], s[64:65]
	s_delay_alu instid0(SALU_CYCLE_1)
	s_mul_hi_u32 s71, s64, s69
	s_mul_i32 s70, s64, s69
	s_mul_hi_u32 s0, s64, s68
	s_mul_i32 s63, s65, s68
	s_wait_alu 0xfffe
	s_add_nc_u64 s[70:71], s[0:1], s[70:71]
	s_mul_hi_u32 s59, s65, s68
	s_mul_hi_u32 s72, s65, s69
	s_add_co_u32 s0, s70, s63
	s_wait_alu 0xfffe
	s_add_co_ci_u32 s0, s71, s59
	s_mul_i32 s68, s65, s69
	s_add_co_ci_u32 s69, s72, 0
	s_wait_alu 0xfffe
	s_add_nc_u64 s[68:69], s[0:1], s[68:69]
	s_delay_alu instid0(SALU_CYCLE_1) | instskip(SKIP_4) | instid1(SALU_CYCLE_1)
	s_add_co_u32 s64, s64, s68
	s_cselect_b32 s0, -1, 0
	s_wait_alu 0xfffe
	s_cmp_lg_u32 s0, 0
	s_add_co_ci_u32 s65, s65, s69
	s_mul_u64 s[66:67], s[66:67], s[64:65]
	s_delay_alu instid0(SALU_CYCLE_1)
	s_mul_hi_u32 s69, s64, s67
	s_mul_i32 s68, s64, s67
	s_mul_hi_u32 s0, s64, s66
	s_mul_i32 s63, s65, s66
	s_wait_alu 0xfffe
	s_add_nc_u64 s[68:69], s[0:1], s[68:69]
	s_mul_hi_u32 s59, s65, s66
	s_mul_hi_u32 s70, s65, s67
	s_add_co_u32 s0, s68, s63
	s_wait_alu 0xfffe
	s_add_co_ci_u32 s0, s69, s59
	s_mul_i32 s66, s65, s67
	s_add_co_ci_u32 s67, s70, 0
	s_wait_alu 0xfffe
	s_add_nc_u64 s[66:67], s[0:1], s[66:67]
	s_delay_alu instid0(SALU_CYCLE_1)
	s_add_co_u32 s0, s64, s66
	s_cselect_b32 s59, -1, 0
	s_wait_alu 0xfffe
	v_mul_hi_u32 v21, v2, s0
	s_cmp_lg_u32 s59, 0
	v_mad_co_u64_u32 v[7:8], null, v20, s0, 0
	s_add_co_ci_u32 s59, s65, s67
	s_wait_alu 0xfffe
	v_mad_co_u64_u32 v[5:6], null, v2, s59, 0
	v_mad_co_u64_u32 v[11:12], null, v20, s59, 0
	s_delay_alu instid0(VALU_DEP_2) | instskip(SKIP_1) | instid1(VALU_DEP_3)
	v_add_co_u32 v5, vcc_lo, v21, v5
	s_wait_alu 0xfffd
	v_add_co_ci_u32_e64 v6, null, 0, v6, vcc_lo
	s_delay_alu instid0(VALU_DEP_2) | instskip(SKIP_1) | instid1(VALU_DEP_2)
	v_add_co_u32 v5, vcc_lo, v5, v7
	s_wait_alu 0xfffd
	v_add_co_ci_u32_e32 v5, vcc_lo, v6, v8, vcc_lo
	s_wait_alu 0xfffd
	v_add_co_ci_u32_e32 v6, vcc_lo, 0, v12, vcc_lo
	s_delay_alu instid0(VALU_DEP_2) | instskip(SKIP_1) | instid1(VALU_DEP_2)
	v_add_co_u32 v7, vcc_lo, v5, v11
	s_wait_alu 0xfffd
	v_add_co_ci_u32_e64 v8, null, 0, v6, vcc_lo
	s_delay_alu instid0(VALU_DEP_2) | instskip(SKIP_1) | instid1(VALU_DEP_3)
	v_mul_lo_u32 v11, s61, v7
	v_mad_co_u64_u32 v[5:6], null, s60, v7, 0
	v_mul_lo_u32 v12, s60, v8
	s_delay_alu instid0(VALU_DEP_2) | instskip(NEXT) | instid1(VALU_DEP_2)
	v_sub_co_u32 v2, vcc_lo, v2, v5
	v_add3_u32 v6, v6, v12, v11
	s_delay_alu instid0(VALU_DEP_1) | instskip(SKIP_2) | instid1(VALU_DEP_2)
	v_sub_nc_u32_e32 v11, v20, v6
	s_wait_alu 0xfffd
	v_sub_co_ci_u32_e64 v6, null, v20, v6, vcc_lo
	v_subrev_co_ci_u32_e64 v5, null, s61, v11, vcc_lo
	v_add_co_u32 v11, s0, v7, 2
	s_wait_alu 0xf1ff
	v_add_co_ci_u32_e64 v12, null, 0, v8, s0
	v_sub_co_u32 v21, s0, v2, s60
	s_wait_alu 0xf1ff
	v_subrev_co_ci_u32_e64 v5, null, 0, v5, s0
	s_delay_alu instid0(VALU_DEP_2) | instskip(SKIP_2) | instid1(VALU_DEP_3)
	v_cmp_le_u32_e32 vcc_lo, s60, v21
	s_wait_alu 0xfffd
	v_cndmask_b32_e64 v20, 0, -1, vcc_lo
	v_cmp_le_u32_e32 vcc_lo, s61, v5
	s_wait_alu 0xfffd
	v_cndmask_b32_e64 v21, 0, -1, vcc_lo
	;; [unrolled: 3-line block ×4, first 2 shown]
	v_cmp_eq_u32_e32 vcc_lo, s61, v5
	s_wait_alu 0xfffd
	v_cndmask_b32_e32 v5, v21, v20, vcc_lo
	v_add_co_u32 v20, vcc_lo, v7, 1
	s_wait_alu 0xfffd
	v_add_co_ci_u32_e64 v21, null, 0, v8, vcc_lo
	v_cmp_eq_u32_e32 vcc_lo, s61, v6
	v_xor_b32_e32 v6, s58, v19
	s_wait_alu 0xfffd
	v_cndmask_b32_e32 v2, v22, v2, vcc_lo
	v_cmp_ne_u32_e32 vcc_lo, 0, v5
	s_delay_alu instid0(VALU_DEP_2) | instskip(SKIP_3) | instid1(VALU_DEP_1)
	v_cmp_ne_u32_e64 s0, 0, v2
	s_wait_alu 0xfffd
	v_dual_cndmask_b32 v5, v21, v12 :: v_dual_cndmask_b32 v2, v20, v11
                                        ; implicit-def: $vgpr21
                                        ; implicit-def: $vgpr20
	s_wait_alu 0xf1ff
	v_cndmask_b32_e64 v5, v8, v5, s0
	s_delay_alu instid0(VALU_DEP_2) | instskip(NEXT) | instid1(VALU_DEP_2)
	v_cndmask_b32_e64 v2, v7, v2, s0
	v_xor_b32_e32 v7, v5, v6
	s_delay_alu instid0(VALU_DEP_2) | instskip(NEXT) | instid1(VALU_DEP_1)
	v_xor_b32_e32 v2, v2, v6
	v_sub_co_u32 v5, vcc_lo, v2, v6
	s_wait_alu 0xfffd
	s_delay_alu instid0(VALU_DEP_3)
	v_sub_co_ci_u32_e64 v6, null, v7, v6, vcc_lo
.LBB55_53:                              ;   in Loop: Header=BB55_3 Depth=1
	s_wait_alu 0xfffe
	s_and_not1_saveexec_b32 s0, s57
	s_cbranch_execz .LBB55_55
; %bb.54:                               ;   in Loop: Header=BB55_3 Depth=1
	v_rcp_iflag_f32_e32 v2, v21
	s_sub_co_i32 s57, 0, s38
	s_delay_alu instid0(TRANS32_DEP_1) | instskip(NEXT) | instid1(VALU_DEP_1)
	v_mul_f32_e32 v2, 0x4f7ffffe, v2
	v_cvt_u32_f32_e32 v2, v2
	s_wait_alu 0xfffe
	s_delay_alu instid0(VALU_DEP_1) | instskip(NEXT) | instid1(VALU_DEP_1)
	v_mul_lo_u32 v5, s57, v2
	v_mul_hi_u32 v5, v2, v5
	s_delay_alu instid0(VALU_DEP_1) | instskip(NEXT) | instid1(VALU_DEP_1)
	v_add_nc_u32_e32 v2, v2, v5
	v_mul_hi_u32 v2, v20, v2
	s_delay_alu instid0(VALU_DEP_1) | instskip(SKIP_1) | instid1(VALU_DEP_2)
	v_mul_lo_u32 v5, v2, s38
	v_add_nc_u32_e32 v6, 1, v2
	v_sub_nc_u32_e32 v5, v20, v5
	s_delay_alu instid0(VALU_DEP_1) | instskip(SKIP_2) | instid1(VALU_DEP_2)
	v_subrev_nc_u32_e32 v7, s38, v5
	v_cmp_le_u32_e32 vcc_lo, s38, v5
	s_wait_alu 0xfffd
	v_dual_cndmask_b32 v5, v5, v7 :: v_dual_cndmask_b32 v2, v2, v6
	s_delay_alu instid0(VALU_DEP_1) | instskip(NEXT) | instid1(VALU_DEP_2)
	v_cmp_le_u32_e32 vcc_lo, s38, v5
	v_add_nc_u32_e32 v6, 1, v2
	s_wait_alu 0xfffd
	s_delay_alu instid0(VALU_DEP_1)
	v_dual_cndmask_b32 v5, v2, v6 :: v_dual_mov_b32 v6, v1
.LBB55_55:                              ;   in Loop: Header=BB55_3 Depth=1
	s_wait_alu 0xfffe
	s_or_b32 exec_lo, exec_lo, s0
	s_delay_alu instid0(VALU_DEP_1) | instskip(NEXT) | instid1(VALU_DEP_2)
	v_mul_lo_u32 v2, v6, s38
	v_mul_lo_u32 v11, v5, s39
	v_mad_co_u64_u32 v[7:8], null, v5, s38, 0
	s_mov_b32 s0, exec_lo
	v_add3_u32 v2, v8, v11, v2
	v_mul_lo_u32 v11, v6, s12
	v_sub_co_u32 v6, vcc_lo, v9, v7
	v_mul_lo_u32 v9, v5, s13
	s_wait_alu 0xfffd
	v_sub_co_ci_u32_e64 v2, null, v10, v2, vcc_lo
	s_delay_alu instid0(VALU_DEP_3) | instskip(SKIP_2) | instid1(VALU_DEP_3)
	v_add_co_u32 v7, vcc_lo, v3, v6
	v_mad_co_u64_u32 v[5:6], null, v5, s12, 0
	s_wait_alu 0xfffd
	v_add_co_ci_u32_e64 v2, null, v4, v2, vcc_lo
	s_delay_alu instid0(VALU_DEP_3) | instskip(SKIP_1) | instid1(VALU_DEP_3)
	v_mul_lo_u32 v10, v7, s15
	v_mad_co_u64_u32 v[7:8], null, v7, s14, 0
	v_mul_lo_u32 v2, v2, s14
	v_add3_u32 v6, v6, v9, v11
	v_mul_f32_e32 v9, v15, v18
	s_delay_alu instid0(VALU_DEP_2) | instskip(NEXT) | instid1(VALU_DEP_4)
	v_lshlrev_b64_e32 v[5:6], 2, v[5:6]
	v_add3_u32 v8, v8, v10, v2
	v_or_b32_e32 v2, s47, v4
	s_delay_alu instid0(VALU_DEP_3) | instskip(NEXT) | instid1(VALU_DEP_3)
	v_add_co_u32 v5, vcc_lo, s36, v5
	v_lshlrev_b64_e32 v[7:8], 2, v[7:8]
	s_wait_alu 0xfffd
	v_add_co_ci_u32_e64 v6, null, s37, v6, vcc_lo
	s_delay_alu instid0(VALU_DEP_2) | instskip(SKIP_1) | instid1(VALU_DEP_2)
	v_add_co_u32 v5, vcc_lo, v5, v7
	s_wait_alu 0xfffd
	v_add_co_ci_u32_e64 v6, null, v6, v8, vcc_lo
	global_store_b32 v[5:6], v9, off
                                        ; implicit-def: $vgpr5_vgpr6
	v_cmpx_ne_u64_e32 0, v[1:2]
	s_wait_alu 0xfffe
	s_xor_b32 s57, exec_lo, s0
	s_cbranch_execz .LBB55_57
; %bb.56:                               ;   in Loop: Header=BB55_3 Depth=1
	s_ashr_i32 s58, s47, 31
	v_add_co_u32 v2, vcc_lo, v3, v14
	s_wait_alu 0xfffe
	s_mov_b32 s59, s58
	s_wait_alu 0xfffd
	v_add_co_ci_u32_e64 v5, null, v4, v14, vcc_lo
	s_wait_alu 0xfffe
	s_add_nc_u64 s[60:61], s[46:47], s[58:59]
	v_xor_b32_e32 v2, v2, v14
	s_wait_alu 0xfffe
	s_xor_b64 s[60:61], s[60:61], s[58:59]
	v_xor_b32_e32 v11, v5, v14
	s_wait_alu 0xfffe
	s_cvt_f32_u32 s0, s60
	s_cvt_f32_u32 s59, s61
	s_sub_nc_u64 s[66:67], 0, s[60:61]
	s_wait_alu 0xfffe
	s_delay_alu instid0(SALU_CYCLE_1) | instskip(SKIP_1) | instid1(SALU_CYCLE_2)
	s_fmamk_f32 s0, s59, 0x4f800000, s0
	s_wait_alu 0xfffe
	v_s_rcp_f32 s0, s0
	s_delay_alu instid0(TRANS32_DEP_1) | instskip(SKIP_1) | instid1(SALU_CYCLE_2)
	s_mul_f32 s0, s0, 0x5f7ffffc
	s_wait_alu 0xfffe
	s_mul_f32 s59, s0, 0x2f800000
	s_wait_alu 0xfffe
	s_delay_alu instid0(SALU_CYCLE_2) | instskip(SKIP_1) | instid1(SALU_CYCLE_2)
	s_trunc_f32 s59, s59
	s_wait_alu 0xfffe
	s_fmamk_f32 s0, s59, 0xcf800000, s0
	s_cvt_u32_f32 s65, s59
	s_wait_alu 0xfffe
	s_delay_alu instid0(SALU_CYCLE_1) | instskip(NEXT) | instid1(SALU_CYCLE_3)
	s_cvt_u32_f32 s64, s0
	s_mul_u64 s[68:69], s[66:67], s[64:65]
	s_delay_alu instid0(SALU_CYCLE_1)
	s_mul_hi_u32 s71, s64, s69
	s_mul_i32 s70, s64, s69
	s_mul_hi_u32 s0, s64, s68
	s_mul_i32 s63, s65, s68
	s_wait_alu 0xfffe
	s_add_nc_u64 s[70:71], s[0:1], s[70:71]
	s_mul_hi_u32 s59, s65, s68
	s_mul_hi_u32 s72, s65, s69
	s_add_co_u32 s0, s70, s63
	s_wait_alu 0xfffe
	s_add_co_ci_u32 s0, s71, s59
	s_mul_i32 s68, s65, s69
	s_add_co_ci_u32 s69, s72, 0
	s_wait_alu 0xfffe
	s_add_nc_u64 s[68:69], s[0:1], s[68:69]
	s_delay_alu instid0(SALU_CYCLE_1) | instskip(SKIP_4) | instid1(SALU_CYCLE_1)
	s_add_co_u32 s64, s64, s68
	s_cselect_b32 s0, -1, 0
	s_wait_alu 0xfffe
	s_cmp_lg_u32 s0, 0
	s_add_co_ci_u32 s65, s65, s69
	s_mul_u64 s[66:67], s[66:67], s[64:65]
	s_delay_alu instid0(SALU_CYCLE_1)
	s_mul_hi_u32 s69, s64, s67
	s_mul_i32 s68, s64, s67
	s_mul_hi_u32 s0, s64, s66
	s_mul_i32 s63, s65, s66
	s_wait_alu 0xfffe
	s_add_nc_u64 s[68:69], s[0:1], s[68:69]
	s_mul_hi_u32 s59, s65, s66
	s_mul_hi_u32 s70, s65, s67
	s_add_co_u32 s0, s68, s63
	s_wait_alu 0xfffe
	s_add_co_ci_u32 s0, s69, s59
	s_mul_i32 s66, s65, s67
	s_add_co_ci_u32 s67, s70, 0
	s_wait_alu 0xfffe
	s_add_nc_u64 s[66:67], s[0:1], s[66:67]
	s_delay_alu instid0(SALU_CYCLE_1)
	s_add_co_u32 s0, s64, s66
	s_cselect_b32 s59, -1, 0
	s_wait_alu 0xfffe
	v_mul_hi_u32 v12, v2, s0
	s_cmp_lg_u32 s59, 0
	v_mad_co_u64_u32 v[7:8], null, v11, s0, 0
	s_add_co_ci_u32 s59, s65, s67
	s_wait_alu 0xfffe
	v_mad_co_u64_u32 v[5:6], null, v2, s59, 0
	v_mad_co_u64_u32 v[9:10], null, v11, s59, 0
	s_delay_alu instid0(VALU_DEP_2) | instskip(SKIP_1) | instid1(VALU_DEP_3)
	v_add_co_u32 v5, vcc_lo, v12, v5
	s_wait_alu 0xfffd
	v_add_co_ci_u32_e64 v6, null, 0, v6, vcc_lo
	s_delay_alu instid0(VALU_DEP_2) | instskip(SKIP_1) | instid1(VALU_DEP_2)
	v_add_co_u32 v5, vcc_lo, v5, v7
	s_wait_alu 0xfffd
	v_add_co_ci_u32_e32 v5, vcc_lo, v6, v8, vcc_lo
	s_wait_alu 0xfffd
	v_add_co_ci_u32_e32 v6, vcc_lo, 0, v10, vcc_lo
	s_delay_alu instid0(VALU_DEP_2) | instskip(SKIP_1) | instid1(VALU_DEP_2)
	v_add_co_u32 v7, vcc_lo, v5, v9
	s_wait_alu 0xfffd
	v_add_co_ci_u32_e64 v8, null, 0, v6, vcc_lo
	s_delay_alu instid0(VALU_DEP_2) | instskip(SKIP_1) | instid1(VALU_DEP_3)
	v_mul_lo_u32 v9, s61, v7
	v_mad_co_u64_u32 v[5:6], null, s60, v7, 0
	v_mul_lo_u32 v10, s60, v8
	s_delay_alu instid0(VALU_DEP_2) | instskip(NEXT) | instid1(VALU_DEP_2)
	v_sub_co_u32 v2, vcc_lo, v2, v5
	v_add3_u32 v6, v6, v10, v9
	s_delay_alu instid0(VALU_DEP_1) | instskip(SKIP_2) | instid1(VALU_DEP_2)
	v_sub_nc_u32_e32 v9, v11, v6
	s_wait_alu 0xfffd
	v_sub_co_ci_u32_e64 v6, null, v11, v6, vcc_lo
	v_subrev_co_ci_u32_e64 v5, null, s61, v9, vcc_lo
	v_add_co_u32 v9, s0, v7, 2
	s_wait_alu 0xf1ff
	v_add_co_ci_u32_e64 v10, null, 0, v8, s0
	v_sub_co_u32 v12, s0, v2, s60
	s_wait_alu 0xf1ff
	v_subrev_co_ci_u32_e64 v5, null, 0, v5, s0
	s_delay_alu instid0(VALU_DEP_2) | instskip(SKIP_2) | instid1(VALU_DEP_3)
	v_cmp_le_u32_e32 vcc_lo, s60, v12
	s_wait_alu 0xfffd
	v_cndmask_b32_e64 v11, 0, -1, vcc_lo
	v_cmp_le_u32_e32 vcc_lo, s61, v5
	s_wait_alu 0xfffd
	v_cndmask_b32_e64 v12, 0, -1, vcc_lo
	;; [unrolled: 3-line block ×4, first 2 shown]
	v_cmp_eq_u32_e32 vcc_lo, s61, v5
	s_wait_alu 0xfffd
	v_cndmask_b32_e32 v5, v12, v11, vcc_lo
	v_add_co_u32 v11, vcc_lo, v7, 1
	s_wait_alu 0xfffd
	v_add_co_ci_u32_e64 v12, null, 0, v8, vcc_lo
	v_cmp_eq_u32_e32 vcc_lo, s61, v6
	v_xor_b32_e32 v6, s58, v14
	s_wait_alu 0xfffd
	v_cndmask_b32_e32 v2, v15, v2, vcc_lo
	v_cmp_ne_u32_e32 vcc_lo, 0, v5
	s_delay_alu instid0(VALU_DEP_2) | instskip(SKIP_3) | instid1(VALU_DEP_1)
	v_cmp_ne_u32_e64 s0, 0, v2
	s_wait_alu 0xfffd
	v_dual_cndmask_b32 v5, v12, v10 :: v_dual_cndmask_b32 v2, v11, v9
	s_wait_alu 0xf1ff
	v_cndmask_b32_e64 v5, v8, v5, s0
	s_delay_alu instid0(VALU_DEP_2) | instskip(NEXT) | instid1(VALU_DEP_2)
	v_cndmask_b32_e64 v2, v7, v2, s0
	v_xor_b32_e32 v7, v5, v6
	s_delay_alu instid0(VALU_DEP_2) | instskip(NEXT) | instid1(VALU_DEP_1)
	v_xor_b32_e32 v2, v2, v6
	v_sub_co_u32 v5, vcc_lo, v2, v6
	s_wait_alu 0xfffd
	s_delay_alu instid0(VALU_DEP_3)
	v_sub_co_ci_u32_e64 v6, null, v7, v6, vcc_lo
.LBB55_57:                              ;   in Loop: Header=BB55_3 Depth=1
	s_wait_alu 0xfffe
	s_and_not1_saveexec_b32 s0, s57
	s_cbranch_execz .LBB55_2
; %bb.58:                               ;   in Loop: Header=BB55_3 Depth=1
	v_cvt_f32_u32_e32 v2, s46
	s_sub_co_i32 s57, 0, s46
	s_delay_alu instid0(VALU_DEP_1) | instskip(NEXT) | instid1(TRANS32_DEP_1)
	v_rcp_iflag_f32_e32 v2, v2
	v_mul_f32_e32 v2, 0x4f7ffffe, v2
	s_delay_alu instid0(VALU_DEP_1) | instskip(SKIP_1) | instid1(VALU_DEP_1)
	v_cvt_u32_f32_e32 v2, v2
	s_wait_alu 0xfffe
	v_mul_lo_u32 v5, s57, v2
	s_delay_alu instid0(VALU_DEP_1) | instskip(NEXT) | instid1(VALU_DEP_1)
	v_mul_hi_u32 v5, v2, v5
	v_add_nc_u32_e32 v2, v2, v5
	s_delay_alu instid0(VALU_DEP_1) | instskip(NEXT) | instid1(VALU_DEP_1)
	v_mul_hi_u32 v2, v3, v2
	v_mul_lo_u32 v5, v2, s46
	v_add_nc_u32_e32 v6, 1, v2
	s_delay_alu instid0(VALU_DEP_2) | instskip(NEXT) | instid1(VALU_DEP_1)
	v_sub_nc_u32_e32 v5, v3, v5
	v_subrev_nc_u32_e32 v7, s46, v5
	v_cmp_le_u32_e32 vcc_lo, s46, v5
	s_wait_alu 0xfffd
	s_delay_alu instid0(VALU_DEP_2) | instskip(NEXT) | instid1(VALU_DEP_1)
	v_dual_cndmask_b32 v5, v5, v7 :: v_dual_cndmask_b32 v2, v2, v6
	v_cmp_le_u32_e32 vcc_lo, s46, v5
	s_delay_alu instid0(VALU_DEP_2) | instskip(SKIP_1) | instid1(VALU_DEP_1)
	v_add_nc_u32_e32 v6, 1, v2
	s_wait_alu 0xfffd
	v_dual_cndmask_b32 v5, v2, v6 :: v_dual_mov_b32 v6, v1
	s_branch .LBB55_2
.LBB55_59:
	s_endpgm
	.section	.rodata,"a",@progbits
	.p2align	6, 0x0
	.amdhsa_kernel _ZN2at6native12_GLOBAL__N_16kernel17gru_cell_backwardIfflLi2EEEvNS_4cuda6detail10TensorInfoIT_T1_EES9_S9_S9_S9_S8_S8_
		.amdhsa_group_segment_fixed_size 0
		.amdhsa_private_segment_fixed_size 0
		.amdhsa_kernarg_size 2352
		.amdhsa_user_sgpr_count 2
		.amdhsa_user_sgpr_dispatch_ptr 0
		.amdhsa_user_sgpr_queue_ptr 0
		.amdhsa_user_sgpr_kernarg_segment_ptr 1
		.amdhsa_user_sgpr_dispatch_id 0
		.amdhsa_user_sgpr_private_segment_size 0
		.amdhsa_wavefront_size32 1
		.amdhsa_uses_dynamic_stack 0
		.amdhsa_enable_private_segment 0
		.amdhsa_system_sgpr_workgroup_id_x 1
		.amdhsa_system_sgpr_workgroup_id_y 0
		.amdhsa_system_sgpr_workgroup_id_z 0
		.amdhsa_system_sgpr_workgroup_info 0
		.amdhsa_system_vgpr_workitem_id 0
		.amdhsa_next_free_vgpr 37
		.amdhsa_next_free_sgpr 73
		.amdhsa_reserve_vcc 1
		.amdhsa_float_round_mode_32 0
		.amdhsa_float_round_mode_16_64 0
		.amdhsa_float_denorm_mode_32 3
		.amdhsa_float_denorm_mode_16_64 3
		.amdhsa_fp16_overflow 0
		.amdhsa_workgroup_processor_mode 1
		.amdhsa_memory_ordered 1
		.amdhsa_forward_progress 1
		.amdhsa_inst_pref_size 134
		.amdhsa_round_robin_scheduling 0
		.amdhsa_exception_fp_ieee_invalid_op 0
		.amdhsa_exception_fp_denorm_src 0
		.amdhsa_exception_fp_ieee_div_zero 0
		.amdhsa_exception_fp_ieee_overflow 0
		.amdhsa_exception_fp_ieee_underflow 0
		.amdhsa_exception_fp_ieee_inexact 0
		.amdhsa_exception_int_div_zero 0
	.end_amdhsa_kernel
	.section	.text._ZN2at6native12_GLOBAL__N_16kernel17gru_cell_backwardIfflLi2EEEvNS_4cuda6detail10TensorInfoIT_T1_EES9_S9_S9_S9_S8_S8_,"axG",@progbits,_ZN2at6native12_GLOBAL__N_16kernel17gru_cell_backwardIfflLi2EEEvNS_4cuda6detail10TensorInfoIT_T1_EES9_S9_S9_S9_S8_S8_,comdat
.Lfunc_end55:
	.size	_ZN2at6native12_GLOBAL__N_16kernel17gru_cell_backwardIfflLi2EEEvNS_4cuda6detail10TensorInfoIT_T1_EES9_S9_S9_S9_S8_S8_, .Lfunc_end55-_ZN2at6native12_GLOBAL__N_16kernel17gru_cell_backwardIfflLi2EEEvNS_4cuda6detail10TensorInfoIT_T1_EES9_S9_S9_S9_S8_S8_
                                        ; -- End function
	.set _ZN2at6native12_GLOBAL__N_16kernel17gru_cell_backwardIfflLi2EEEvNS_4cuda6detail10TensorInfoIT_T1_EES9_S9_S9_S9_S8_S8_.num_vgpr, 37
	.set _ZN2at6native12_GLOBAL__N_16kernel17gru_cell_backwardIfflLi2EEEvNS_4cuda6detail10TensorInfoIT_T1_EES9_S9_S9_S9_S8_S8_.num_agpr, 0
	.set _ZN2at6native12_GLOBAL__N_16kernel17gru_cell_backwardIfflLi2EEEvNS_4cuda6detail10TensorInfoIT_T1_EES9_S9_S9_S9_S8_S8_.numbered_sgpr, 73
	.set _ZN2at6native12_GLOBAL__N_16kernel17gru_cell_backwardIfflLi2EEEvNS_4cuda6detail10TensorInfoIT_T1_EES9_S9_S9_S9_S8_S8_.num_named_barrier, 0
	.set _ZN2at6native12_GLOBAL__N_16kernel17gru_cell_backwardIfflLi2EEEvNS_4cuda6detail10TensorInfoIT_T1_EES9_S9_S9_S9_S8_S8_.private_seg_size, 0
	.set _ZN2at6native12_GLOBAL__N_16kernel17gru_cell_backwardIfflLi2EEEvNS_4cuda6detail10TensorInfoIT_T1_EES9_S9_S9_S9_S8_S8_.uses_vcc, 1
	.set _ZN2at6native12_GLOBAL__N_16kernel17gru_cell_backwardIfflLi2EEEvNS_4cuda6detail10TensorInfoIT_T1_EES9_S9_S9_S9_S8_S8_.uses_flat_scratch, 0
	.set _ZN2at6native12_GLOBAL__N_16kernel17gru_cell_backwardIfflLi2EEEvNS_4cuda6detail10TensorInfoIT_T1_EES9_S9_S9_S9_S8_S8_.has_dyn_sized_stack, 0
	.set _ZN2at6native12_GLOBAL__N_16kernel17gru_cell_backwardIfflLi2EEEvNS_4cuda6detail10TensorInfoIT_T1_EES9_S9_S9_S9_S8_S8_.has_recursion, 0
	.set _ZN2at6native12_GLOBAL__N_16kernel17gru_cell_backwardIfflLi2EEEvNS_4cuda6detail10TensorInfoIT_T1_EES9_S9_S9_S9_S8_S8_.has_indirect_call, 0
	.section	.AMDGPU.csdata,"",@progbits
; Kernel info:
; codeLenInByte = 17148
; TotalNumSgprs: 75
; NumVgprs: 37
; ScratchSize: 0
; MemoryBound: 0
; FloatMode: 240
; IeeeMode: 1
; LDSByteSize: 0 bytes/workgroup (compile time only)
; SGPRBlocks: 0
; VGPRBlocks: 4
; NumSGPRsForWavesPerEU: 75
; NumVGPRsForWavesPerEU: 37
; Occupancy: 16
; WaveLimiterHint : 1
; COMPUTE_PGM_RSRC2:SCRATCH_EN: 0
; COMPUTE_PGM_RSRC2:USER_SGPR: 2
; COMPUTE_PGM_RSRC2:TRAP_HANDLER: 0
; COMPUTE_PGM_RSRC2:TGID_X_EN: 1
; COMPUTE_PGM_RSRC2:TGID_Y_EN: 0
; COMPUTE_PGM_RSRC2:TGID_Z_EN: 0
; COMPUTE_PGM_RSRC2:TIDIG_COMP_CNT: 0
	.section	.text._ZN2at6native12_GLOBAL__N_16kernel17gru_cell_backwardIN3c104HalfEfiLi1EEEvNS_4cuda6detail10TensorInfoIT_T1_EESB_SB_SB_SB_SA_SA_,"axG",@progbits,_ZN2at6native12_GLOBAL__N_16kernel17gru_cell_backwardIN3c104HalfEfiLi1EEEvNS_4cuda6detail10TensorInfoIT_T1_EESB_SB_SB_SB_SA_SA_,comdat
	.globl	_ZN2at6native12_GLOBAL__N_16kernel17gru_cell_backwardIN3c104HalfEfiLi1EEEvNS_4cuda6detail10TensorInfoIT_T1_EESB_SB_SB_SB_SA_SA_ ; -- Begin function _ZN2at6native12_GLOBAL__N_16kernel17gru_cell_backwardIN3c104HalfEfiLi1EEEvNS_4cuda6detail10TensorInfoIT_T1_EESB_SB_SB_SB_SA_SA_
	.p2align	8
	.type	_ZN2at6native12_GLOBAL__N_16kernel17gru_cell_backwardIN3c104HalfEfiLi1EEEvNS_4cuda6detail10TensorInfoIT_T1_EESB_SB_SB_SB_SA_SA_,@function
_ZN2at6native12_GLOBAL__N_16kernel17gru_cell_backwardIN3c104HalfEfiLi1EEEvNS_4cuda6detail10TensorInfoIT_T1_EESB_SB_SB_SB_SA_SA_: ; @_ZN2at6native12_GLOBAL__N_16kernel17gru_cell_backwardIN3c104HalfEfiLi1EEEvNS_4cuda6detail10TensorInfoIT_T1_EESB_SB_SB_SB_SA_SA_
; %bb.0:
	s_clause 0x1
	s_load_b32 s4, s[0:1], 0x44c
	s_load_b64 s[2:3], s[0:1], 0x438
	s_wait_kmcnt 0x0
	s_and_b32 s20, s4, 0xffff
	s_mov_b32 s4, exec_lo
	v_mad_co_u64_u32 v[0:1], null, ttmp9, s20, v[0:1]
	s_delay_alu instid0(VALU_DEP_1)
	v_cmpx_gt_i32_e64 s3, v0
	s_cbranch_execz .LBB56_3
; %bb.1:
	s_abs_i32 s14, s2
	s_add_nc_u64 s[4:5], s[0:1], 0x440
	s_cvt_f32_u32 s6, s14
	s_load_b32 s21, s[4:5], 0x0
	s_sub_co_i32 s25, 0, s14
	s_mov_b32 s17, 0
	v_rcp_iflag_f32_e32 v1, s6
	s_clause 0x9
	s_load_b32 s22, s[0:1], 0x21c
	s_load_b32 s23, s[0:1], 0x2f4
	s_load_b64 s[4:5], s[0:1], 0x1b0
	s_load_b64 s[6:7], s[0:1], 0x288
	;; [unrolled: 1-line block ×3, first 2 shown]
	s_load_b32 s15, s[0:1], 0x6c
	s_load_b64 s[10:11], s[0:1], 0xd8
	s_load_b32 s16, s[0:1], 0x144
	s_load_b64 s[12:13], s[0:1], 0x360
	s_load_b32 s0, s[0:1], 0x3cc
	s_ashr_i32 s1, s2, 31
	s_lshl_b32 s19, s2, 1
	v_readfirstlane_b32 s18, v1
	s_wait_kmcnt 0x0
	v_mul_lo_u32 v1, v0, s22
	v_mul_lo_u32 v3, v0, s23
	s_mul_f32 s24, s18, 0x4f7ffffe
	s_lshl_b32 s18, s2, 2
	s_mul_i32 s20, s21, s20
	s_wait_alu 0xfffe
	s_mul_i32 s21, s20, s22
	s_cvt_u32_f32 s24, s24
	s_mul_i32 s22, s20, s23
	s_delay_alu instid0(SALU_CYCLE_2) | instskip(NEXT) | instid1(SALU_CYCLE_1)
	s_mul_i32 s25, s25, s24
	s_mul_hi_u32 s25, s24, s25
	s_delay_alu instid0(SALU_CYCLE_1)
	s_add_co_i32 s23, s24, s25
	s_mov_b32 s24, 1.0
.LBB56_2:                               ; =>This Inner Loop Header: Depth=1
	v_sub_nc_u32_e32 v4, 0, v0
	v_ashrrev_i32_e32 v5, 31, v0
	v_ashrrev_i32_e32 v2, 31, v1
	s_delay_alu instid0(VALU_DEP_3) | instskip(NEXT) | instid1(VALU_DEP_3)
	v_max_i32_e32 v6, v0, v4
	v_xor_b32_e32 v14, s1, v5
	s_delay_alu instid0(VALU_DEP_3) | instskip(SKIP_1) | instid1(VALU_DEP_3)
	v_lshlrev_b64_e32 v[4:5], 1, v[1:2]
	s_wait_alu 0xfffe
	v_mul_hi_u32 v2, v6, s23
	s_delay_alu instid0(VALU_DEP_2) | instskip(SKIP_1) | instid1(VALU_DEP_3)
	v_add_co_u32 v4, vcc_lo, s4, v4
	s_wait_alu 0xfffd
	v_add_co_ci_u32_e64 v5, null, s5, v5, vcc_lo
	global_load_u16 v19, v[4:5], off
	v_mul_lo_u32 v4, v2, s14
	v_add_nc_u32_e32 v5, 1, v2
	s_delay_alu instid0(VALU_DEP_2) | instskip(NEXT) | instid1(VALU_DEP_1)
	v_sub_nc_u32_e32 v4, v6, v4
	v_subrev_nc_u32_e32 v6, s14, v4
	v_cmp_le_u32_e32 vcc_lo, s14, v4
	s_wait_alu 0xfffd
	v_dual_cndmask_b32 v2, v2, v5 :: v_dual_lshlrev_b32 v7, 2, v14
	s_delay_alu instid0(VALU_DEP_3) | instskip(NEXT) | instid1(VALU_DEP_2)
	v_cndmask_b32_e32 v4, v4, v6, vcc_lo
	v_add_nc_u32_e32 v5, 1, v2
	s_delay_alu instid0(VALU_DEP_2) | instskip(SKIP_1) | instid1(VALU_DEP_2)
	v_cmp_le_u32_e32 vcc_lo, s14, v4
	s_wait_alu 0xfffd
	v_cndmask_b32_e32 v2, v2, v5, vcc_lo
	s_delay_alu instid0(VALU_DEP_1) | instskip(NEXT) | instid1(VALU_DEP_1)
	v_xor_b32_e32 v2, v2, v14
	v_lshlrev_b32_e32 v4, 2, v2
	v_sub_nc_u32_e32 v15, v2, v14
	v_lshlrev_b32_e32 v2, 1, v2
	s_delay_alu instid0(VALU_DEP_3) | instskip(NEXT) | instid1(VALU_DEP_3)
	v_sub_nc_u32_e32 v6, v4, v7
	v_mad_co_u64_u32 v[4:5], null, s18, v15, v[0:1]
	s_delay_alu instid0(VALU_DEP_2)
	v_or_b32_e32 v5, 1, v6
	v_or_b32_e32 v8, 2, v6
	;; [unrolled: 1-line block ×3, first 2 shown]
	v_add_nc_u32_e32 v10, 4, v6
	v_mul_lo_u32 v4, v4, s0
	v_mad_co_u64_u32 v[6:7], null, s2, v5, v[0:1]
	v_mad_co_u64_u32 v[7:8], null, s2, v8, v[0:1]
	;; [unrolled: 1-line block ×4, first 2 shown]
	s_delay_alu instid0(VALU_DEP_4) | instskip(SKIP_4) | instid1(VALU_DEP_4)
	v_mul_lo_u32 v6, v6, s0
	v_ashrrev_i32_e32 v5, 31, v4
	v_mul_lo_u32 v10, v7, s0
	v_add_nc_u32_e32 v1, s21, v1
	v_mul_lo_u32 v8, v8, s0
	v_lshlrev_b64_e32 v[4:5], 1, v[4:5]
	v_mul_lo_u32 v12, v9, s0
	v_ashrrev_i32_e32 v7, 31, v6
	v_ashrrev_i32_e32 v11, 31, v10
	;; [unrolled: 1-line block ×3, first 2 shown]
	v_add_co_u32 v4, vcc_lo, s12, v4
	s_delay_alu instid0(VALU_DEP_4)
	v_lshlrev_b64_e32 v[6:7], 1, v[6:7]
	s_wait_alu 0xfffd
	v_add_co_ci_u32_e64 v5, null, s13, v5, vcc_lo
	v_ashrrev_i32_e32 v13, 31, v12
	v_lshlrev_b64_e32 v[10:11], 1, v[10:11]
	v_lshlrev_b64_e32 v[8:9], 1, v[8:9]
	global_load_u16 v20, v[4:5], off
	v_add_co_u32 v4, vcc_lo, s12, v6
	v_lshlrev_b64_e32 v[12:13], 1, v[12:13]
	s_wait_alu 0xfffd
	v_add_co_ci_u32_e64 v5, null, s13, v7, vcc_lo
	v_add_co_u32 v6, vcc_lo, s12, v10
	s_wait_alu 0xfffd
	v_add_co_ci_u32_e64 v7, null, s13, v11, vcc_lo
	v_add_co_u32 v8, vcc_lo, s12, v8
	;; [unrolled: 3-line block ×3, first 2 shown]
	s_wait_alu 0xfffd
	v_add_co_ci_u32_e64 v11, null, s13, v13, vcc_lo
	s_clause 0x3
	global_load_u16 v21, v[8:9], off
	global_load_u16 v22, v[4:5], off
	;; [unrolled: 1-line block ×4, first 2 shown]
	v_lshlrev_b32_e32 v8, 1, v14
	v_mad_co_u64_u32 v[6:7], null, s19, v15, v[0:1]
	v_ashrrev_i32_e32 v4, 31, v3
	s_delay_alu instid0(VALU_DEP_3) | instskip(NEXT) | instid1(VALU_DEP_2)
	v_sub_nc_u32_e32 v2, v2, v8
	v_lshlrev_b64_e32 v[4:5], 1, v[3:4]
	s_delay_alu instid0(VALU_DEP_4) | instskip(NEXT) | instid1(VALU_DEP_3)
	v_mul_lo_u32 v7, v6, s15
	v_or_b32_e32 v8, 1, v2
	v_add_nc_u32_e32 v2, 2, v2
	v_mul_lo_u32 v9, v6, s16
	v_add_nc_u32_e32 v3, s22, v3
	v_add_co_u32 v4, vcc_lo, s6, v4
	v_mad_co_u64_u32 v[11:12], null, s2, v8, v[0:1]
	v_mad_co_u64_u32 v[12:13], null, s2, v2, v[0:1]
	v_ashrrev_i32_e32 v8, 31, v7
	v_ashrrev_i32_e32 v10, 31, v9
	s_wait_alu 0xfffd
	v_add_co_ci_u32_e64 v5, null, s7, v5, vcc_lo
	v_mul_lo_u32 v6, v11, s15
	v_mul_lo_u32 v11, v11, s16
	;; [unrolled: 1-line block ×4, first 2 shown]
	v_lshlrev_b64_e32 v[17:18], 1, v[7:8]
	v_lshlrev_b64_e32 v[8:9], 1, v[9:10]
	v_ashrrev_i32_e32 v7, 31, v6
	v_ashrrev_i32_e32 v12, 31, v11
	v_ashrrev_i32_e32 v14, 31, v13
	v_ashrrev_i32_e32 v16, 31, v15
	s_delay_alu instid0(VALU_DEP_4) | instskip(NEXT) | instid1(VALU_DEP_4)
	v_lshlrev_b64_e32 v[6:7], 1, v[6:7]
	v_lshlrev_b64_e32 v[10:11], 1, v[11:12]
	s_delay_alu instid0(VALU_DEP_4) | instskip(NEXT) | instid1(VALU_DEP_4)
	v_lshlrev_b64_e32 v[13:14], 1, v[13:14]
	v_lshlrev_b64_e32 v[15:16], 1, v[15:16]
	s_wait_loadcnt 0x5
	v_cvt_f32_f16_e32 v2, v19
	s_wait_loadcnt 0x3
	v_cvt_f32_f16_e32 v21, v21
	;; [unrolled: 2-line block ×4, first 2 shown]
	v_add_nc_u32_e32 v0, s20, v0
	v_fma_mix_f32 v23, -v23, v23, s24 op_sel_hi:[1,1,0]
	s_wait_loadcnt 0x0
	v_cvt_f32_f16_e32 v24, v24
	v_sub_f32_e32 v25, 1.0, v25
	v_sub_f32_e32 v21, v21, v26
	v_cmp_le_i32_e32 vcc_lo, s3, v0
	v_mul_f16_e32 v19, v22, v19
	s_delay_alu instid0(VALU_DEP_4) | instskip(NEXT) | instid1(VALU_DEP_4)
	v_mul_f32_e32 v26, v25, v2
	v_mul_f32_e32 v2, v21, v2
	s_or_b32 s17, vcc_lo, s17
	v_add_co_u32 v17, vcc_lo, s8, v17
	s_wait_alu 0xfffd
	v_add_co_ci_u32_e64 v18, null, s9, v18, vcc_lo
	v_add_co_u32 v8, vcc_lo, s10, v8
	s_wait_alu 0xfffd
	v_add_co_ci_u32_e64 v9, null, s11, v9, vcc_lo
	;; [unrolled: 3-line block ×6, first 2 shown]
	v_cvt_f32_f16_e32 v16, v20
	v_mul_f32_e32 v2, v25, v2
	s_delay_alu instid0(VALU_DEP_2) | instskip(NEXT) | instid1(VALU_DEP_2)
	v_dual_sub_f32 v16, 1.0, v16 :: v_dual_mul_f32 v21, v23, v26
	v_fma_mixlo_f16 v2, v2, v22, 0 op_sel_hi:[0,1,0]
	v_fma_mixlo_f16 v23, v23, v26, 0
	s_delay_alu instid0(VALU_DEP_3) | instskip(NEXT) | instid1(VALU_DEP_1)
	v_mul_f32_e32 v24, v21, v24
	v_mul_f32_e32 v16, v16, v24
	v_fma_mixlo_f16 v21, v21, v20, 0 op_sel_hi:[0,1,0]
	s_delay_alu instid0(VALU_DEP_2)
	v_fma_mixlo_f16 v16, v16, v20, 0 op_sel_hi:[0,1,0]
	s_clause 0x2
	global_store_b16 v[17:18], v16, off
	global_store_b16 v[6:7], v2, off
	;; [unrolled: 1-line block ×3, first 2 shown]
	s_clause 0x2
	global_store_b16 v[8:9], v16, off
	global_store_b16 v[10:11], v2, off
	;; [unrolled: 1-line block ×4, first 2 shown]
	s_wait_alu 0xfffe
	s_and_not1_b32 exec_lo, exec_lo, s17
	s_cbranch_execnz .LBB56_2
.LBB56_3:
	s_endpgm
	.section	.rodata,"a",@progbits
	.p2align	6, 0x0
	.amdhsa_kernel _ZN2at6native12_GLOBAL__N_16kernel17gru_cell_backwardIN3c104HalfEfiLi1EEEvNS_4cuda6detail10TensorInfoIT_T1_EESB_SB_SB_SB_SA_SA_
		.amdhsa_group_segment_fixed_size 0
		.amdhsa_private_segment_fixed_size 0
		.amdhsa_kernarg_size 1344
		.amdhsa_user_sgpr_count 2
		.amdhsa_user_sgpr_dispatch_ptr 0
		.amdhsa_user_sgpr_queue_ptr 0
		.amdhsa_user_sgpr_kernarg_segment_ptr 1
		.amdhsa_user_sgpr_dispatch_id 0
		.amdhsa_user_sgpr_private_segment_size 0
		.amdhsa_wavefront_size32 1
		.amdhsa_uses_dynamic_stack 0
		.amdhsa_enable_private_segment 0
		.amdhsa_system_sgpr_workgroup_id_x 1
		.amdhsa_system_sgpr_workgroup_id_y 0
		.amdhsa_system_sgpr_workgroup_id_z 0
		.amdhsa_system_sgpr_workgroup_info 0
		.amdhsa_system_vgpr_workitem_id 0
		.amdhsa_next_free_vgpr 27
		.amdhsa_next_free_sgpr 26
		.amdhsa_reserve_vcc 1
		.amdhsa_float_round_mode_32 0
		.amdhsa_float_round_mode_16_64 0
		.amdhsa_float_denorm_mode_32 3
		.amdhsa_float_denorm_mode_16_64 3
		.amdhsa_fp16_overflow 0
		.amdhsa_workgroup_processor_mode 1
		.amdhsa_memory_ordered 1
		.amdhsa_forward_progress 1
		.amdhsa_inst_pref_size 11
		.amdhsa_round_robin_scheduling 0
		.amdhsa_exception_fp_ieee_invalid_op 0
		.amdhsa_exception_fp_denorm_src 0
		.amdhsa_exception_fp_ieee_div_zero 0
		.amdhsa_exception_fp_ieee_overflow 0
		.amdhsa_exception_fp_ieee_underflow 0
		.amdhsa_exception_fp_ieee_inexact 0
		.amdhsa_exception_int_div_zero 0
	.end_amdhsa_kernel
	.section	.text._ZN2at6native12_GLOBAL__N_16kernel17gru_cell_backwardIN3c104HalfEfiLi1EEEvNS_4cuda6detail10TensorInfoIT_T1_EESB_SB_SB_SB_SA_SA_,"axG",@progbits,_ZN2at6native12_GLOBAL__N_16kernel17gru_cell_backwardIN3c104HalfEfiLi1EEEvNS_4cuda6detail10TensorInfoIT_T1_EESB_SB_SB_SB_SA_SA_,comdat
.Lfunc_end56:
	.size	_ZN2at6native12_GLOBAL__N_16kernel17gru_cell_backwardIN3c104HalfEfiLi1EEEvNS_4cuda6detail10TensorInfoIT_T1_EESB_SB_SB_SB_SA_SA_, .Lfunc_end56-_ZN2at6native12_GLOBAL__N_16kernel17gru_cell_backwardIN3c104HalfEfiLi1EEEvNS_4cuda6detail10TensorInfoIT_T1_EESB_SB_SB_SB_SA_SA_
                                        ; -- End function
	.set _ZN2at6native12_GLOBAL__N_16kernel17gru_cell_backwardIN3c104HalfEfiLi1EEEvNS_4cuda6detail10TensorInfoIT_T1_EESB_SB_SB_SB_SA_SA_.num_vgpr, 27
	.set _ZN2at6native12_GLOBAL__N_16kernel17gru_cell_backwardIN3c104HalfEfiLi1EEEvNS_4cuda6detail10TensorInfoIT_T1_EESB_SB_SB_SB_SA_SA_.num_agpr, 0
	.set _ZN2at6native12_GLOBAL__N_16kernel17gru_cell_backwardIN3c104HalfEfiLi1EEEvNS_4cuda6detail10TensorInfoIT_T1_EESB_SB_SB_SB_SA_SA_.numbered_sgpr, 26
	.set _ZN2at6native12_GLOBAL__N_16kernel17gru_cell_backwardIN3c104HalfEfiLi1EEEvNS_4cuda6detail10TensorInfoIT_T1_EESB_SB_SB_SB_SA_SA_.num_named_barrier, 0
	.set _ZN2at6native12_GLOBAL__N_16kernel17gru_cell_backwardIN3c104HalfEfiLi1EEEvNS_4cuda6detail10TensorInfoIT_T1_EESB_SB_SB_SB_SA_SA_.private_seg_size, 0
	.set _ZN2at6native12_GLOBAL__N_16kernel17gru_cell_backwardIN3c104HalfEfiLi1EEEvNS_4cuda6detail10TensorInfoIT_T1_EESB_SB_SB_SB_SA_SA_.uses_vcc, 1
	.set _ZN2at6native12_GLOBAL__N_16kernel17gru_cell_backwardIN3c104HalfEfiLi1EEEvNS_4cuda6detail10TensorInfoIT_T1_EESB_SB_SB_SB_SA_SA_.uses_flat_scratch, 0
	.set _ZN2at6native12_GLOBAL__N_16kernel17gru_cell_backwardIN3c104HalfEfiLi1EEEvNS_4cuda6detail10TensorInfoIT_T1_EESB_SB_SB_SB_SA_SA_.has_dyn_sized_stack, 0
	.set _ZN2at6native12_GLOBAL__N_16kernel17gru_cell_backwardIN3c104HalfEfiLi1EEEvNS_4cuda6detail10TensorInfoIT_T1_EESB_SB_SB_SB_SA_SA_.has_recursion, 0
	.set _ZN2at6native12_GLOBAL__N_16kernel17gru_cell_backwardIN3c104HalfEfiLi1EEEvNS_4cuda6detail10TensorInfoIT_T1_EESB_SB_SB_SB_SA_SA_.has_indirect_call, 0
	.section	.AMDGPU.csdata,"",@progbits
; Kernel info:
; codeLenInByte = 1324
; TotalNumSgprs: 28
; NumVgprs: 27
; ScratchSize: 0
; MemoryBound: 0
; FloatMode: 240
; IeeeMode: 1
; LDSByteSize: 0 bytes/workgroup (compile time only)
; SGPRBlocks: 0
; VGPRBlocks: 3
; NumSGPRsForWavesPerEU: 28
; NumVGPRsForWavesPerEU: 27
; Occupancy: 16
; WaveLimiterHint : 1
; COMPUTE_PGM_RSRC2:SCRATCH_EN: 0
; COMPUTE_PGM_RSRC2:USER_SGPR: 2
; COMPUTE_PGM_RSRC2:TRAP_HANDLER: 0
; COMPUTE_PGM_RSRC2:TGID_X_EN: 1
; COMPUTE_PGM_RSRC2:TGID_Y_EN: 0
; COMPUTE_PGM_RSRC2:TGID_Z_EN: 0
; COMPUTE_PGM_RSRC2:TIDIG_COMP_CNT: 0
	.section	.text._ZN2at6native12_GLOBAL__N_16kernel17gru_cell_backwardIN3c104HalfEfiLi2EEEvNS_4cuda6detail10TensorInfoIT_T1_EESB_SB_SB_SB_SA_SA_,"axG",@progbits,_ZN2at6native12_GLOBAL__N_16kernel17gru_cell_backwardIN3c104HalfEfiLi2EEEvNS_4cuda6detail10TensorInfoIT_T1_EESB_SB_SB_SB_SA_SA_,comdat
	.globl	_ZN2at6native12_GLOBAL__N_16kernel17gru_cell_backwardIN3c104HalfEfiLi2EEEvNS_4cuda6detail10TensorInfoIT_T1_EESB_SB_SB_SB_SA_SA_ ; -- Begin function _ZN2at6native12_GLOBAL__N_16kernel17gru_cell_backwardIN3c104HalfEfiLi2EEEvNS_4cuda6detail10TensorInfoIT_T1_EESB_SB_SB_SB_SA_SA_
	.p2align	8
	.type	_ZN2at6native12_GLOBAL__N_16kernel17gru_cell_backwardIN3c104HalfEfiLi2EEEvNS_4cuda6detail10TensorInfoIT_T1_EESB_SB_SB_SB_SA_SA_,@function
_ZN2at6native12_GLOBAL__N_16kernel17gru_cell_backwardIN3c104HalfEfiLi2EEEvNS_4cuda6detail10TensorInfoIT_T1_EESB_SB_SB_SB_SA_SA_: ; @_ZN2at6native12_GLOBAL__N_16kernel17gru_cell_backwardIN3c104HalfEfiLi2EEEvNS_4cuda6detail10TensorInfoIT_T1_EESB_SB_SB_SB_SA_SA_
; %bb.0:
	s_clause 0x1
	s_load_b32 s2, s[0:1], 0x44c
	s_load_b64 s[4:5], s[0:1], 0x438
	s_mov_b32 s3, exec_lo
	s_wait_kmcnt 0x0
	s_and_b32 s2, s2, 0xffff
	s_delay_alu instid0(SALU_CYCLE_1) | instskip(NEXT) | instid1(VALU_DEP_1)
	v_mad_co_u64_u32 v[0:1], null, ttmp9, s2, v[0:1]
	v_cmpx_gt_i32_e64 s5, v0
	s_cbranch_execz .LBB57_3
; %bb.1:
	s_clause 0x4
	s_load_b32 s3, s[0:1], 0x36c
	s_load_b32 s27, s[0:1], 0xe4
	s_load_b64 s[6:7], s[0:1], 0x144
	s_load_b64 s[8:9], s[0:1], 0x1b0
	s_load_b32 s51, s[0:1], 0x1bc
	s_abs_i32 s26, s4
	s_add_nc_u64 s[16:17], s[0:1], 0x440
	s_cvt_f32_u32 s18, s26
	s_clause 0x4
	s_load_b64 s[10:11], s[0:1], 0x0
	s_load_b32 s28, s[0:1], 0xc
	s_load_b64 s[12:13], s[0:1], 0x6c
	s_load_b64 s[14:15], s[0:1], 0xd8
	s_load_b32 s52, s[0:1], 0x294
	s_load_b32 s38, s[16:17], 0x0
	s_ashr_i32 s30, s4, 31
	s_mov_b32 s31, 0
	v_rcp_iflag_f32_e32 v1, s18
	s_clause 0x4
	s_load_b64 s[16:17], s[0:1], 0x21c
	s_load_b64 s[18:19], s[0:1], 0x288
	;; [unrolled: 1-line block ×5, first 2 shown]
	s_sub_co_i32 s1, 0, s26
	s_lshl_b32 s49, s4, 2
	s_lshl_b32 s50, s4, 1
	s_mov_b32 s53, 1.0
	v_readfirstlane_b32 s39, v1
	s_wait_kmcnt 0x0
	s_abs_i32 s36, s27
	s_abs_i32 s29, s3
	;; [unrolled: 1-line block ×3, first 2 shown]
	s_cvt_f32_u32 s0, s29
	s_abs_i32 s35, s28
	s_mul_f32 s39, s39, 0x4f7ffffe
	s_cvt_f32_u32 s40, s35
	s_wait_alu 0xfffe
	v_rcp_iflag_f32_e32 v1, s0
	s_cvt_f32_u32 s0, s34
	s_cvt_u32_f32 s39, s39
	s_abs_i32 s37, s52
	s_cvt_f32_u32 s41, s36
	s_wait_alu 0xfffe
	v_rcp_iflag_f32_e32 v2, s0
	s_mul_i32 s1, s1, s39
	s_mul_i32 s38, s38, s2
	s_sub_co_i32 s2, 0, s29
	s_wait_alu 0xfffe
	s_mul_hi_u32 s1, s39, s1
	v_readfirstlane_b32 s0, v1
	v_rcp_iflag_f32_e32 v1, s40
	s_cvt_f32_u32 s42, s37
	s_wait_alu 0xfffe
	s_add_co_i32 s39, s39, s1
	s_sub_co_i32 s46, 0, s37
	s_mul_f32 s0, s0, 0x4f7ffffe
	v_readfirstlane_b32 s40, v2
	v_rcp_iflag_f32_e32 v2, s42
	s_ashr_i32 s33, s3, 31
	s_wait_alu 0xfffe
	s_cvt_u32_f32 s0, s0
	s_mul_f32 s1, s40, 0x4f7ffffe
	v_readfirstlane_b32 s43, v1
	s_wait_alu 0xfffe
	s_mul_i32 s2, s2, s0
	v_rcp_iflag_f32_e32 v1, s41
	s_wait_alu 0xfffe
	s_mul_hi_u32 s2, s0, s2
	s_ashr_i32 s41, s51, 31
	s_wait_alu 0xfffe
	s_add_co_i32 s40, s0, s2
	s_cvt_u32_f32 s0, s1
	s_sub_co_i32 s1, 0, s34
	s_mul_f32 s2, s43, 0x4f7ffffe
	s_sub_co_i32 s43, 0, s35
	s_wait_alu 0xfffe
	s_mul_i32 s1, s1, s0
	s_sub_co_i32 s51, 0, s51
	s_wait_alu 0xfffe
	s_mul_hi_u32 s1, s0, s1
	v_readfirstlane_b32 s44, v1
	s_cvt_u32_f32 s2, s2
	s_wait_alu 0xfffe
	s_add_co_i32 s42, s0, s1
	v_readfirstlane_b32 s0, v2
	s_mul_i32 s43, s43, s2
	s_mul_f32 s45, s44, 0x4f7ffffe
	s_wait_alu 0xfffe
	s_mul_hi_u32 s1, s2, s43
	s_mul_f32 s0, s0, 0x4f7ffffe
	s_wait_alu 0xfffe
	s_add_co_i32 s44, s2, s1
	s_cvt_u32_f32 s1, s45
	s_sub_co_i32 s2, 0, s36
	s_cvt_u32_f32 s0, s0
	s_ashr_i32 s43, s28, 31
	s_wait_alu 0xfffe
	s_mul_i32 s2, s2, s1
	s_ashr_i32 s45, s27, 31
	s_wait_alu 0xfffe
	s_mul_hi_u32 s2, s1, s2
	s_mul_i32 s47, s46, s0
	s_wait_alu 0xfffe
	s_add_co_i32 s46, s1, s2
	s_mul_hi_u32 s1, s0, s47
	s_ashr_i32 s47, s52, 31
	s_wait_alu 0xfffe
	s_add_co_i32 s48, s0, s1
	s_sub_co_i32 s52, 0, s52
.LBB57_2:                               ; =>This Inner Loop Header: Depth=1
	v_sub_nc_u32_e32 v1, 0, v0
	v_ashrrev_i32_e32 v2, 31, v0
	s_delay_alu instid0(VALU_DEP_2) | instskip(NEXT) | instid1(VALU_DEP_2)
	v_max_i32_e32 v1, v0, v1
	v_xor_b32_e32 v3, s30, v2
	v_xor_b32_e32 v4, s41, v2
	;; [unrolled: 1-line block ×3, first 2 shown]
	s_delay_alu instid0(VALU_DEP_4) | instskip(SKIP_1) | instid1(VALU_DEP_2)
	v_mul_hi_u32 v5, v1, s39
	v_mul_hi_u32 v6, v1, s42
	v_mul_lo_u32 v8, v5, s26
	s_delay_alu instid0(VALU_DEP_2) | instskip(SKIP_2) | instid1(VALU_DEP_4)
	v_mul_lo_u32 v9, v6, s34
	v_add_nc_u32_e32 v10, 1, v5
	v_add_nc_u32_e32 v11, 1, v6
	v_sub_nc_u32_e32 v8, v1, v8
	s_delay_alu instid0(VALU_DEP_4) | instskip(NEXT) | instid1(VALU_DEP_2)
	v_sub_nc_u32_e32 v9, v1, v9
	v_subrev_nc_u32_e32 v12, s26, v8
	v_cmp_le_u32_e32 vcc_lo, s26, v8
	s_delay_alu instid0(VALU_DEP_3) | instskip(SKIP_1) | instid1(VALU_DEP_3)
	v_cmp_le_u32_e64 s0, s34, v9
	s_wait_alu 0xfffd
	v_dual_cndmask_b32 v8, v8, v12 :: v_dual_lshlrev_b32 v7, 2, v3
	v_cndmask_b32_e32 v5, v5, v10, vcc_lo
	v_subrev_nc_u32_e32 v10, s34, v9
	s_wait_alu 0xf1ff
	v_cndmask_b32_e64 v6, v6, v11, s0
	v_cmp_le_u32_e32 vcc_lo, s26, v8
	s_delay_alu instid0(VALU_DEP_3) | instskip(NEXT) | instid1(VALU_DEP_3)
	v_cndmask_b32_e64 v9, v9, v10, s0
	v_add_nc_u32_e32 v10, 1, v6
	v_add_nc_u32_e32 v11, 1, v5
	s_wait_alu 0xfffd
	s_delay_alu instid0(VALU_DEP_1) | instskip(SKIP_1) | instid1(VALU_DEP_2)
	v_cndmask_b32_e32 v5, v5, v11, vcc_lo
	v_cmp_le_u32_e32 vcc_lo, s34, v9
	v_xor_b32_e32 v15, v5, v3
	s_wait_alu 0xfffd
	v_cndmask_b32_e32 v6, v6, v10, vcc_lo
	s_delay_alu instid0(VALU_DEP_2) | instskip(NEXT) | instid1(VALU_DEP_2)
	v_sub_nc_u32_e32 v16, v15, v3
	v_xor_b32_e32 v5, v6, v4
	v_lshlrev_b32_e32 v6, 2, v15
	v_lshlrev_b32_e32 v3, 1, v3
	s_delay_alu instid0(VALU_DEP_4) | instskip(NEXT) | instid1(VALU_DEP_4)
	v_mul_lo_u32 v9, s49, v16
	v_sub_nc_u32_e32 v8, v5, v4
	s_delay_alu instid0(VALU_DEP_4) | instskip(NEXT) | instid1(VALU_DEP_2)
	v_sub_nc_u32_e32 v6, v6, v7
	v_mad_co_u64_u32 v[4:5], null, s51, v8, v[0:1]
	s_delay_alu instid0(VALU_DEP_2) | instskip(SKIP_3) | instid1(VALU_DEP_4)
	v_or_b32_e32 v5, 1, v6
	v_add_nc_u32_e32 v11, v0, v9
	v_or_b32_e32 v7, 2, v6
	v_or_b32_e32 v10, 3, v6
	v_mul_lo_u32 v12, s4, v5
	v_mul_lo_u32 v4, v4, s17
	v_ashrrev_i32_e32 v11, 31, v11
	v_mul_lo_u32 v7, s4, v7
	v_mul_lo_u32 v10, s4, v10
	v_add_nc_u32_e32 v13, v0, v12
	v_mad_co_u64_u32 v[4:5], null, v8, s16, v[4:5]
	v_add3_u32 v5, v11, v9, v0
	v_xor_b32_e32 v8, s33, v11
	s_delay_alu instid0(VALU_DEP_4)
	v_ashrrev_i32_e32 v13, 31, v13
	v_add_nc_u32_e32 v14, v0, v7
	v_add_nc_u32_e32 v17, v0, v10
	v_xor_b32_e32 v11, v5, v11
	v_ashrrev_i32_e32 v5, 31, v4
	v_add3_u32 v21, v13, v12, v0
	v_xor_b32_e32 v20, s33, v13
	v_ashrrev_i32_e32 v14, 31, v14
	v_mul_hi_u32 v19, v11, s40
	v_lshlrev_b64_e32 v[4:5], 1, v[4:5]
	v_xor_b32_e32 v13, v21, v13
	v_ashrrev_i32_e32 v17, 31, v17
	v_add3_u32 v23, v14, v7, v0
	v_xor_b32_e32 v22, s33, v14
	v_add_co_u32 v4, vcc_lo, s8, v4
	v_mul_lo_u32 v21, v19, s29
	s_wait_alu 0xfffd
	v_add_co_ci_u32_e64 v5, null, s9, v5, vcc_lo
	v_xor_b32_e32 v14, v23, v14
	v_add_nc_u32_e32 v23, 1, v19
	v_add3_u32 v25, v17, v10, v0
	global_load_u16 v4, v[4:5], off
	v_xor_b32_e32 v24, s33, v17
	v_sub_nc_u32_e32 v5, v11, v21
	v_xor_b32_e32 v17, v25, v17
	v_mul_hi_u32 v25, v13, s40
	s_delay_alu instid0(VALU_DEP_3)
	v_subrev_nc_u32_e32 v36, s29, v5
	v_cmp_le_u32_e32 vcc_lo, s29, v5
	v_add_nc_u32_e32 v6, 4, v6
	v_mul_hi_u32 v28, v17, s40
	s_wait_alu 0xfffd
	v_cndmask_b32_e32 v5, v5, v36, vcc_lo
	s_delay_alu instid0(VALU_DEP_3)
	v_mul_lo_u32 v6, s4, v6
	v_cndmask_b32_e32 v19, v19, v23, vcc_lo
	v_mul_lo_u32 v11, v25, s29
	v_add_nc_u32_e32 v21, 1, v25
	v_cmp_le_u32_e32 vcc_lo, s29, v5
	v_mul_lo_u32 v32, v28, s29
	v_add_nc_u32_e32 v23, 1, v19
	v_add_nc_u32_e32 v33, 1, v28
	;; [unrolled: 1-line block ×3, first 2 shown]
	v_sub_nc_u32_e32 v11, v13, v11
	s_wait_alu 0xfffd
	v_cndmask_b32_e32 v5, v19, v23, vcc_lo
	s_delay_alu instid0(VALU_DEP_3) | instskip(NEXT) | instid1(VALU_DEP_3)
	v_ashrrev_i32_e32 v18, 31, v18
	v_cmp_le_u32_e32 vcc_lo, s29, v11
	v_subrev_nc_u32_e32 v19, s29, v11
	s_delay_alu instid0(VALU_DEP_4) | instskip(NEXT) | instid1(VALU_DEP_4)
	v_xor_b32_e32 v5, v5, v8
	v_add3_u32 v27, v18, v6, v0
	v_xor_b32_e32 v26, s33, v18
	s_wait_alu 0xfffd
	v_cndmask_b32_e32 v11, v11, v19, vcc_lo
	v_sub_nc_u32_e32 v8, v5, v8
	v_xor_b32_e32 v18, v27, v18
	v_mul_hi_u32 v27, v14, s40
	s_delay_alu instid0(VALU_DEP_2) | instskip(NEXT) | instid1(VALU_DEP_2)
	v_mul_hi_u32 v29, v18, s40
	v_mul_lo_u32 v30, v27, s29
	v_add_nc_u32_e32 v31, 1, v27
	s_delay_alu instid0(VALU_DEP_3) | instskip(SKIP_1) | instid1(VALU_DEP_4)
	v_mul_lo_u32 v34, v29, s29
	v_add_nc_u32_e32 v35, 1, v29
	v_sub_nc_u32_e32 v13, v14, v30
	v_sub_nc_u32_e32 v14, v17, v32
	s_delay_alu instid0(VALU_DEP_4) | instskip(SKIP_1) | instid1(VALU_DEP_4)
	v_sub_nc_u32_e32 v17, v18, v34
	v_cndmask_b32_e32 v18, v25, v21, vcc_lo
	v_cmp_le_u32_e64 s0, s29, v13
	v_subrev_nc_u32_e32 v23, s29, v13
	v_cmp_le_u32_e64 s1, s29, v14
	v_cmp_le_u32_e64 s2, s29, v17
	v_add_nc_u32_e32 v19, 1, v18
	s_wait_alu 0xf1ff
	v_cndmask_b32_e64 v21, v27, v31, s0
	v_subrev_nc_u32_e32 v27, s29, v14
	v_cndmask_b32_e64 v13, v13, v23, s0
	v_cmp_le_u32_e32 vcc_lo, s29, v11
	v_cndmask_b32_e64 v25, v28, v33, s1
	v_cndmask_b32_e64 v28, v29, v35, s2
	v_subrev_nc_u32_e32 v29, s29, v17
	v_add_nc_u32_e32 v23, 1, v21
	v_cndmask_b32_e64 v14, v14, v27, s1
	s_wait_alu 0xfffd
	v_cndmask_b32_e32 v5, v18, v19, vcc_lo
	v_cmp_le_u32_e32 vcc_lo, s29, v13
	v_add_nc_u32_e32 v27, 1, v25
	v_cndmask_b32_e64 v17, v17, v29, s2
	v_add_nc_u32_e32 v29, 1, v28
	v_xor_b32_e32 v5, v5, v20
	s_wait_alu 0xfffd
	v_cndmask_b32_e32 v11, v21, v23, vcc_lo
	v_cmp_le_u32_e32 vcc_lo, s29, v14
	s_delay_alu instid0(VALU_DEP_3) | instskip(NEXT) | instid1(VALU_DEP_3)
	v_sub_nc_u32_e32 v18, v5, v20
	v_xor_b32_e32 v11, v11, v22
	s_wait_alu 0xfffd
	v_cndmask_b32_e32 v13, v25, v27, vcc_lo
	v_cmp_le_u32_e32 vcc_lo, s29, v17
	v_mul_lo_u32 v17, v8, s3
	v_sub_nc_u32_e32 v19, v11, v22
	s_delay_alu instid0(VALU_DEP_4) | instskip(SKIP_2) | instid1(VALU_DEP_3)
	v_xor_b32_e32 v13, v13, v24
	s_wait_alu 0xfffd
	v_cndmask_b32_e32 v14, v28, v29, vcc_lo
	v_mul_lo_u32 v11, v19, s3
	s_delay_alu instid0(VALU_DEP_3) | instskip(NEXT) | instid1(VALU_DEP_3)
	v_sub_nc_u32_e32 v13, v13, v24
	v_xor_b32_e32 v14, v14, v26
	v_sub_nc_u32_e32 v5, v9, v17
	v_mul_lo_u32 v9, v18, s3
	s_delay_alu instid0(VALU_DEP_3) | instskip(SKIP_1) | instid1(VALU_DEP_4)
	v_sub_nc_u32_e32 v20, v14, v26
	v_mul_lo_u32 v14, v13, s3
	v_add_nc_u32_e32 v5, v0, v5
	v_sub_nc_u32_e32 v7, v7, v11
	s_delay_alu instid0(VALU_DEP_4) | instskip(SKIP_1) | instid1(VALU_DEP_4)
	v_mul_lo_u32 v17, v20, s3
	v_sub_nc_u32_e32 v9, v12, v9
	v_mul_lo_u32 v5, v5, s25
	s_delay_alu instid0(VALU_DEP_4) | instskip(SKIP_1) | instid1(VALU_DEP_4)
	v_add_nc_u32_e32 v11, v0, v7
	v_sub_nc_u32_e32 v10, v10, v14
	v_add_nc_u32_e32 v9, v0, v9
	v_sub_nc_u32_e32 v6, v6, v17
	s_delay_alu instid0(VALU_DEP_3) | instskip(NEXT) | instid1(VALU_DEP_3)
	v_add_nc_u32_e32 v10, v0, v10
	v_mul_lo_u32 v7, v9, s25
	s_delay_alu instid0(VALU_DEP_3) | instskip(SKIP_3) | instid1(VALU_DEP_4)
	v_add_nc_u32_e32 v12, v0, v6
	v_mad_co_u64_u32 v[5:6], null, v8, s24, v[5:6]
	v_mul_lo_u32 v8, v11, s25
	v_mul_lo_u32 v9, v10, s25
	;; [unrolled: 1-line block ×3, first 2 shown]
	s_delay_alu instid0(VALU_DEP_4) | instskip(NEXT) | instid1(VALU_DEP_4)
	v_ashrrev_i32_e32 v6, 31, v5
	v_mad_co_u64_u32 v[11:12], null, v18, s24, v[7:8]
	s_delay_alu instid0(VALU_DEP_4) | instskip(NEXT) | instid1(VALU_DEP_4)
	v_mad_co_u64_u32 v[7:8], null, v19, s24, v[8:9]
	v_mad_co_u64_u32 v[13:14], null, v13, s24, v[9:10]
	s_delay_alu instid0(VALU_DEP_4) | instskip(NEXT) | instid1(VALU_DEP_4)
	v_lshlrev_b64_e32 v[5:6], 1, v[5:6]
	v_mad_co_u64_u32 v[9:10], null, v20, s24, v[10:11]
	v_ashrrev_i32_e32 v12, 31, v11
	v_ashrrev_i32_e32 v8, 31, v7
	;; [unrolled: 1-line block ×3, first 2 shown]
	v_add_co_u32 v5, vcc_lo, s22, v5
	s_delay_alu instid0(VALU_DEP_4)
	v_lshlrev_b64_e32 v[11:12], 1, v[11:12]
	s_wait_alu 0xfffd
	v_add_co_ci_u32_e64 v6, null, s23, v6, vcc_lo
	v_ashrrev_i32_e32 v10, 31, v9
	v_lshlrev_b64_e32 v[7:8], 1, v[7:8]
	v_lshlrev_b64_e32 v[13:14], 1, v[13:14]
	global_load_u16 v18, v[5:6], off
	v_add_co_u32 v5, vcc_lo, s22, v11
	v_lshlrev_b64_e32 v[9:10], 1, v[9:10]
	s_wait_alu 0xfffd
	v_add_co_ci_u32_e64 v6, null, s23, v12, vcc_lo
	v_add_co_u32 v7, vcc_lo, s22, v7
	s_wait_alu 0xfffd
	v_add_co_ci_u32_e64 v8, null, s23, v8, vcc_lo
	v_add_co_u32 v11, vcc_lo, s22, v13
	;; [unrolled: 3-line block ×3, first 2 shown]
	s_wait_alu 0xfffd
	v_add_co_ci_u32_e64 v10, null, s23, v10, vcc_lo
	s_clause 0x3
	global_load_u16 v19, v[11:12], off
	global_load_u16 v20, v[5:6], off
	;; [unrolled: 1-line block ×4, first 2 shown]
	v_mul_hi_u32 v5, v1, s48
	s_delay_alu instid0(VALU_DEP_1) | instskip(SKIP_1) | instid1(VALU_DEP_2)
	v_mul_lo_u32 v6, v5, s37
	v_add_nc_u32_e32 v7, 1, v5
	v_sub_nc_u32_e32 v1, v1, v6
	s_delay_alu instid0(VALU_DEP_1) | instskip(SKIP_3) | instid1(VALU_DEP_3)
	v_subrev_nc_u32_e32 v6, s37, v1
	v_cmp_le_u32_e32 vcc_lo, s37, v1
	s_wait_alu 0xfffd
	v_cndmask_b32_e32 v5, v5, v7, vcc_lo
	v_cndmask_b32_e32 v1, v1, v6, vcc_lo
	v_mul_lo_u32 v7, s50, v16
	s_delay_alu instid0(VALU_DEP_3) | instskip(NEXT) | instid1(VALU_DEP_3)
	v_add_nc_u32_e32 v6, 1, v5
	v_cmp_le_u32_e32 vcc_lo, s37, v1
	s_wait_alu 0xfffd
	s_delay_alu instid0(VALU_DEP_2) | instskip(SKIP_1) | instid1(VALU_DEP_2)
	v_cndmask_b32_e32 v1, v5, v6, vcc_lo
	v_lshlrev_b32_e32 v5, 1, v15
	v_xor_b32_e32 v1, v1, v2
	s_delay_alu instid0(VALU_DEP_2) | instskip(SKIP_1) | instid1(VALU_DEP_3)
	v_sub_nc_u32_e32 v3, v5, v3
	v_add_nc_u32_e32 v5, v0, v7
	v_sub_nc_u32_e32 v6, v1, v2
	s_delay_alu instid0(VALU_DEP_1) | instskip(NEXT) | instid1(VALU_DEP_4)
	v_mad_co_u64_u32 v[1:2], null, s52, v6, v[0:1]
	v_or_b32_e32 v2, 1, v3
	v_add_nc_u32_e32 v3, 2, v3
	s_delay_alu instid0(VALU_DEP_2) | instskip(NEXT) | instid1(VALU_DEP_4)
	v_mul_lo_u32 v8, s4, v2
	v_mul_lo_u32 v1, v1, s21
	s_delay_alu instid0(VALU_DEP_3) | instskip(SKIP_1) | instid1(VALU_DEP_4)
	v_mul_lo_u32 v9, s4, v3
	v_ashrrev_i32_e32 v3, 31, v5
	v_add_nc_u32_e32 v5, v0, v8
	s_delay_alu instid0(VALU_DEP_4) | instskip(NEXT) | instid1(VALU_DEP_3)
	v_mad_co_u64_u32 v[1:2], null, v6, s20, v[1:2]
	v_add3_u32 v2, v3, v7, v0
	v_xor_b32_e32 v6, s43, v3
	v_xor_b32_e32 v11, s45, v3
	v_ashrrev_i32_e32 v5, 31, v5
	v_add_nc_u32_e32 v10, v0, v9
	v_xor_b32_e32 v3, v2, v3
	v_ashrrev_i32_e32 v2, 31, v1
	s_delay_alu instid0(VALU_DEP_4) | instskip(SKIP_1) | instid1(VALU_DEP_4)
	v_add3_u32 v14, v5, v8, v0
	v_xor_b32_e32 v13, s43, v5
	v_mul_hi_u32 v12, v3, s44
	v_mul_hi_u32 v17, v3, s46
	v_xor_b32_e32 v23, s45, v5
	v_xor_b32_e32 v5, v14, v5
	v_ashrrev_i32_e32 v10, 31, v10
	v_lshlrev_b64_e32 v[1:2], 1, v[1:2]
	v_mul_lo_u32 v14, v12, s35
	v_mul_lo_u32 v25, v17, s36
	s_delay_alu instid0(VALU_DEP_4) | instskip(NEXT) | instid1(VALU_DEP_4)
	v_add3_u32 v16, v10, v9, v0
	v_add_co_u32 v1, vcc_lo, s18, v1
	v_mul_hi_u32 v27, v5, s44
	v_mul_hi_u32 v29, v5, s46
	v_xor_b32_e32 v15, s43, v10
	v_sub_nc_u32_e32 v14, v3, v14
	v_sub_nc_u32_e32 v3, v3, v25
	v_xor_b32_e32 v24, s45, v10
	v_xor_b32_e32 v10, v16, v10
	s_wait_alu 0xfffd
	v_add_co_ci_u32_e64 v2, null, s19, v2, vcc_lo
	v_add_nc_u32_e32 v16, 1, v12
	v_add_nc_u32_e32 v26, 1, v17
	v_cmp_le_u32_e32 vcc_lo, s35, v14
	v_cmp_le_u32_e64 s0, s36, v3
	v_mul_lo_u32 v25, v27, s35
	v_mul_lo_u32 v34, v29, s36
	v_mul_hi_u32 v28, v10, s44
	s_wait_alu 0xfffd
	v_cndmask_b32_e32 v12, v12, v16, vcc_lo
	s_wait_alu 0xf1ff
	v_cndmask_b32_e64 v16, v17, v26, s0
	v_subrev_nc_u32_e32 v17, s36, v3
	v_mul_hi_u32 v30, v10, s46
	v_add_nc_u32_e32 v35, 1, v29
	v_sub_nc_u32_e32 v25, v5, v25
	v_sub_nc_u32_e32 v5, v5, v34
	v_cndmask_b32_e64 v3, v3, v17, s0
	v_add_nc_u32_e32 v17, 1, v16
	v_subrev_nc_u32_e32 v38, s35, v14
	v_mul_lo_u32 v32, v28, s35
	v_mul_lo_u32 v36, v30, s36
	v_cmp_le_u32_e64 s1, s36, v3
	s_delay_alu instid0(VALU_DEP_4)
	v_dual_cndmask_b32 v14, v14, v38 :: v_dual_add_nc_u32 v31, 1, v27
	v_add_nc_u32_e32 v33, 1, v28
	v_add_nc_u32_e32 v37, 1, v30
	s_wait_alu 0xf1ff
	v_cndmask_b32_e64 v3, v16, v17, s1
	v_cmp_le_u32_e64 s1, s36, v5
	v_subrev_nc_u32_e32 v17, s36, v5
	v_sub_nc_u32_e32 v32, v10, v32
	v_sub_nc_u32_e32 v10, v10, v36
	v_cmp_le_u32_e32 vcc_lo, s35, v14
	s_wait_alu 0xf1ff
	v_cndmask_b32_e64 v16, v29, v35, s1
	v_cndmask_b32_e64 v5, v5, v17, s1
	v_cmp_le_u32_e64 s0, s35, v32
	v_cmp_le_u32_e64 s2, s36, v10
	v_xor_b32_e32 v3, v3, v11
	v_add_nc_u32_e32 v17, 1, v16
	v_add_nc_u32_e32 v26, 1, v12
	s_wait_alu 0xf1ff
	v_cndmask_b32_e64 v29, v30, v37, s2
	v_subrev_nc_u32_e32 v30, s36, v10
	v_sub_nc_u32_e32 v11, v3, v11
	s_wait_alu 0xfffd
	v_cndmask_b32_e32 v12, v12, v26, vcc_lo
	v_cmp_le_u32_e32 vcc_lo, s35, v25
	v_subrev_nc_u32_e32 v26, s35, v25
	v_cndmask_b32_e64 v10, v10, v30, s2
	v_add_nc_u32_e32 v30, 1, v29
	v_xor_b32_e32 v12, v12, v6
	s_wait_alu 0xfffd
	v_cndmask_b32_e32 v14, v27, v31, vcc_lo
	v_cndmask_b32_e64 v27, v28, v33, s0
	v_subrev_nc_u32_e32 v28, s35, v32
	v_cndmask_b32_e32 v25, v25, v26, vcc_lo
	v_sub_nc_u32_e32 v6, v12, v6
	v_add_nc_u32_e32 v26, 1, v14
	v_add_nc_u32_e32 v31, 1, v27
	v_cndmask_b32_e64 v28, v32, v28, s0
	v_cmp_le_u32_e32 vcc_lo, s35, v25
	s_wait_alu 0xfffd
	v_cndmask_b32_e32 v12, v14, v26, vcc_lo
	s_delay_alu instid0(VALU_DEP_3) | instskip(NEXT) | instid1(VALU_DEP_2)
	v_cmp_le_u32_e32 vcc_lo, s35, v28
	v_xor_b32_e32 v12, v12, v13
	s_wait_alu 0xfffd
	v_cndmask_b32_e32 v14, v27, v31, vcc_lo
	v_cmp_le_u32_e32 vcc_lo, s36, v5
	s_delay_alu instid0(VALU_DEP_3) | instskip(NEXT) | instid1(VALU_DEP_3)
	v_sub_nc_u32_e32 v12, v12, v13
	v_xor_b32_e32 v14, v14, v15
	s_wait_alu 0xfffd
	v_cndmask_b32_e32 v3, v16, v17, vcc_lo
	v_cmp_le_u32_e32 vcc_lo, s36, v10
	v_mul_lo_u32 v10, v6, s28
	v_mul_lo_u32 v16, v11, s27
	v_sub_nc_u32_e32 v14, v14, v15
	v_xor_b32_e32 v3, v3, v23
	s_wait_alu 0xfffd
	v_cndmask_b32_e32 v5, v29, v30, vcc_lo
	s_delay_alu instid0(VALU_DEP_2) | instskip(NEXT) | instid1(VALU_DEP_2)
	v_sub_nc_u32_e32 v17, v3, v23
	v_xor_b32_e32 v5, v5, v24
	v_sub_nc_u32_e32 v3, v7, v10
	v_mul_lo_u32 v10, v14, s28
	s_delay_alu instid0(VALU_DEP_4) | instskip(NEXT) | instid1(VALU_DEP_4)
	v_mul_lo_u32 v13, v17, s27
	v_sub_nc_u32_e32 v23, v5, v24
	v_sub_nc_u32_e32 v5, v7, v16
	v_mul_lo_u32 v7, v12, s28
	v_add_nc_u32_e32 v3, v0, v3
	s_delay_alu instid0(VALU_DEP_4) | instskip(NEXT) | instid1(VALU_DEP_4)
	v_mul_lo_u32 v15, v23, s27
	v_add_nc_u32_e32 v5, v0, v5
	v_sub_nc_u32_e32 v10, v9, v10
	s_delay_alu instid0(VALU_DEP_4)
	v_mul_lo_u32 v3, v3, s13
	v_sub_nc_u32_e32 v7, v8, v7
	v_sub_nc_u32_e32 v8, v8, v13
	v_mul_lo_u32 v5, v5, s7
	v_sub_nc_u32_e32 v9, v9, v15
	v_add_nc_u32_e32 v10, v0, v10
	v_add_nc_u32_e32 v13, v0, v7
	s_wait_loadcnt 0x5
	v_mad_co_u64_u32 v[6:7], null, v6, s12, v[3:4]
	v_add_nc_u32_e32 v15, v0, v8
	v_add_nc_u32_e32 v16, v0, v9
	v_mul_lo_u32 v3, v13, s13
	s_delay_alu instid0(VALU_DEP_4)
	v_mad_co_u64_u32 v[8:9], null, v11, s6, v[5:6]
	v_mul_lo_u32 v5, v10, s13
	v_mul_lo_u32 v10, v15, s7
	;; [unrolled: 1-line block ×3, first 2 shown]
	v_mad_co_u64_u32 v[12:13], null, v12, s12, v[3:4]
	v_ashrrev_i32_e32 v7, 31, v6
	v_cvt_f32_f16_e32 v3, v4
	v_ashrrev_i32_e32 v9, 31, v8
	v_mad_co_u64_u32 v[14:15], null, v14, s12, v[5:6]
	v_mad_co_u64_u32 v[16:17], null, v17, s6, v[10:11]
	;; [unrolled: 1-line block ×3, first 2 shown]
	v_ashrrev_i32_e32 v13, 31, v12
	v_lshlrev_b64_e32 v[5:6], 1, v[6:7]
	v_ashrrev_i32_e32 v15, 31, v14
	v_lshlrev_b64_e32 v[7:8], 1, v[8:9]
	;; [unrolled: 2-line block ×4, first 2 shown]
	s_delay_alu instid0(VALU_DEP_4) | instskip(NEXT) | instid1(VALU_DEP_3)
	v_lshlrev_b64_e32 v[16:17], 1, v[16:17]
	v_lshlrev_b64_e32 v[9:10], 1, v[10:11]
	s_wait_loadcnt 0x3
	v_cvt_f32_f16_e32 v19, v19
	s_wait_loadcnt 0x2
	v_cvt_f32_f16_e32 v23, v20
	s_wait_loadcnt 0x1
	v_cvt_f32_f16_e32 v24, v21
	v_fma_mix_f32 v21, -v21, v21, s53 op_sel_hi:[1,1,0]
	s_wait_loadcnt 0x0
	v_cvt_f32_f16_e32 v22, v22
	v_mul_f16_e32 v4, v20, v4
	v_sub_f32_e32 v23, 1.0, v23
	v_sub_f32_e32 v19, v19, v24
	v_add_nc_u32_e32 v0, s38, v0
	s_delay_alu instid0(VALU_DEP_3) | instskip(NEXT) | instid1(VALU_DEP_3)
	v_mul_f32_e32 v24, v23, v3
	v_mul_f32_e32 v3, v19, v3
	s_delay_alu instid0(VALU_DEP_3) | instskip(NEXT) | instid1(VALU_DEP_3)
	v_cmp_le_i32_e32 vcc_lo, s5, v0
	v_mul_f32_e32 v19, v21, v24
	s_delay_alu instid0(VALU_DEP_3)
	v_mul_f32_e32 v3, v23, v3
	s_or_b32 s31, vcc_lo, s31
	v_add_co_u32 v5, vcc_lo, s10, v5
	s_wait_alu 0xfffd
	v_add_co_ci_u32_e64 v6, null, s11, v6, vcc_lo
	v_add_co_u32 v7, vcc_lo, s14, v7
	s_wait_alu 0xfffd
	v_add_co_ci_u32_e64 v8, null, s15, v8, vcc_lo
	;; [unrolled: 3-line block ×5, first 2 shown]
	v_cvt_f32_f16_e32 v17, v18
	v_mul_f32_e32 v22, v19, v22
	v_fma_mixlo_f16 v3, v3, v20, 0 op_sel_hi:[0,1,0]
	v_fma_mixlo_f16 v21, v21, v24, 0
	v_add_co_u32 v9, vcc_lo, s14, v9
	v_sub_f32_e32 v17, 1.0, v17
	s_wait_alu 0xfffd
	v_add_co_ci_u32_e64 v10, null, s15, v10, vcc_lo
	v_fma_mixlo_f16 v19, v19, v18, 0 op_sel_hi:[0,1,0]
	s_delay_alu instid0(VALU_DEP_3) | instskip(NEXT) | instid1(VALU_DEP_1)
	v_mul_f32_e32 v17, v17, v22
	v_fma_mixlo_f16 v17, v17, v18, 0 op_sel_hi:[0,1,0]
	s_clause 0x2
	global_store_b16 v[5:6], v17, off
	global_store_b16 v[11:12], v3, off
	;; [unrolled: 1-line block ×3, first 2 shown]
	s_clause 0x2
	global_store_b16 v[7:8], v17, off
	global_store_b16 v[15:16], v3, off
	;; [unrolled: 1-line block ×4, first 2 shown]
	s_wait_alu 0xfffe
	s_and_not1_b32 exec_lo, exec_lo, s31
	s_cbranch_execnz .LBB57_2
.LBB57_3:
	s_endpgm
	.section	.rodata,"a",@progbits
	.p2align	6, 0x0
	.amdhsa_kernel _ZN2at6native12_GLOBAL__N_16kernel17gru_cell_backwardIN3c104HalfEfiLi2EEEvNS_4cuda6detail10TensorInfoIT_T1_EESB_SB_SB_SB_SA_SA_
		.amdhsa_group_segment_fixed_size 0
		.amdhsa_private_segment_fixed_size 0
		.amdhsa_kernarg_size 1344
		.amdhsa_user_sgpr_count 2
		.amdhsa_user_sgpr_dispatch_ptr 0
		.amdhsa_user_sgpr_queue_ptr 0
		.amdhsa_user_sgpr_kernarg_segment_ptr 1
		.amdhsa_user_sgpr_dispatch_id 0
		.amdhsa_user_sgpr_private_segment_size 0
		.amdhsa_wavefront_size32 1
		.amdhsa_uses_dynamic_stack 0
		.amdhsa_enable_private_segment 0
		.amdhsa_system_sgpr_workgroup_id_x 1
		.amdhsa_system_sgpr_workgroup_id_y 0
		.amdhsa_system_sgpr_workgroup_id_z 0
		.amdhsa_system_sgpr_workgroup_info 0
		.amdhsa_system_vgpr_workitem_id 0
		.amdhsa_next_free_vgpr 39
		.amdhsa_next_free_sgpr 54
		.amdhsa_reserve_vcc 1
		.amdhsa_float_round_mode_32 0
		.amdhsa_float_round_mode_16_64 0
		.amdhsa_float_denorm_mode_32 3
		.amdhsa_float_denorm_mode_16_64 3
		.amdhsa_fp16_overflow 0
		.amdhsa_workgroup_processor_mode 1
		.amdhsa_memory_ordered 1
		.amdhsa_forward_progress 1
		.amdhsa_inst_pref_size 26
		.amdhsa_round_robin_scheduling 0
		.amdhsa_exception_fp_ieee_invalid_op 0
		.amdhsa_exception_fp_denorm_src 0
		.amdhsa_exception_fp_ieee_div_zero 0
		.amdhsa_exception_fp_ieee_overflow 0
		.amdhsa_exception_fp_ieee_underflow 0
		.amdhsa_exception_fp_ieee_inexact 0
		.amdhsa_exception_int_div_zero 0
	.end_amdhsa_kernel
	.section	.text._ZN2at6native12_GLOBAL__N_16kernel17gru_cell_backwardIN3c104HalfEfiLi2EEEvNS_4cuda6detail10TensorInfoIT_T1_EESB_SB_SB_SB_SA_SA_,"axG",@progbits,_ZN2at6native12_GLOBAL__N_16kernel17gru_cell_backwardIN3c104HalfEfiLi2EEEvNS_4cuda6detail10TensorInfoIT_T1_EESB_SB_SB_SB_SA_SA_,comdat
.Lfunc_end57:
	.size	_ZN2at6native12_GLOBAL__N_16kernel17gru_cell_backwardIN3c104HalfEfiLi2EEEvNS_4cuda6detail10TensorInfoIT_T1_EESB_SB_SB_SB_SA_SA_, .Lfunc_end57-_ZN2at6native12_GLOBAL__N_16kernel17gru_cell_backwardIN3c104HalfEfiLi2EEEvNS_4cuda6detail10TensorInfoIT_T1_EESB_SB_SB_SB_SA_SA_
                                        ; -- End function
	.set _ZN2at6native12_GLOBAL__N_16kernel17gru_cell_backwardIN3c104HalfEfiLi2EEEvNS_4cuda6detail10TensorInfoIT_T1_EESB_SB_SB_SB_SA_SA_.num_vgpr, 39
	.set _ZN2at6native12_GLOBAL__N_16kernel17gru_cell_backwardIN3c104HalfEfiLi2EEEvNS_4cuda6detail10TensorInfoIT_T1_EESB_SB_SB_SB_SA_SA_.num_agpr, 0
	.set _ZN2at6native12_GLOBAL__N_16kernel17gru_cell_backwardIN3c104HalfEfiLi2EEEvNS_4cuda6detail10TensorInfoIT_T1_EESB_SB_SB_SB_SA_SA_.numbered_sgpr, 54
	.set _ZN2at6native12_GLOBAL__N_16kernel17gru_cell_backwardIN3c104HalfEfiLi2EEEvNS_4cuda6detail10TensorInfoIT_T1_EESB_SB_SB_SB_SA_SA_.num_named_barrier, 0
	.set _ZN2at6native12_GLOBAL__N_16kernel17gru_cell_backwardIN3c104HalfEfiLi2EEEvNS_4cuda6detail10TensorInfoIT_T1_EESB_SB_SB_SB_SA_SA_.private_seg_size, 0
	.set _ZN2at6native12_GLOBAL__N_16kernel17gru_cell_backwardIN3c104HalfEfiLi2EEEvNS_4cuda6detail10TensorInfoIT_T1_EESB_SB_SB_SB_SA_SA_.uses_vcc, 1
	.set _ZN2at6native12_GLOBAL__N_16kernel17gru_cell_backwardIN3c104HalfEfiLi2EEEvNS_4cuda6detail10TensorInfoIT_T1_EESB_SB_SB_SB_SA_SA_.uses_flat_scratch, 0
	.set _ZN2at6native12_GLOBAL__N_16kernel17gru_cell_backwardIN3c104HalfEfiLi2EEEvNS_4cuda6detail10TensorInfoIT_T1_EESB_SB_SB_SB_SA_SA_.has_dyn_sized_stack, 0
	.set _ZN2at6native12_GLOBAL__N_16kernel17gru_cell_backwardIN3c104HalfEfiLi2EEEvNS_4cuda6detail10TensorInfoIT_T1_EESB_SB_SB_SB_SA_SA_.has_recursion, 0
	.set _ZN2at6native12_GLOBAL__N_16kernel17gru_cell_backwardIN3c104HalfEfiLi2EEEvNS_4cuda6detail10TensorInfoIT_T1_EESB_SB_SB_SB_SA_SA_.has_indirect_call, 0
	.section	.AMDGPU.csdata,"",@progbits
; Kernel info:
; codeLenInByte = 3284
; TotalNumSgprs: 56
; NumVgprs: 39
; ScratchSize: 0
; MemoryBound: 0
; FloatMode: 240
; IeeeMode: 1
; LDSByteSize: 0 bytes/workgroup (compile time only)
; SGPRBlocks: 0
; VGPRBlocks: 4
; NumSGPRsForWavesPerEU: 56
; NumVGPRsForWavesPerEU: 39
; Occupancy: 16
; WaveLimiterHint : 1
; COMPUTE_PGM_RSRC2:SCRATCH_EN: 0
; COMPUTE_PGM_RSRC2:USER_SGPR: 2
; COMPUTE_PGM_RSRC2:TRAP_HANDLER: 0
; COMPUTE_PGM_RSRC2:TGID_X_EN: 1
; COMPUTE_PGM_RSRC2:TGID_Y_EN: 0
; COMPUTE_PGM_RSRC2:TGID_Z_EN: 0
; COMPUTE_PGM_RSRC2:TIDIG_COMP_CNT: 0
	.section	.text._ZN2at6native12_GLOBAL__N_16kernel17gru_cell_backwardIN3c104HalfEflLi1EEEvNS_4cuda6detail10TensorInfoIT_T1_EESB_SB_SB_SB_SA_SA_,"axG",@progbits,_ZN2at6native12_GLOBAL__N_16kernel17gru_cell_backwardIN3c104HalfEflLi1EEEvNS_4cuda6detail10TensorInfoIT_T1_EESB_SB_SB_SB_SA_SA_,comdat
	.globl	_ZN2at6native12_GLOBAL__N_16kernel17gru_cell_backwardIN3c104HalfEflLi1EEEvNS_4cuda6detail10TensorInfoIT_T1_EESB_SB_SB_SB_SA_SA_ ; -- Begin function _ZN2at6native12_GLOBAL__N_16kernel17gru_cell_backwardIN3c104HalfEflLi1EEEvNS_4cuda6detail10TensorInfoIT_T1_EESB_SB_SB_SB_SA_SA_
	.p2align	8
	.type	_ZN2at6native12_GLOBAL__N_16kernel17gru_cell_backwardIN3c104HalfEflLi1EEEvNS_4cuda6detail10TensorInfoIT_T1_EESB_SB_SB_SB_SA_SA_,@function
_ZN2at6native12_GLOBAL__N_16kernel17gru_cell_backwardIN3c104HalfEflLi1EEEvNS_4cuda6detail10TensorInfoIT_T1_EESB_SB_SB_SB_SA_SA_: ; @_ZN2at6native12_GLOBAL__N_16kernel17gru_cell_backwardIN3c104HalfEflLi1EEEvNS_4cuda6detail10TensorInfoIT_T1_EESB_SB_SB_SB_SA_SA_
; %bb.0:
	s_clause 0x1
	s_load_b32 s2, s[0:1], 0x83c
	s_load_b128 s[4:7], s[0:1], 0x820
	v_mov_b32_e32 v1, 0
	s_wait_kmcnt 0x0
	s_and_b32 s20, s2, 0xffff
	s_mov_b32 s2, exec_lo
	s_delay_alu instid0(VALU_DEP_1) | instskip(SKIP_1) | instid1(VALU_DEP_1)
	v_mad_co_u64_u32 v[3:4], null, ttmp9, s20, v[0:1]
	v_mov_b32_e32 v4, v1
	v_cmpx_gt_i64_e64 s[6:7], v[3:4]
	s_cbranch_execz .LBB58_7
; %bb.1:
	s_clause 0x1
	s_load_b64 s[24:25], s[0:1], 0x410
	s_load_b64 s[26:27], s[0:1], 0x5b0
	v_cvt_f32_u32_e32 v0, s4
	s_add_nc_u64 s[2:3], s[0:1], 0x830
	s_clause 0x1
	s_load_b64 s[28:29], s[0:1], 0x340
	s_load_b64 s[30:31], s[0:1], 0x4e0
	s_load_b32 s22, s[2:3], 0x0
	s_clause 0x5
	s_load_b64 s[2:3], s[0:1], 0x0
	s_load_b64 s[8:9], s[0:1], 0xd0
	;; [unrolled: 1-line block ×6, first 2 shown]
	s_sub_co_i32 s0, 0, s4
	s_mov_b32 s1, 0
	v_rcp_iflag_f32_e32 v0, v0
	s_wait_alu 0xfffe
	s_mov_b32 s21, s1
	s_lshl_b64 s[18:19], s[4:5], 2
	s_mov_b32 s33, 0
	s_delay_alu instid0(TRANS32_DEP_1)
	v_mul_f32_e32 v0, 0x4f7ffffe, v0
	s_wait_kmcnt 0x0
	s_mul_i32 s20, s22, s20
	s_lshl_b64 s[22:23], s[4:5], 1
	v_mul_lo_u32 v2, 0, s24
	v_mul_lo_u32 v9, v3, s25
	v_mad_co_u64_u32 v[5:6], null, v3, s24, 0
	v_mul_lo_u32 v10, 0, s26
	v_mul_lo_u32 v11, v3, s27
	v_mad_co_u64_u32 v[7:8], null, v3, s26, 0
	v_cvt_u32_f32_e32 v0, v0
	s_wait_alu 0xfffe
	s_mul_u64 s[24:25], s[20:21], s[24:25]
	v_add3_u32 v6, v6, v9, v2
	s_mul_u64 s[26:27], s[20:21], s[26:27]
	s_wait_alu 0xfffe
	s_lshl_b64 s[24:25], s[24:25], 1
	v_mul_lo_u32 v2, s0, v0
	v_add3_u32 v8, v8, v11, v10
	v_lshlrev_b64_e32 v[5:6], 1, v[5:6]
	s_lshl_b64 s[26:27], s[26:27], 1
	s_mov_b32 s21, 1.0
	s_delay_alu instid0(VALU_DEP_2) | instskip(NEXT) | instid1(VALU_DEP_4)
	v_lshlrev_b64_e32 v[7:8], 1, v[7:8]
	v_mul_hi_u32 v2, v0, v2
	s_delay_alu instid0(VALU_DEP_3) | instskip(NEXT) | instid1(VALU_DEP_1)
	v_add_co_u32 v5, vcc_lo, s28, v5
	v_add_co_ci_u32_e64 v6, null, s29, v6, vcc_lo
	s_delay_alu instid0(VALU_DEP_4)
	v_add_co_u32 v7, vcc_lo, s30, v7
	s_wait_alu 0xfffd
	v_add_co_ci_u32_e64 v8, null, s31, v8, vcc_lo
	v_add_nc_u32_e32 v0, v0, v2
	s_ashr_i32 s28, s5, 31
	s_branch .LBB58_3
.LBB58_2:                               ;   in Loop: Header=BB58_3 Depth=1
	s_wait_alu 0xfffe
	s_or_b32 exec_lo, exec_lo, s0
	s_delay_alu instid0(VALU_DEP_1) | instskip(SKIP_3) | instid1(VALU_DEP_4)
	v_lshlrev_b64_e32 v[11:12], 2, v[9:10]
	v_mad_co_u64_u32 v[13:14], null, s18, v9, v[3:4]
	v_mul_lo_u32 v17, s18, v10
	v_mul_lo_u32 v18, s19, v9
	v_or_b32_e32 v2, 1, v11
	v_mul_lo_u32 v23, s4, v12
	v_or_b32_e32 v19, 2, v11
	v_mul_lo_u32 v25, v13, s17
	s_delay_alu instid0(VALU_DEP_4)
	v_mul_lo_u32 v20, s5, v2
	v_mad_co_u64_u32 v[15:16], null, s4, v2, v[3:4]
	v_add3_u32 v24, v18, v14, v17
	v_mul_lo_u32 v21, s5, v19
	v_mad_co_u64_u32 v[17:18], null, s4, v19, v[3:4]
	v_or_b32_e32 v2, 3, v11
	v_add3_u32 v16, v20, v16, v23
	v_mul_lo_u32 v26, v15, s17
	v_mad_co_u64_u32 v[14:15], null, v15, s16, 0
	v_mad_co_u64_u32 v[19:20], null, v13, s16, 0
	s_delay_alu instid0(VALU_DEP_4) | instskip(SKIP_4) | instid1(VALU_DEP_4)
	v_mul_lo_u32 v16, v16, s16
	v_add3_u32 v13, v21, v18, v23
	v_mul_lo_u32 v18, s5, v2
	v_mad_co_u64_u32 v[21:22], null, s4, v2, v[3:4]
	v_mul_lo_u32 v2, v24, s16
	v_mul_lo_u32 v24, v13, s16
	v_add_co_u32 v13, vcc_lo, v11, 4
	v_add3_u32 v15, v15, v26, v16
	s_wait_alu 0xfffd
	v_add_co_ci_u32_e64 v16, null, 0, v12, vcc_lo
	v_mul_lo_u32 v26, v17, s17
	v_mad_co_u64_u32 v[11:12], null, v17, s16, 0
	v_add3_u32 v18, v18, v22, v23
	s_delay_alu instid0(VALU_DEP_4)
	v_mul_lo_u32 v23, s4, v16
	v_mul_lo_u32 v27, s5, v13
	v_mad_co_u64_u32 v[16:17], null, s4, v13, v[3:4]
	v_add3_u32 v20, v20, v25, v2
	v_lshlrev_b64_e32 v[13:14], 1, v[14:15]
	v_mul_lo_u32 v2, v18, s16
	v_mul_lo_u32 v15, v21, s17
	v_mad_co_u64_u32 v[21:22], null, v21, s16, 0
	v_add3_u32 v17, v27, v17, v23
	v_add3_u32 v12, v12, v26, v24
	v_add_co_u32 v13, vcc_lo, s14, v13
	v_mul_lo_u32 v23, v16, s17
	s_wait_alu 0xfffd
	v_add_co_ci_u32_e64 v14, null, s15, v14, vcc_lo
	v_add3_u32 v22, v22, v15, v2
	v_mul_lo_u32 v2, v17, s16
	v_mad_co_u64_u32 v[15:16], null, v16, s16, 0
	v_lshlrev_b64_e32 v[11:12], 1, v[11:12]
	global_load_u16 v24, v[13:14], off
	v_lshlrev_b64_e32 v[13:14], 1, v[21:22]
	v_lshlrev_b64_e32 v[17:18], 1, v[19:20]
	v_add3_u32 v16, v16, v23, v2
	v_add_co_u32 v11, vcc_lo, s14, v11
	s_wait_alu 0xfffd
	v_add_co_ci_u32_e64 v12, null, s15, v12, vcc_lo
	v_add_co_u32 v13, vcc_lo, s14, v13
	v_lshlrev_b64_e32 v[15:16], 1, v[15:16]
	s_wait_alu 0xfffd
	v_add_co_ci_u32_e64 v14, null, s15, v14, vcc_lo
	v_add_co_u32 v17, vcc_lo, s14, v17
	global_load_u16 v2, v[5:6], off
	s_wait_alu 0xfffd
	v_add_co_ci_u32_e64 v18, null, s15, v18, vcc_lo
	s_clause 0x1
	global_load_u16 v21, v[11:12], off
	global_load_u16 v22, v[13:14], off
	v_add_co_u32 v11, vcc_lo, s14, v15
	s_wait_alu 0xfffd
	v_add_co_ci_u32_e64 v12, null, s15, v16, vcc_lo
	s_clause 0x1
	global_load_u16 v23, v[17:18], off
	global_load_u16 v25, v[11:12], off
	v_lshlrev_b64_e32 v[13:14], 1, v[9:10]
	v_mad_co_u64_u32 v[11:12], null, s22, v9, v[3:4]
	v_mul_lo_u32 v15, s22, v10
	v_mul_lo_u32 v9, s23, v9
	v_add_co_u32 v5, vcc_lo, v5, s24
	v_or_b32_e32 v16, 1, v13
	s_wait_alu 0xfffd
	v_add_co_ci_u32_e64 v6, null, s25, v6, vcc_lo
	v_add_co_u32 v18, vcc_lo, v13, 2
	v_mul_lo_u32 v17, s4, v14
	s_wait_alu 0xfffd
	v_add_co_ci_u32_e64 v19, null, 0, v14, vcc_lo
	v_add3_u32 v20, v9, v12, v15
	v_mul_lo_u32 v28, s5, v16
	v_mad_co_u64_u32 v[13:14], null, s4, v16, v[3:4]
	v_mul_lo_u32 v26, v11, s9
	v_mad_co_u64_u32 v[9:10], null, v11, s8, 0
	v_mad_co_u64_u32 v[15:16], null, s4, v18, v[3:4]
	v_mul_lo_u32 v19, s4, v19
	v_mul_lo_u32 v29, s5, v18
	;; [unrolled: 1-line block ×3, first 2 shown]
	v_add3_u32 v28, v28, v14, v17
	v_mul_lo_u32 v27, v11, s13
	v_mad_co_u64_u32 v[11:12], null, v11, s12, 0
	v_mul_lo_u32 v31, v20, s12
	v_mul_lo_u32 v32, v13, s9
	v_mad_co_u64_u32 v[17:18], null, v13, s8, 0
	v_add3_u32 v29, v29, v16, v19
	v_add3_u32 v10, v10, v26, v30
	v_mul_lo_u32 v26, v28, s8
	v_mul_lo_u32 v33, v15, s9
	v_mad_co_u64_u32 v[19:20], null, v15, s8, 0
	v_add3_u32 v12, v12, v27, v31
	v_mul_lo_u32 v27, v29, s8
	v_mul_lo_u32 v34, v13, s13
	v_mad_co_u64_u32 v[13:14], null, v13, s12, 0
	v_add3_u32 v18, v18, v32, v26
	v_mul_lo_u32 v35, v15, s13
	v_mad_co_u64_u32 v[15:16], null, v15, s12, 0
	v_mul_lo_u32 v28, v28, s12
	v_mul_lo_u32 v29, v29, s12
	v_add3_u32 v20, v20, v33, v27
	v_lshlrev_b64_e32 v[9:10], 1, v[9:10]
	v_lshlrev_b64_e32 v[11:12], 1, v[11:12]
	;; [unrolled: 1-line block ×3, first 2 shown]
	v_add_co_u32 v3, vcc_lo, v3, s20
	v_add3_u32 v14, v14, v34, v28
	v_add3_u32 v16, v16, v35, v29
	v_add_co_u32 v9, s0, s2, v9
	v_lshlrev_b64_e32 v[19:20], 1, v[19:20]
	s_wait_alu 0xf1ff
	v_add_co_ci_u32_e64 v10, null, s3, v10, s0
	v_add_co_u32 v11, s0, s10, v11
	v_lshlrev_b64_e32 v[13:14], 1, v[13:14]
	s_wait_alu 0xf1ff
	v_add_co_ci_u32_e64 v12, null, s11, v12, s0
	v_lshlrev_b64_e32 v[15:16], 1, v[15:16]
	v_add_co_u32 v17, s0, s2, v17
	s_wait_alu 0xfffd
	v_add_co_ci_u32_e64 v4, null, 0, v4, vcc_lo
	s_wait_alu 0xf1ff
	v_add_co_ci_u32_e64 v18, null, s3, v18, s0
	v_add_co_u32 v19, s0, s2, v19
	s_wait_alu 0xf1ff
	v_add_co_ci_u32_e64 v20, null, s3, v20, s0
	v_add_co_u32 v13, s0, s10, v13
	;; [unrolled: 3-line block ×3, first 2 shown]
	v_cmp_le_i64_e32 vcc_lo, s[6:7], v[3:4]
	s_wait_alu 0xf1ff
	v_add_co_ci_u32_e64 v16, null, s11, v16, s0
	s_or_b32 s33, vcc_lo, s33
	s_wait_loadcnt 0x5
	v_cvt_f32_f16_e32 v26, v24
	s_wait_loadcnt 0x4
	v_cvt_f32_f16_e32 v27, v2
	v_mul_f16_e32 v2, v24, v2
	s_wait_loadcnt 0x3
	v_cvt_f32_f16_e32 v28, v21
	s_wait_loadcnt 0x2
	v_cvt_f32_f16_e32 v22, v22
	v_fma_mix_f32 v21, -v21, v21, s21 op_sel_hi:[1,1,0]
	s_delay_alu instid0(VALU_DEP_2)
	v_sub_f32_e32 v22, v22, v28
	s_wait_loadcnt 0x1
	v_cvt_f32_f16_e32 v30, v23
	s_wait_loadcnt 0x0
	v_cvt_f32_f16_e32 v25, v25
	v_sub_f32_e32 v26, 1.0, v26
	v_mul_f32_e32 v22, v22, v27
	s_delay_alu instid0(VALU_DEP_2) | instskip(NEXT) | instid1(VALU_DEP_1)
	v_dual_sub_f32 v30, 1.0, v30 :: v_dual_mul_f32 v29, v26, v27
	v_mul_f32_e32 v28, v21, v29
	v_fma_mixlo_f16 v21, v21, v29, 0
	s_delay_alu instid0(VALU_DEP_2) | instskip(NEXT) | instid1(VALU_DEP_1)
	v_dual_mul_f32 v25, v28, v25 :: v_dual_mul_f32 v22, v26, v22
	v_mul_f32_e32 v25, v30, v25
	s_delay_alu instid0(VALU_DEP_2) | instskip(NEXT) | instid1(VALU_DEP_2)
	v_fma_mixlo_f16 v22, v22, v24, 0 op_sel_hi:[0,1,0]
	v_fma_mixlo_f16 v25, v25, v23, 0 op_sel_hi:[0,1,0]
	;; [unrolled: 1-line block ×3, first 2 shown]
	s_clause 0x2
	global_store_b16 v[9:10], v25, off
	global_store_b16 v[17:18], v22, off
	;; [unrolled: 1-line block ×3, first 2 shown]
	s_clause 0x2
	global_store_b16 v[11:12], v25, off
	global_store_b16 v[13:14], v22, off
	;; [unrolled: 1-line block ×4, first 2 shown]
	v_add_co_u32 v7, s0, v7, s26
	s_wait_alu 0xf1ff
	v_add_co_ci_u32_e64 v8, null, s27, v8, s0
	s_and_not1_b32 exec_lo, exec_lo, s33
	s_cbranch_execz .LBB58_7
.LBB58_3:                               ; =>This Inner Loop Header: Depth=1
	v_or_b32_e32 v2, s5, v4
                                        ; implicit-def: $vgpr9_vgpr10
	s_mov_b32 s0, exec_lo
	s_delay_alu instid0(VALU_DEP_1)
	v_cmpx_ne_u64_e32 0, v[1:2]
	s_wait_alu 0xfffe
	s_xor_b32 s34, exec_lo, s0
	s_cbranch_execz .LBB58_5
; %bb.4:                                ;   in Loop: Header=BB58_3 Depth=1
	s_mov_b32 s29, s28
	v_ashrrev_i32_e32 v2, 31, v4
	s_wait_alu 0xfffe
	s_add_nc_u64 s[30:31], s[4:5], s[28:29]
	s_wait_alu 0xfffe
	s_xor_b64 s[30:31], s[30:31], s[28:29]
	v_add_co_u32 v9, vcc_lo, v3, v2
	s_wait_alu 0xfffe
	s_cvt_f32_u32 s0, s30
	s_cvt_f32_u32 s29, s31
	s_sub_nc_u64 s[38:39], 0, s[30:31]
	s_wait_alu 0xfffd
	v_add_co_ci_u32_e64 v10, null, v4, v2, vcc_lo
	s_wait_alu 0xfffe
	s_fmamk_f32 s0, s29, 0x4f800000, s0
	v_xor_b32_e32 v15, v9, v2
	s_delay_alu instid0(VALU_DEP_2) | instskip(SKIP_3) | instid1(TRANS32_DEP_1)
	v_xor_b32_e32 v16, v10, v2
	s_wait_alu 0xfffe
	v_s_rcp_f32 s0, s0
	v_xor_b32_e32 v2, s28, v2
	s_mul_f32 s0, s0, 0x5f7ffffc
	s_wait_alu 0xfffe
	s_delay_alu instid0(SALU_CYCLE_2) | instskip(SKIP_1) | instid1(SALU_CYCLE_2)
	s_mul_f32 s29, s0, 0x2f800000
	s_wait_alu 0xfffe
	s_trunc_f32 s29, s29
	s_wait_alu 0xfffe
	s_delay_alu instid0(SALU_CYCLE_2) | instskip(SKIP_2) | instid1(SALU_CYCLE_1)
	s_fmamk_f32 s0, s29, 0xcf800000, s0
	s_cvt_u32_f32 s37, s29
	s_wait_alu 0xfffe
	s_cvt_u32_f32 s36, s0
	s_delay_alu instid0(SALU_CYCLE_3) | instskip(NEXT) | instid1(SALU_CYCLE_1)
	s_mul_u64 s[40:41], s[38:39], s[36:37]
	s_mul_hi_u32 s43, s36, s41
	s_mul_i32 s42, s36, s41
	s_mul_hi_u32 s0, s36, s40
	s_mul_i32 s35, s37, s40
	s_wait_alu 0xfffe
	s_add_nc_u64 s[42:43], s[0:1], s[42:43]
	s_mul_hi_u32 s29, s37, s40
	s_mul_hi_u32 s44, s37, s41
	s_add_co_u32 s0, s42, s35
	s_wait_alu 0xfffe
	s_add_co_ci_u32 s0, s43, s29
	s_mul_i32 s40, s37, s41
	s_add_co_ci_u32 s41, s44, 0
	s_wait_alu 0xfffe
	s_add_nc_u64 s[40:41], s[0:1], s[40:41]
	s_delay_alu instid0(SALU_CYCLE_1) | instskip(SKIP_4) | instid1(SALU_CYCLE_1)
	s_add_co_u32 s36, s36, s40
	s_cselect_b32 s0, -1, 0
	s_wait_alu 0xfffe
	s_cmp_lg_u32 s0, 0
	s_add_co_ci_u32 s37, s37, s41
	s_mul_u64 s[38:39], s[38:39], s[36:37]
	s_delay_alu instid0(SALU_CYCLE_1)
	s_mul_hi_u32 s41, s36, s39
	s_mul_i32 s40, s36, s39
	s_mul_hi_u32 s0, s36, s38
	s_mul_i32 s35, s37, s38
	s_wait_alu 0xfffe
	s_add_nc_u64 s[40:41], s[0:1], s[40:41]
	s_mul_hi_u32 s29, s37, s38
	s_mul_hi_u32 s42, s37, s39
	s_add_co_u32 s0, s40, s35
	s_wait_alu 0xfffe
	s_add_co_ci_u32 s0, s41, s29
	s_mul_i32 s38, s37, s39
	s_add_co_ci_u32 s39, s42, 0
	s_wait_alu 0xfffe
	s_add_nc_u64 s[38:39], s[0:1], s[38:39]
	s_delay_alu instid0(SALU_CYCLE_1)
	s_add_co_u32 s0, s36, s38
	s_cselect_b32 s29, -1, 0
	s_wait_alu 0xfffe
	v_mul_hi_u32 v17, v15, s0
	s_cmp_lg_u32 s29, 0
	v_mad_co_u64_u32 v[11:12], null, v16, s0, 0
	s_add_co_ci_u32 s29, s37, s39
	s_wait_alu 0xfffe
	v_mad_co_u64_u32 v[9:10], null, v15, s29, 0
	v_mad_co_u64_u32 v[13:14], null, v16, s29, 0
	s_delay_alu instid0(VALU_DEP_2) | instskip(SKIP_1) | instid1(VALU_DEP_3)
	v_add_co_u32 v9, vcc_lo, v17, v9
	s_wait_alu 0xfffd
	v_add_co_ci_u32_e64 v10, null, 0, v10, vcc_lo
	s_delay_alu instid0(VALU_DEP_2) | instskip(SKIP_1) | instid1(VALU_DEP_2)
	v_add_co_u32 v9, vcc_lo, v9, v11
	s_wait_alu 0xfffd
	v_add_co_ci_u32_e32 v9, vcc_lo, v10, v12, vcc_lo
	s_wait_alu 0xfffd
	v_add_co_ci_u32_e32 v10, vcc_lo, 0, v14, vcc_lo
	s_delay_alu instid0(VALU_DEP_2) | instskip(SKIP_1) | instid1(VALU_DEP_2)
	v_add_co_u32 v11, vcc_lo, v9, v13
	s_wait_alu 0xfffd
	v_add_co_ci_u32_e64 v12, null, 0, v10, vcc_lo
	s_delay_alu instid0(VALU_DEP_2) | instskip(SKIP_1) | instid1(VALU_DEP_3)
	v_mul_lo_u32 v13, s31, v11
	v_mad_co_u64_u32 v[9:10], null, s30, v11, 0
	v_mul_lo_u32 v14, s30, v12
	s_delay_alu instid0(VALU_DEP_2) | instskip(NEXT) | instid1(VALU_DEP_2)
	v_sub_co_u32 v9, vcc_lo, v15, v9
	v_add3_u32 v10, v10, v14, v13
	v_add_co_u32 v14, s0, v11, 2
	s_wait_alu 0xf1ff
	v_add_co_ci_u32_e64 v15, null, 0, v12, s0
	s_delay_alu instid0(VALU_DEP_3) | instskip(SKIP_3) | instid1(VALU_DEP_3)
	v_sub_nc_u32_e32 v13, v16, v10
	v_sub_co_u32 v17, s0, v9, s30
	s_wait_alu 0xfffd
	v_sub_co_ci_u32_e64 v10, null, v16, v10, vcc_lo
	v_subrev_co_ci_u32_e64 v13, null, s31, v13, vcc_lo
	s_delay_alu instid0(VALU_DEP_3) | instskip(SKIP_1) | instid1(VALU_DEP_2)
	v_cmp_le_u32_e32 vcc_lo, s30, v17
	s_wait_alu 0xf1ff
	v_subrev_co_ci_u32_e64 v13, null, 0, v13, s0
	s_wait_alu 0xfffd
	v_cndmask_b32_e64 v16, 0, -1, vcc_lo
	s_delay_alu instid0(VALU_DEP_2)
	v_cmp_le_u32_e32 vcc_lo, s31, v13
	s_wait_alu 0xfffd
	v_cndmask_b32_e64 v17, 0, -1, vcc_lo
	v_cmp_le_u32_e32 vcc_lo, s30, v9
	s_wait_alu 0xfffd
	v_cndmask_b32_e64 v9, 0, -1, vcc_lo
	;; [unrolled: 3-line block ×3, first 2 shown]
	v_cmp_eq_u32_e32 vcc_lo, s31, v13
	s_wait_alu 0xfffd
	v_cndmask_b32_e32 v13, v17, v16, vcc_lo
	v_add_co_u32 v16, vcc_lo, v11, 1
	s_wait_alu 0xfffd
	v_add_co_ci_u32_e64 v17, null, 0, v12, vcc_lo
	v_cmp_eq_u32_e32 vcc_lo, s31, v10
	s_wait_alu 0xfffd
	v_cndmask_b32_e32 v9, v18, v9, vcc_lo
	v_cmp_ne_u32_e32 vcc_lo, 0, v13
	s_wait_alu 0xfffd
	v_cndmask_b32_e32 v10, v17, v15, vcc_lo
	s_delay_alu instid0(VALU_DEP_3) | instskip(SKIP_2) | instid1(VALU_DEP_2)
	v_cmp_ne_u32_e64 s0, 0, v9
	v_cndmask_b32_e32 v9, v16, v14, vcc_lo
	s_wait_alu 0xf1ff
	v_cndmask_b32_e64 v10, v12, v10, s0
	s_delay_alu instid0(VALU_DEP_2) | instskip(NEXT) | instid1(VALU_DEP_2)
	v_cndmask_b32_e64 v9, v11, v9, s0
	v_xor_b32_e32 v10, v10, v2
	s_delay_alu instid0(VALU_DEP_2) | instskip(NEXT) | instid1(VALU_DEP_1)
	v_xor_b32_e32 v9, v9, v2
	v_sub_co_u32 v9, vcc_lo, v9, v2
	s_wait_alu 0xfffd
	s_delay_alu instid0(VALU_DEP_3)
	v_sub_co_ci_u32_e64 v10, null, v10, v2, vcc_lo
.LBB58_5:                               ;   in Loop: Header=BB58_3 Depth=1
	s_and_not1_saveexec_b32 s0, s34
	s_cbranch_execz .LBB58_2
; %bb.6:                                ;   in Loop: Header=BB58_3 Depth=1
	v_mul_hi_u32 v2, v3, v0
	s_delay_alu instid0(VALU_DEP_1) | instskip(NEXT) | instid1(VALU_DEP_1)
	v_mul_lo_u32 v9, v2, s4
	v_sub_nc_u32_e32 v9, v3, v9
	s_delay_alu instid0(VALU_DEP_1) | instskip(SKIP_2) | instid1(VALU_DEP_2)
	v_subrev_nc_u32_e32 v11, s4, v9
	v_cmp_le_u32_e32 vcc_lo, s4, v9
	s_wait_alu 0xfffd
	v_dual_cndmask_b32 v9, v9, v11 :: v_dual_add_nc_u32 v10, 1, v2
	s_delay_alu instid0(VALU_DEP_1) | instskip(NEXT) | instid1(VALU_DEP_2)
	v_cndmask_b32_e32 v2, v2, v10, vcc_lo
	v_cmp_le_u32_e32 vcc_lo, s4, v9
	s_delay_alu instid0(VALU_DEP_2) | instskip(SKIP_1) | instid1(VALU_DEP_1)
	v_add_nc_u32_e32 v10, 1, v2
	s_wait_alu 0xfffd
	v_dual_cndmask_b32 v9, v2, v10 :: v_dual_mov_b32 v10, v1
	s_branch .LBB58_2
.LBB58_7:
	s_endpgm
	.section	.rodata,"a",@progbits
	.p2align	6, 0x0
	.amdhsa_kernel _ZN2at6native12_GLOBAL__N_16kernel17gru_cell_backwardIN3c104HalfEflLi1EEEvNS_4cuda6detail10TensorInfoIT_T1_EESB_SB_SB_SB_SA_SA_
		.amdhsa_group_segment_fixed_size 0
		.amdhsa_private_segment_fixed_size 0
		.amdhsa_kernarg_size 2352
		.amdhsa_user_sgpr_count 2
		.amdhsa_user_sgpr_dispatch_ptr 0
		.amdhsa_user_sgpr_queue_ptr 0
		.amdhsa_user_sgpr_kernarg_segment_ptr 1
		.amdhsa_user_sgpr_dispatch_id 0
		.amdhsa_user_sgpr_private_segment_size 0
		.amdhsa_wavefront_size32 1
		.amdhsa_uses_dynamic_stack 0
		.amdhsa_enable_private_segment 0
		.amdhsa_system_sgpr_workgroup_id_x 1
		.amdhsa_system_sgpr_workgroup_id_y 0
		.amdhsa_system_sgpr_workgroup_id_z 0
		.amdhsa_system_sgpr_workgroup_info 0
		.amdhsa_system_vgpr_workitem_id 0
		.amdhsa_next_free_vgpr 36
		.amdhsa_next_free_sgpr 45
		.amdhsa_reserve_vcc 1
		.amdhsa_float_round_mode_32 0
		.amdhsa_float_round_mode_16_64 0
		.amdhsa_float_denorm_mode_32 3
		.amdhsa_float_denorm_mode_16_64 3
		.amdhsa_fp16_overflow 0
		.amdhsa_workgroup_processor_mode 1
		.amdhsa_memory_ordered 1
		.amdhsa_forward_progress 1
		.amdhsa_inst_pref_size 21
		.amdhsa_round_robin_scheduling 0
		.amdhsa_exception_fp_ieee_invalid_op 0
		.amdhsa_exception_fp_denorm_src 0
		.amdhsa_exception_fp_ieee_div_zero 0
		.amdhsa_exception_fp_ieee_overflow 0
		.amdhsa_exception_fp_ieee_underflow 0
		.amdhsa_exception_fp_ieee_inexact 0
		.amdhsa_exception_int_div_zero 0
	.end_amdhsa_kernel
	.section	.text._ZN2at6native12_GLOBAL__N_16kernel17gru_cell_backwardIN3c104HalfEflLi1EEEvNS_4cuda6detail10TensorInfoIT_T1_EESB_SB_SB_SB_SA_SA_,"axG",@progbits,_ZN2at6native12_GLOBAL__N_16kernel17gru_cell_backwardIN3c104HalfEflLi1EEEvNS_4cuda6detail10TensorInfoIT_T1_EESB_SB_SB_SB_SA_SA_,comdat
.Lfunc_end58:
	.size	_ZN2at6native12_GLOBAL__N_16kernel17gru_cell_backwardIN3c104HalfEflLi1EEEvNS_4cuda6detail10TensorInfoIT_T1_EESB_SB_SB_SB_SA_SA_, .Lfunc_end58-_ZN2at6native12_GLOBAL__N_16kernel17gru_cell_backwardIN3c104HalfEflLi1EEEvNS_4cuda6detail10TensorInfoIT_T1_EESB_SB_SB_SB_SA_SA_
                                        ; -- End function
	.set _ZN2at6native12_GLOBAL__N_16kernel17gru_cell_backwardIN3c104HalfEflLi1EEEvNS_4cuda6detail10TensorInfoIT_T1_EESB_SB_SB_SB_SA_SA_.num_vgpr, 36
	.set _ZN2at6native12_GLOBAL__N_16kernel17gru_cell_backwardIN3c104HalfEflLi1EEEvNS_4cuda6detail10TensorInfoIT_T1_EESB_SB_SB_SB_SA_SA_.num_agpr, 0
	.set _ZN2at6native12_GLOBAL__N_16kernel17gru_cell_backwardIN3c104HalfEflLi1EEEvNS_4cuda6detail10TensorInfoIT_T1_EESB_SB_SB_SB_SA_SA_.numbered_sgpr, 45
	.set _ZN2at6native12_GLOBAL__N_16kernel17gru_cell_backwardIN3c104HalfEflLi1EEEvNS_4cuda6detail10TensorInfoIT_T1_EESB_SB_SB_SB_SA_SA_.num_named_barrier, 0
	.set _ZN2at6native12_GLOBAL__N_16kernel17gru_cell_backwardIN3c104HalfEflLi1EEEvNS_4cuda6detail10TensorInfoIT_T1_EESB_SB_SB_SB_SA_SA_.private_seg_size, 0
	.set _ZN2at6native12_GLOBAL__N_16kernel17gru_cell_backwardIN3c104HalfEflLi1EEEvNS_4cuda6detail10TensorInfoIT_T1_EESB_SB_SB_SB_SA_SA_.uses_vcc, 1
	.set _ZN2at6native12_GLOBAL__N_16kernel17gru_cell_backwardIN3c104HalfEflLi1EEEvNS_4cuda6detail10TensorInfoIT_T1_EESB_SB_SB_SB_SA_SA_.uses_flat_scratch, 0
	.set _ZN2at6native12_GLOBAL__N_16kernel17gru_cell_backwardIN3c104HalfEflLi1EEEvNS_4cuda6detail10TensorInfoIT_T1_EESB_SB_SB_SB_SA_SA_.has_dyn_sized_stack, 0
	.set _ZN2at6native12_GLOBAL__N_16kernel17gru_cell_backwardIN3c104HalfEflLi1EEEvNS_4cuda6detail10TensorInfoIT_T1_EESB_SB_SB_SB_SA_SA_.has_recursion, 0
	.set _ZN2at6native12_GLOBAL__N_16kernel17gru_cell_backwardIN3c104HalfEflLi1EEEvNS_4cuda6detail10TensorInfoIT_T1_EESB_SB_SB_SB_SA_SA_.has_indirect_call, 0
	.section	.AMDGPU.csdata,"",@progbits
; Kernel info:
; codeLenInByte = 2648
; TotalNumSgprs: 47
; NumVgprs: 36
; ScratchSize: 0
; MemoryBound: 0
; FloatMode: 240
; IeeeMode: 1
; LDSByteSize: 0 bytes/workgroup (compile time only)
; SGPRBlocks: 0
; VGPRBlocks: 4
; NumSGPRsForWavesPerEU: 47
; NumVGPRsForWavesPerEU: 36
; Occupancy: 16
; WaveLimiterHint : 1
; COMPUTE_PGM_RSRC2:SCRATCH_EN: 0
; COMPUTE_PGM_RSRC2:USER_SGPR: 2
; COMPUTE_PGM_RSRC2:TRAP_HANDLER: 0
; COMPUTE_PGM_RSRC2:TGID_X_EN: 1
; COMPUTE_PGM_RSRC2:TGID_Y_EN: 0
; COMPUTE_PGM_RSRC2:TGID_Z_EN: 0
; COMPUTE_PGM_RSRC2:TIDIG_COMP_CNT: 0
	.section	.text._ZN2at6native12_GLOBAL__N_16kernel17gru_cell_backwardIN3c104HalfEflLi2EEEvNS_4cuda6detail10TensorInfoIT_T1_EESB_SB_SB_SB_SA_SA_,"axG",@progbits,_ZN2at6native12_GLOBAL__N_16kernel17gru_cell_backwardIN3c104HalfEflLi2EEEvNS_4cuda6detail10TensorInfoIT_T1_EESB_SB_SB_SB_SA_SA_,comdat
	.globl	_ZN2at6native12_GLOBAL__N_16kernel17gru_cell_backwardIN3c104HalfEflLi2EEEvNS_4cuda6detail10TensorInfoIT_T1_EESB_SB_SB_SB_SA_SA_ ; -- Begin function _ZN2at6native12_GLOBAL__N_16kernel17gru_cell_backwardIN3c104HalfEflLi2EEEvNS_4cuda6detail10TensorInfoIT_T1_EESB_SB_SB_SB_SA_SA_
	.p2align	8
	.type	_ZN2at6native12_GLOBAL__N_16kernel17gru_cell_backwardIN3c104HalfEflLi2EEEvNS_4cuda6detail10TensorInfoIT_T1_EESB_SB_SB_SB_SA_SA_,@function
_ZN2at6native12_GLOBAL__N_16kernel17gru_cell_backwardIN3c104HalfEflLi2EEEvNS_4cuda6detail10TensorInfoIT_T1_EESB_SB_SB_SB_SA_SA_: ; @_ZN2at6native12_GLOBAL__N_16kernel17gru_cell_backwardIN3c104HalfEflLi2EEEvNS_4cuda6detail10TensorInfoIT_T1_EESB_SB_SB_SB_SA_SA_
; %bb.0:
	s_clause 0x1
	s_load_b32 s2, s[0:1], 0x83c
	s_load_b128 s[4:7], s[0:1], 0x820
	v_mov_b32_e32 v1, 0
	s_wait_kmcnt 0x0
	s_and_b32 s33, s2, 0xffff
	s_mov_b32 s2, exec_lo
	s_delay_alu instid0(VALU_DEP_1) | instskip(SKIP_1) | instid1(VALU_DEP_1)
	v_mad_co_u64_u32 v[3:4], null, ttmp9, s33, v[0:1]
	v_mov_b32_e32 v4, v1
	v_cmpx_gt_i64_e64 s[6:7], v[3:4]
	s_cbranch_execz .LBB59_59
; %bb.1:
	s_clause 0x1
	s_load_b64 s[2:3], s[0:1], 0x690
	s_load_b64 s[28:29], s[0:1], 0x680
	v_cvt_f32_u32_e32 v0, s4
	s_add_nc_u64 s[8:9], s[0:1], 0x830
	s_clause 0x1
	s_load_b64 s[30:31], s[0:1], 0x0
	s_load_b64 s[34:35], s[0:1], 0x10
	s_load_b32 s48, s[8:9], 0x0
	s_clause 0xa
	s_load_b128 s[8:11], s[0:1], 0xd0
	s_load_b64 s[36:37], s[0:1], 0x1a0
	s_load_b64 s[38:39], s[0:1], 0x1b0
	s_load_b128 s[12:15], s[0:1], 0x270
	s_load_b64 s[40:41], s[0:1], 0x340
	s_load_b64 s[42:43], s[0:1], 0x350
	;; [unrolled: 1-line block ×3, first 2 shown]
	s_load_b128 s[16:19], s[0:1], 0x410
	s_load_b64 s[46:47], s[0:1], 0x4e0
	s_load_b128 s[20:23], s[0:1], 0x5b0
	s_load_b128 s[24:27], s[0:1], 0x750
	s_mov_b32 s1, 0
	v_rcp_iflag_f32_e32 v0, v0
	s_lshl_b64 s[50:51], s[4:5], 1
	s_mov_b32 s62, 1.0
	s_ashr_i32 s56, s5, 31
	s_mov_b32 s63, 0
	s_wait_kmcnt 0x0
	s_mul_i32 s33, s48, s33
	s_delay_alu instid0(TRANS32_DEP_1) | instskip(SKIP_2) | instid1(VALU_DEP_2)
	v_mul_f32_e32 v0, 0x4f7ffffe, v0
	s_lshl_b64 s[48:49], s[4:5], 2
	v_cvt_f32_u32_e32 v2, s2
	v_cvt_u32_f32_e32 v0, v0
	s_sub_nc_u64 s[52:53], 0, s[42:43]
	s_delay_alu instid0(VALU_DEP_2) | instskip(SKIP_1) | instid1(TRANS32_DEP_1)
	v_rcp_iflag_f32_e32 v2, v2
	s_sub_nc_u64 s[54:55], 0, s[44:45]
	v_mul_f32_e32 v2, 0x4f7ffffe, v2
	s_delay_alu instid0(VALU_DEP_1)
	v_cvt_u32_f32_e32 v13, v2
	s_branch .LBB59_3
.LBB59_2:                               ;   in Loop: Header=BB59_3 Depth=1
	s_wait_alu 0xfffe
	s_or_b32 exec_lo, exec_lo, s0
	s_delay_alu instid0(VALU_DEP_1)
	v_mad_co_u64_u32 v[7:8], null, s54, v5, v[3:4]
	v_mul_lo_u32 v2, s54, v6
	v_mul_lo_u32 v9, s55, v5
	;; [unrolled: 1-line block ×4, first 2 shown]
	v_mad_co_u64_u32 v[5:6], null, v5, s20, 0
	v_add_co_u32 v3, vcc_lo, v3, s33
	s_wait_alu 0xfffd
	v_add_co_ci_u32_e64 v4, null, 0, v4, vcc_lo
	v_add3_u32 v2, v9, v8, v2
	v_mul_lo_u32 v9, v7, s23
	v_mad_co_u64_u32 v[7:8], null, v7, s22, 0
	v_add3_u32 v6, v6, v11, v10
	s_delay_alu instid0(VALU_DEP_4) | instskip(SKIP_1) | instid1(VALU_DEP_3)
	v_mul_lo_u32 v2, v2, s22
	v_mul_f16_e32 v10, v15, v16
	v_lshlrev_b64_e32 v[5:6], 1, v[5:6]
	s_delay_alu instid0(VALU_DEP_3) | instskip(NEXT) | instid1(VALU_DEP_2)
	v_add3_u32 v8, v8, v9, v2
	v_add_co_u32 v2, vcc_lo, s46, v5
	s_wait_alu 0xfffd
	s_delay_alu instid0(VALU_DEP_3) | instskip(NEXT) | instid1(VALU_DEP_3)
	v_add_co_ci_u32_e64 v6, null, s47, v6, vcc_lo
	v_lshlrev_b64_e32 v[7:8], 1, v[7:8]
	v_cmp_le_i64_e32 vcc_lo, s[6:7], v[3:4]
	s_delay_alu instid0(VALU_DEP_2) | instskip(SKIP_1) | instid1(VALU_DEP_3)
	v_add_co_u32 v5, s0, v2, v7
	s_wait_alu 0xf1ff
	v_add_co_ci_u32_e64 v6, null, v6, v8, s0
	s_or_b32 s63, vcc_lo, s63
	global_store_b16 v[5:6], v10, off
	s_wait_alu 0xfffe
	s_and_not1_b32 exec_lo, exec_lo, s63
	s_cbranch_execz .LBB59_59
.LBB59_3:                               ; =>This Inner Loop Header: Depth=1
	v_or_b32_e32 v2, s5, v4
	v_ashrrev_i32_e32 v14, 31, v4
                                        ; implicit-def: $vgpr5_vgpr6
	s_mov_b32 s0, exec_lo
	s_delay_alu instid0(VALU_DEP_2)
	v_cmpx_ne_u64_e32 0, v[1:2]
	s_wait_alu 0xfffe
	s_xor_b32 s60, exec_lo, s0
	s_cbranch_execz .LBB59_5
; %bb.4:                                ;   in Loop: Header=BB59_3 Depth=1
	s_mov_b32 s57, s56
	v_add_co_u32 v2, vcc_lo, v3, v14
	s_wait_alu 0xfffe
	s_add_nc_u64 s[58:59], s[4:5], s[56:57]
	s_wait_alu 0xfffd
	v_add_co_ci_u32_e64 v5, null, v4, v14, vcc_lo
	s_wait_alu 0xfffe
	s_xor_b64 s[58:59], s[58:59], s[56:57]
	v_xor_b32_e32 v2, v2, v14
	s_wait_alu 0xfffe
	s_cvt_f32_u32 s0, s58
	s_cvt_f32_u32 s57, s59
	s_sub_nc_u64 s[66:67], 0, s[58:59]
	v_xor_b32_e32 v11, v5, v14
	s_wait_alu 0xfffe
	s_fmamk_f32 s0, s57, 0x4f800000, s0
	s_wait_alu 0xfffe
	s_delay_alu instid0(SALU_CYCLE_2) | instskip(NEXT) | instid1(TRANS32_DEP_1)
	v_s_rcp_f32 s0, s0
	s_mul_f32 s0, s0, 0x5f7ffffc
	s_wait_alu 0xfffe
	s_delay_alu instid0(SALU_CYCLE_2) | instskip(SKIP_1) | instid1(SALU_CYCLE_2)
	s_mul_f32 s57, s0, 0x2f800000
	s_wait_alu 0xfffe
	s_trunc_f32 s57, s57
	s_wait_alu 0xfffe
	s_delay_alu instid0(SALU_CYCLE_2) | instskip(SKIP_2) | instid1(SALU_CYCLE_1)
	s_fmamk_f32 s0, s57, 0xcf800000, s0
	s_cvt_u32_f32 s65, s57
	s_wait_alu 0xfffe
	s_cvt_u32_f32 s64, s0
	s_delay_alu instid0(SALU_CYCLE_3) | instskip(NEXT) | instid1(SALU_CYCLE_1)
	s_mul_u64 s[68:69], s[66:67], s[64:65]
	s_mul_hi_u32 s71, s64, s69
	s_mul_i32 s70, s64, s69
	s_mul_hi_u32 s0, s64, s68
	s_mul_i32 s61, s65, s68
	s_wait_alu 0xfffe
	s_add_nc_u64 s[70:71], s[0:1], s[70:71]
	s_mul_hi_u32 s57, s65, s68
	s_mul_hi_u32 s72, s65, s69
	s_add_co_u32 s0, s70, s61
	s_wait_alu 0xfffe
	s_add_co_ci_u32 s0, s71, s57
	s_mul_i32 s68, s65, s69
	s_add_co_ci_u32 s69, s72, 0
	s_wait_alu 0xfffe
	s_add_nc_u64 s[68:69], s[0:1], s[68:69]
	s_delay_alu instid0(SALU_CYCLE_1) | instskip(SKIP_4) | instid1(SALU_CYCLE_1)
	s_add_co_u32 s64, s64, s68
	s_cselect_b32 s0, -1, 0
	s_wait_alu 0xfffe
	s_cmp_lg_u32 s0, 0
	s_add_co_ci_u32 s65, s65, s69
	s_mul_u64 s[66:67], s[66:67], s[64:65]
	s_delay_alu instid0(SALU_CYCLE_1)
	s_mul_hi_u32 s69, s64, s67
	s_mul_i32 s68, s64, s67
	s_mul_hi_u32 s0, s64, s66
	s_mul_i32 s61, s65, s66
	s_wait_alu 0xfffe
	s_add_nc_u64 s[68:69], s[0:1], s[68:69]
	s_mul_hi_u32 s57, s65, s66
	s_mul_hi_u32 s70, s65, s67
	s_add_co_u32 s0, s68, s61
	s_wait_alu 0xfffe
	s_add_co_ci_u32 s0, s69, s57
	s_mul_i32 s66, s65, s67
	s_add_co_ci_u32 s67, s70, 0
	s_wait_alu 0xfffe
	s_add_nc_u64 s[66:67], s[0:1], s[66:67]
	s_delay_alu instid0(SALU_CYCLE_1)
	s_add_co_u32 s0, s64, s66
	s_cselect_b32 s57, -1, 0
	s_wait_alu 0xfffe
	v_mul_hi_u32 v12, v2, s0
	s_cmp_lg_u32 s57, 0
	v_mad_co_u64_u32 v[7:8], null, v11, s0, 0
	s_add_co_ci_u32 s57, s65, s67
	s_wait_alu 0xfffe
	v_mad_co_u64_u32 v[5:6], null, v2, s57, 0
	v_mad_co_u64_u32 v[9:10], null, v11, s57, 0
	s_delay_alu instid0(VALU_DEP_2) | instskip(SKIP_1) | instid1(VALU_DEP_3)
	v_add_co_u32 v5, vcc_lo, v12, v5
	s_wait_alu 0xfffd
	v_add_co_ci_u32_e64 v6, null, 0, v6, vcc_lo
	s_delay_alu instid0(VALU_DEP_2) | instskip(SKIP_1) | instid1(VALU_DEP_2)
	v_add_co_u32 v5, vcc_lo, v5, v7
	s_wait_alu 0xfffd
	v_add_co_ci_u32_e32 v5, vcc_lo, v6, v8, vcc_lo
	s_wait_alu 0xfffd
	v_add_co_ci_u32_e32 v6, vcc_lo, 0, v10, vcc_lo
	s_delay_alu instid0(VALU_DEP_2) | instskip(SKIP_1) | instid1(VALU_DEP_2)
	v_add_co_u32 v7, vcc_lo, v5, v9
	s_wait_alu 0xfffd
	v_add_co_ci_u32_e64 v8, null, 0, v6, vcc_lo
	s_delay_alu instid0(VALU_DEP_2) | instskip(SKIP_1) | instid1(VALU_DEP_3)
	v_mul_lo_u32 v9, s59, v7
	v_mad_co_u64_u32 v[5:6], null, s58, v7, 0
	v_mul_lo_u32 v10, s58, v8
	s_delay_alu instid0(VALU_DEP_2) | instskip(NEXT) | instid1(VALU_DEP_2)
	v_sub_co_u32 v2, vcc_lo, v2, v5
	v_add3_u32 v6, v6, v10, v9
	s_delay_alu instid0(VALU_DEP_1) | instskip(SKIP_2) | instid1(VALU_DEP_2)
	v_sub_nc_u32_e32 v9, v11, v6
	s_wait_alu 0xfffd
	v_sub_co_ci_u32_e64 v6, null, v11, v6, vcc_lo
	v_subrev_co_ci_u32_e64 v5, null, s59, v9, vcc_lo
	v_add_co_u32 v9, s0, v7, 2
	s_wait_alu 0xf1ff
	v_add_co_ci_u32_e64 v10, null, 0, v8, s0
	v_sub_co_u32 v12, s0, v2, s58
	s_wait_alu 0xf1ff
	v_subrev_co_ci_u32_e64 v5, null, 0, v5, s0
	s_delay_alu instid0(VALU_DEP_2) | instskip(SKIP_2) | instid1(VALU_DEP_3)
	v_cmp_le_u32_e32 vcc_lo, s58, v12
	s_wait_alu 0xfffd
	v_cndmask_b32_e64 v11, 0, -1, vcc_lo
	v_cmp_le_u32_e32 vcc_lo, s59, v5
	s_wait_alu 0xfffd
	v_cndmask_b32_e64 v12, 0, -1, vcc_lo
	;; [unrolled: 3-line block ×4, first 2 shown]
	v_cmp_eq_u32_e32 vcc_lo, s59, v5
	s_wait_alu 0xfffd
	v_cndmask_b32_e32 v5, v12, v11, vcc_lo
	v_add_co_u32 v11, vcc_lo, v7, 1
	s_wait_alu 0xfffd
	v_add_co_ci_u32_e64 v12, null, 0, v8, vcc_lo
	v_cmp_eq_u32_e32 vcc_lo, s59, v6
	v_xor_b32_e32 v6, s56, v14
	s_wait_alu 0xfffd
	v_cndmask_b32_e32 v2, v15, v2, vcc_lo
	v_cmp_ne_u32_e32 vcc_lo, 0, v5
	s_delay_alu instid0(VALU_DEP_2) | instskip(SKIP_3) | instid1(VALU_DEP_1)
	v_cmp_ne_u32_e64 s0, 0, v2
	s_wait_alu 0xfffd
	v_dual_cndmask_b32 v5, v12, v10 :: v_dual_cndmask_b32 v2, v11, v9
	s_wait_alu 0xf1ff
	v_cndmask_b32_e64 v5, v8, v5, s0
	s_delay_alu instid0(VALU_DEP_2) | instskip(NEXT) | instid1(VALU_DEP_2)
	v_cndmask_b32_e64 v2, v7, v2, s0
	v_xor_b32_e32 v7, v5, v6
	s_delay_alu instid0(VALU_DEP_2) | instskip(NEXT) | instid1(VALU_DEP_1)
	v_xor_b32_e32 v2, v2, v6
	v_sub_co_u32 v5, vcc_lo, v2, v6
	s_wait_alu 0xfffd
	s_delay_alu instid0(VALU_DEP_3)
	v_sub_co_ci_u32_e64 v6, null, v7, v6, vcc_lo
.LBB59_5:                               ;   in Loop: Header=BB59_3 Depth=1
	s_wait_alu 0xfffe
	s_and_not1_saveexec_b32 s0, s60
	s_cbranch_execz .LBB59_7
; %bb.6:                                ;   in Loop: Header=BB59_3 Depth=1
	s_sub_co_i32 s57, 0, s4
	s_wait_alu 0xfffe
	v_mul_lo_u32 v2, s57, v0
	s_delay_alu instid0(VALU_DEP_1) | instskip(NEXT) | instid1(VALU_DEP_1)
	v_mul_hi_u32 v2, v0, v2
	v_add_nc_u32_e32 v2, v0, v2
	s_delay_alu instid0(VALU_DEP_1) | instskip(NEXT) | instid1(VALU_DEP_1)
	v_mul_hi_u32 v2, v3, v2
	v_mul_lo_u32 v5, v2, s4
	v_add_nc_u32_e32 v6, 1, v2
	s_delay_alu instid0(VALU_DEP_2) | instskip(NEXT) | instid1(VALU_DEP_1)
	v_sub_nc_u32_e32 v5, v3, v5
	v_subrev_nc_u32_e32 v7, s4, v5
	v_cmp_le_u32_e32 vcc_lo, s4, v5
	s_wait_alu 0xfffd
	s_delay_alu instid0(VALU_DEP_2) | instskip(NEXT) | instid1(VALU_DEP_1)
	v_dual_cndmask_b32 v5, v5, v7 :: v_dual_cndmask_b32 v2, v2, v6
	v_cmp_le_u32_e32 vcc_lo, s4, v5
	s_delay_alu instid0(VALU_DEP_2) | instskip(SKIP_1) | instid1(VALU_DEP_1)
	v_add_nc_u32_e32 v6, 1, v2
	s_wait_alu 0xfffd
	v_dual_cndmask_b32 v5, v2, v6 :: v_dual_mov_b32 v6, v1
.LBB59_7:                               ;   in Loop: Header=BB59_3 Depth=1
	s_wait_alu 0xfffe
	s_or_b32 exec_lo, exec_lo, s0
	s_delay_alu instid0(VALU_DEP_1) | instskip(NEXT) | instid1(VALU_DEP_2)
	v_mul_lo_u32 v2, s49, v5
	v_mul_lo_u32 v9, s48, v6
	v_mad_co_u64_u32 v[7:8], null, s48, v5, 0
	s_mov_b32 s0, exec_lo
	v_add3_u32 v8, v8, v9, v2
	v_add_co_u32 v11, vcc_lo, v3, v7
                                        ; implicit-def: $vgpr9_vgpr10
	s_wait_alu 0xfffd
	s_delay_alu instid0(VALU_DEP_2) | instskip(NEXT) | instid1(VALU_DEP_1)
	v_add_co_ci_u32_e64 v12, null, v4, v8, vcc_lo
	v_or_b32_e32 v2, s3, v12
	s_delay_alu instid0(VALU_DEP_1)
	v_cmpx_ne_u64_e32 0, v[1:2]
	s_wait_alu 0xfffe
	s_xor_b32 s57, exec_lo, s0
	s_cbranch_execz .LBB59_9
; %bb.8:                                ;   in Loop: Header=BB59_3 Depth=1
	s_ashr_i32 s58, s3, 31
	v_ashrrev_i32_e32 v2, 31, v12
	s_wait_alu 0xfffe
	s_mov_b32 s59, s58
	s_wait_alu 0xfffe
	s_add_nc_u64 s[60:61], s[2:3], s[58:59]
	v_add_co_u32 v9, vcc_lo, v11, v2
	s_wait_alu 0xfffe
	s_xor_b64 s[60:61], s[60:61], s[58:59]
	s_wait_alu 0xfffd
	v_add_co_ci_u32_e64 v10, null, v12, v2, vcc_lo
	s_wait_alu 0xfffe
	s_cvt_f32_u32 s0, s60
	s_cvt_f32_u32 s59, s61
	s_sub_nc_u64 s[66:67], 0, s[60:61]
	v_xor_b32_e32 v17, v9, v2
	v_xor_b32_e32 v18, v10, v2
	s_wait_alu 0xfffe
	s_fmamk_f32 s0, s59, 0x4f800000, s0
	v_xor_b32_e32 v2, s58, v2
	s_wait_alu 0xfffe
	s_delay_alu instid0(SALU_CYCLE_1) | instskip(NEXT) | instid1(TRANS32_DEP_1)
	v_s_rcp_f32 s0, s0
	s_mul_f32 s0, s0, 0x5f7ffffc
	s_wait_alu 0xfffe
	s_delay_alu instid0(SALU_CYCLE_2) | instskip(SKIP_1) | instid1(SALU_CYCLE_2)
	s_mul_f32 s59, s0, 0x2f800000
	s_wait_alu 0xfffe
	s_trunc_f32 s59, s59
	s_wait_alu 0xfffe
	s_delay_alu instid0(SALU_CYCLE_2) | instskip(SKIP_2) | instid1(SALU_CYCLE_1)
	s_fmamk_f32 s0, s59, 0xcf800000, s0
	s_cvt_u32_f32 s65, s59
	s_wait_alu 0xfffe
	s_cvt_u32_f32 s64, s0
	s_delay_alu instid0(SALU_CYCLE_3) | instskip(NEXT) | instid1(SALU_CYCLE_1)
	s_mul_u64 s[68:69], s[66:67], s[64:65]
	s_mul_hi_u32 s71, s64, s69
	s_mul_i32 s70, s64, s69
	s_mul_hi_u32 s0, s64, s68
	s_mul_i32 s72, s65, s68
	s_wait_alu 0xfffe
	s_add_nc_u64 s[70:71], s[0:1], s[70:71]
	s_mul_hi_u32 s59, s65, s68
	s_mul_hi_u32 s73, s65, s69
	s_add_co_u32 s0, s70, s72
	s_wait_alu 0xfffe
	s_add_co_ci_u32 s0, s71, s59
	s_mul_i32 s68, s65, s69
	s_add_co_ci_u32 s69, s73, 0
	s_wait_alu 0xfffe
	s_add_nc_u64 s[68:69], s[0:1], s[68:69]
	s_delay_alu instid0(SALU_CYCLE_1) | instskip(SKIP_4) | instid1(SALU_CYCLE_1)
	s_add_co_u32 s64, s64, s68
	s_cselect_b32 s0, -1, 0
	s_wait_alu 0xfffe
	s_cmp_lg_u32 s0, 0
	s_add_co_ci_u32 s65, s65, s69
	s_mul_u64 s[66:67], s[66:67], s[64:65]
	s_delay_alu instid0(SALU_CYCLE_1)
	s_mul_hi_u32 s69, s64, s67
	s_mul_i32 s68, s64, s67
	s_mul_hi_u32 s0, s64, s66
	s_mul_i32 s70, s65, s66
	s_wait_alu 0xfffe
	s_add_nc_u64 s[68:69], s[0:1], s[68:69]
	s_mul_hi_u32 s59, s65, s66
	s_mul_hi_u32 s71, s65, s67
	s_add_co_u32 s0, s68, s70
	s_wait_alu 0xfffe
	s_add_co_ci_u32 s0, s69, s59
	s_mul_i32 s66, s65, s67
	s_add_co_ci_u32 s67, s71, 0
	s_wait_alu 0xfffe
	s_add_nc_u64 s[66:67], s[0:1], s[66:67]
	s_delay_alu instid0(SALU_CYCLE_1)
	s_add_co_u32 s0, s64, s66
	s_cselect_b32 s59, -1, 0
	s_wait_alu 0xfffe
	v_mul_hi_u32 v19, v17, s0
	s_cmp_lg_u32 s59, 0
	v_mad_co_u64_u32 v[11:12], null, v18, s0, 0
	s_add_co_ci_u32 s59, s65, s67
	s_wait_alu 0xfffe
	v_mad_co_u64_u32 v[9:10], null, v17, s59, 0
	v_mad_co_u64_u32 v[15:16], null, v18, s59, 0
	s_delay_alu instid0(VALU_DEP_2) | instskip(SKIP_1) | instid1(VALU_DEP_3)
	v_add_co_u32 v9, vcc_lo, v19, v9
	s_wait_alu 0xfffd
	v_add_co_ci_u32_e64 v10, null, 0, v10, vcc_lo
	s_delay_alu instid0(VALU_DEP_2) | instskip(SKIP_1) | instid1(VALU_DEP_2)
	v_add_co_u32 v9, vcc_lo, v9, v11
	s_wait_alu 0xfffd
	v_add_co_ci_u32_e32 v9, vcc_lo, v10, v12, vcc_lo
	s_wait_alu 0xfffd
	v_add_co_ci_u32_e32 v10, vcc_lo, 0, v16, vcc_lo
	s_delay_alu instid0(VALU_DEP_2) | instskip(SKIP_1) | instid1(VALU_DEP_2)
	v_add_co_u32 v11, vcc_lo, v9, v15
	s_wait_alu 0xfffd
	v_add_co_ci_u32_e64 v12, null, 0, v10, vcc_lo
	s_delay_alu instid0(VALU_DEP_2) | instskip(SKIP_1) | instid1(VALU_DEP_3)
	v_mul_lo_u32 v15, s61, v11
	v_mad_co_u64_u32 v[9:10], null, s60, v11, 0
	v_mul_lo_u32 v16, s60, v12
	s_delay_alu instid0(VALU_DEP_2) | instskip(NEXT) | instid1(VALU_DEP_2)
	v_sub_co_u32 v9, vcc_lo, v17, v9
	v_add3_u32 v10, v10, v16, v15
	v_add_co_u32 v16, s0, v11, 2
	s_wait_alu 0xf1ff
	v_add_co_ci_u32_e64 v17, null, 0, v12, s0
	s_delay_alu instid0(VALU_DEP_3) | instskip(SKIP_3) | instid1(VALU_DEP_3)
	v_sub_nc_u32_e32 v15, v18, v10
	v_sub_co_u32 v19, s0, v9, s60
	s_wait_alu 0xfffd
	v_sub_co_ci_u32_e64 v10, null, v18, v10, vcc_lo
	v_subrev_co_ci_u32_e64 v15, null, s61, v15, vcc_lo
	s_delay_alu instid0(VALU_DEP_3) | instskip(SKIP_1) | instid1(VALU_DEP_2)
	v_cmp_le_u32_e32 vcc_lo, s60, v19
	s_wait_alu 0xf1ff
	v_subrev_co_ci_u32_e64 v15, null, 0, v15, s0
	s_wait_alu 0xfffd
	v_cndmask_b32_e64 v18, 0, -1, vcc_lo
	s_delay_alu instid0(VALU_DEP_2)
	v_cmp_le_u32_e32 vcc_lo, s61, v15
	s_wait_alu 0xfffd
	v_cndmask_b32_e64 v19, 0, -1, vcc_lo
	v_cmp_le_u32_e32 vcc_lo, s60, v9
	s_wait_alu 0xfffd
	v_cndmask_b32_e64 v9, 0, -1, vcc_lo
	;; [unrolled: 3-line block ×3, first 2 shown]
	v_cmp_eq_u32_e32 vcc_lo, s61, v15
	s_wait_alu 0xfffd
	v_cndmask_b32_e32 v15, v19, v18, vcc_lo
	v_add_co_u32 v18, vcc_lo, v11, 1
	s_wait_alu 0xfffd
	v_add_co_ci_u32_e64 v19, null, 0, v12, vcc_lo
	v_cmp_eq_u32_e32 vcc_lo, s61, v10
	s_wait_alu 0xfffd
	v_cndmask_b32_e32 v9, v20, v9, vcc_lo
	v_cmp_ne_u32_e32 vcc_lo, 0, v15
	s_delay_alu instid0(VALU_DEP_2) | instskip(SKIP_3) | instid1(VALU_DEP_1)
	v_cmp_ne_u32_e64 s0, 0, v9
	s_wait_alu 0xfffd
	v_dual_cndmask_b32 v10, v19, v17 :: v_dual_cndmask_b32 v9, v18, v16
	s_wait_alu 0xf1ff
	v_cndmask_b32_e64 v10, v12, v10, s0
	s_delay_alu instid0(VALU_DEP_2) | instskip(NEXT) | instid1(VALU_DEP_2)
	v_cndmask_b32_e64 v9, v11, v9, s0
                                        ; implicit-def: $vgpr11
	v_xor_b32_e32 v10, v10, v2
	s_delay_alu instid0(VALU_DEP_2) | instskip(NEXT) | instid1(VALU_DEP_1)
	v_xor_b32_e32 v9, v9, v2
	v_sub_co_u32 v9, vcc_lo, v9, v2
	s_wait_alu 0xfffd
	s_delay_alu instid0(VALU_DEP_3)
	v_sub_co_ci_u32_e64 v10, null, v10, v2, vcc_lo
.LBB59_9:                               ;   in Loop: Header=BB59_3 Depth=1
	s_wait_alu 0xfffe
	s_and_not1_saveexec_b32 s0, s57
	s_cbranch_execz .LBB59_11
; %bb.10:                               ;   in Loop: Header=BB59_3 Depth=1
	s_sub_co_i32 s57, 0, s2
	s_wait_alu 0xfffe
	v_mul_lo_u32 v2, s57, v13
	s_delay_alu instid0(VALU_DEP_1) | instskip(NEXT) | instid1(VALU_DEP_1)
	v_mul_hi_u32 v2, v13, v2
	v_add_nc_u32_e32 v2, v13, v2
	s_delay_alu instid0(VALU_DEP_1) | instskip(NEXT) | instid1(VALU_DEP_1)
	v_mul_hi_u32 v2, v11, v2
	v_mul_lo_u32 v9, v2, s2
	s_delay_alu instid0(VALU_DEP_1) | instskip(NEXT) | instid1(VALU_DEP_1)
	v_sub_nc_u32_e32 v9, v11, v9
	v_subrev_nc_u32_e32 v11, s2, v9
	v_cmp_le_u32_e32 vcc_lo, s2, v9
	s_wait_alu 0xfffd
	s_delay_alu instid0(VALU_DEP_2) | instskip(NEXT) | instid1(VALU_DEP_1)
	v_dual_cndmask_b32 v9, v9, v11 :: v_dual_add_nc_u32 v10, 1, v2
	v_cndmask_b32_e32 v2, v2, v10, vcc_lo
	s_delay_alu instid0(VALU_DEP_2) | instskip(NEXT) | instid1(VALU_DEP_2)
	v_cmp_le_u32_e32 vcc_lo, s2, v9
	v_add_nc_u32_e32 v10, 1, v2
	s_wait_alu 0xfffd
	s_delay_alu instid0(VALU_DEP_1)
	v_dual_cndmask_b32 v9, v2, v10 :: v_dual_mov_b32 v10, v1
.LBB59_11:                              ;   in Loop: Header=BB59_3 Depth=1
	s_wait_alu 0xfffe
	s_or_b32 exec_lo, exec_lo, s0
	s_delay_alu instid0(VALU_DEP_1) | instskip(NEXT) | instid1(VALU_DEP_2)
	v_mul_lo_u32 v2, v10, s2
	v_mul_lo_u32 v15, v9, s3
	v_mad_co_u64_u32 v[11:12], null, v9, s2, 0
	s_mov_b32 s0, exec_lo
	v_add3_u32 v2, v12, v15, v2
	v_sub_co_u32 v7, vcc_lo, v7, v11
	v_mul_lo_u32 v12, v10, s24
	v_mul_lo_u32 v11, v9, s25
	s_wait_alu 0xfffd
	v_sub_co_ci_u32_e64 v2, null, v8, v2, vcc_lo
	v_add_co_u32 v10, vcc_lo, v3, v7
	v_mad_co_u64_u32 v[7:8], null, v9, s24, 0
	s_wait_alu 0xfffd
	s_delay_alu instid0(VALU_DEP_3) | instskip(NEXT) | instid1(VALU_DEP_3)
	v_add_co_ci_u32_e64 v2, null, v4, v2, vcc_lo
	v_mul_lo_u32 v15, v10, s27
	v_mad_co_u64_u32 v[9:10], null, v10, s26, 0
	s_delay_alu instid0(VALU_DEP_3) | instskip(SKIP_1) | instid1(VALU_DEP_1)
	v_mul_lo_u32 v2, v2, s26
	v_add3_u32 v8, v8, v11, v12
	v_lshlrev_b64_e32 v[7:8], 1, v[7:8]
	s_delay_alu instid0(VALU_DEP_3) | instskip(NEXT) | instid1(VALU_DEP_2)
	v_add3_u32 v10, v10, v15, v2
	v_add_co_u32 v2, vcc_lo, s28, v7
	s_delay_alu instid0(VALU_DEP_2) | instskip(SKIP_1) | instid1(VALU_DEP_4)
	v_lshlrev_b64_e32 v[9:10], 1, v[9:10]
	s_wait_alu 0xfffd
	v_add_co_ci_u32_e64 v8, null, s29, v8, vcc_lo
	s_delay_alu instid0(VALU_DEP_2) | instskip(SKIP_1) | instid1(VALU_DEP_2)
	v_add_co_u32 v7, vcc_lo, v2, v9
	s_wait_alu 0xfffd
	v_add_co_ci_u32_e64 v8, null, v8, v10, vcc_lo
	v_alignbit_b32 v2, v6, v5, 30
	global_load_u16 v17, v[7:8], off
	v_lshlrev_b64_e32 v[7:8], 2, v[5:6]
	v_mul_lo_u32 v2, s4, v2
	s_delay_alu instid0(VALU_DEP_2) | instskip(SKIP_1) | instid1(VALU_DEP_1)
	v_mul_lo_u32 v11, s5, v7
	v_mad_co_u64_u32 v[9:10], null, s4, v7, s[4:5]
	v_add3_u32 v10, v11, v10, v2
	s_delay_alu instid0(VALU_DEP_2) | instskip(SKIP_1) | instid1(VALU_DEP_2)
	v_add_co_u32 v15, vcc_lo, v3, v9
                                        ; implicit-def: $vgpr11_vgpr12
	s_wait_alu 0xfffd
	v_add_co_ci_u32_e64 v16, null, v4, v10, vcc_lo
	s_delay_alu instid0(VALU_DEP_1) | instskip(NEXT) | instid1(VALU_DEP_1)
	v_or_b32_e32 v2, s3, v16
	v_cmpx_ne_u64_e32 0, v[1:2]
	s_wait_alu 0xfffe
	s_xor_b32 s57, exec_lo, s0
	s_cbranch_execz .LBB59_13
; %bb.12:                               ;   in Loop: Header=BB59_3 Depth=1
	s_ashr_i32 s58, s3, 31
	v_ashrrev_i32_e32 v2, 31, v16
	s_wait_alu 0xfffe
	s_mov_b32 s59, s58
	s_wait_alu 0xfffe
	s_add_nc_u64 s[60:61], s[2:3], s[58:59]
	v_add_co_u32 v11, vcc_lo, v15, v2
	s_wait_alu 0xfffe
	s_xor_b64 s[60:61], s[60:61], s[58:59]
	s_wait_alu 0xfffd
	v_add_co_ci_u32_e64 v12, null, v16, v2, vcc_lo
	s_wait_alu 0xfffe
	s_cvt_f32_u32 s0, s60
	s_cvt_f32_u32 s59, s61
	s_sub_nc_u64 s[66:67], 0, s[60:61]
	v_xor_b32_e32 v20, v11, v2
	v_xor_b32_e32 v21, v12, v2
	s_wait_alu 0xfffe
	s_fmamk_f32 s0, s59, 0x4f800000, s0
	v_xor_b32_e32 v2, s58, v2
	s_wait_alu 0xfffe
	s_delay_alu instid0(SALU_CYCLE_1) | instskip(NEXT) | instid1(TRANS32_DEP_1)
	v_s_rcp_f32 s0, s0
	s_mul_f32 s0, s0, 0x5f7ffffc
	s_wait_alu 0xfffe
	s_delay_alu instid0(SALU_CYCLE_2) | instskip(SKIP_1) | instid1(SALU_CYCLE_2)
	s_mul_f32 s59, s0, 0x2f800000
	s_wait_alu 0xfffe
	s_trunc_f32 s59, s59
	s_wait_alu 0xfffe
	s_delay_alu instid0(SALU_CYCLE_2) | instskip(SKIP_2) | instid1(SALU_CYCLE_1)
	s_fmamk_f32 s0, s59, 0xcf800000, s0
	s_cvt_u32_f32 s65, s59
	s_wait_alu 0xfffe
	s_cvt_u32_f32 s64, s0
	s_delay_alu instid0(SALU_CYCLE_3) | instskip(NEXT) | instid1(SALU_CYCLE_1)
	s_mul_u64 s[68:69], s[66:67], s[64:65]
	s_mul_hi_u32 s71, s64, s69
	s_mul_i32 s70, s64, s69
	s_mul_hi_u32 s0, s64, s68
	s_mul_i32 s72, s65, s68
	s_wait_alu 0xfffe
	s_add_nc_u64 s[70:71], s[0:1], s[70:71]
	s_mul_hi_u32 s59, s65, s68
	s_mul_hi_u32 s73, s65, s69
	s_add_co_u32 s0, s70, s72
	s_wait_alu 0xfffe
	s_add_co_ci_u32 s0, s71, s59
	s_mul_i32 s68, s65, s69
	s_add_co_ci_u32 s69, s73, 0
	s_wait_alu 0xfffe
	s_add_nc_u64 s[68:69], s[0:1], s[68:69]
	s_delay_alu instid0(SALU_CYCLE_1) | instskip(SKIP_4) | instid1(SALU_CYCLE_1)
	s_add_co_u32 s64, s64, s68
	s_cselect_b32 s0, -1, 0
	s_wait_alu 0xfffe
	s_cmp_lg_u32 s0, 0
	s_add_co_ci_u32 s65, s65, s69
	s_mul_u64 s[66:67], s[66:67], s[64:65]
	s_delay_alu instid0(SALU_CYCLE_1)
	s_mul_hi_u32 s69, s64, s67
	s_mul_i32 s68, s64, s67
	s_mul_hi_u32 s0, s64, s66
	s_mul_i32 s70, s65, s66
	s_wait_alu 0xfffe
	s_add_nc_u64 s[68:69], s[0:1], s[68:69]
	s_mul_hi_u32 s59, s65, s66
	s_mul_hi_u32 s71, s65, s67
	s_add_co_u32 s0, s68, s70
	s_wait_alu 0xfffe
	s_add_co_ci_u32 s0, s69, s59
	s_mul_i32 s66, s65, s67
	s_add_co_ci_u32 s67, s71, 0
	s_wait_alu 0xfffe
	s_add_nc_u64 s[66:67], s[0:1], s[66:67]
	s_delay_alu instid0(SALU_CYCLE_1)
	s_add_co_u32 s0, s64, s66
	s_cselect_b32 s59, -1, 0
	s_wait_alu 0xfffe
	v_mul_hi_u32 v22, v20, s0
	s_cmp_lg_u32 s59, 0
	v_mad_co_u64_u32 v[15:16], null, v21, s0, 0
	s_add_co_ci_u32 s59, s65, s67
	s_wait_alu 0xfffe
	v_mad_co_u64_u32 v[11:12], null, v20, s59, 0
	v_mad_co_u64_u32 v[18:19], null, v21, s59, 0
	s_delay_alu instid0(VALU_DEP_2) | instskip(SKIP_1) | instid1(VALU_DEP_3)
	v_add_co_u32 v11, vcc_lo, v22, v11
	s_wait_alu 0xfffd
	v_add_co_ci_u32_e64 v12, null, 0, v12, vcc_lo
	s_delay_alu instid0(VALU_DEP_2) | instskip(SKIP_1) | instid1(VALU_DEP_2)
	v_add_co_u32 v11, vcc_lo, v11, v15
	s_wait_alu 0xfffd
	v_add_co_ci_u32_e32 v11, vcc_lo, v12, v16, vcc_lo
	s_wait_alu 0xfffd
	v_add_co_ci_u32_e32 v12, vcc_lo, 0, v19, vcc_lo
	s_delay_alu instid0(VALU_DEP_2) | instskip(SKIP_1) | instid1(VALU_DEP_2)
	v_add_co_u32 v15, vcc_lo, v11, v18
	s_wait_alu 0xfffd
	v_add_co_ci_u32_e64 v16, null, 0, v12, vcc_lo
	s_delay_alu instid0(VALU_DEP_2) | instskip(SKIP_1) | instid1(VALU_DEP_3)
	v_mul_lo_u32 v18, s61, v15
	v_mad_co_u64_u32 v[11:12], null, s60, v15, 0
	v_mul_lo_u32 v19, s60, v16
	s_delay_alu instid0(VALU_DEP_2) | instskip(NEXT) | instid1(VALU_DEP_2)
	v_sub_co_u32 v11, vcc_lo, v20, v11
	v_add3_u32 v12, v12, v19, v18
	v_add_co_u32 v19, s0, v15, 2
	s_wait_alu 0xf1ff
	v_add_co_ci_u32_e64 v20, null, 0, v16, s0
	s_delay_alu instid0(VALU_DEP_3) | instskip(SKIP_3) | instid1(VALU_DEP_3)
	v_sub_nc_u32_e32 v18, v21, v12
	v_sub_co_u32 v22, s0, v11, s60
	s_wait_alu 0xfffd
	v_sub_co_ci_u32_e64 v12, null, v21, v12, vcc_lo
	v_subrev_co_ci_u32_e64 v18, null, s61, v18, vcc_lo
	s_delay_alu instid0(VALU_DEP_3) | instskip(SKIP_1) | instid1(VALU_DEP_2)
	v_cmp_le_u32_e32 vcc_lo, s60, v22
	s_wait_alu 0xf1ff
	v_subrev_co_ci_u32_e64 v18, null, 0, v18, s0
	s_wait_alu 0xfffd
	v_cndmask_b32_e64 v21, 0, -1, vcc_lo
	s_delay_alu instid0(VALU_DEP_2)
	v_cmp_le_u32_e32 vcc_lo, s61, v18
	s_wait_alu 0xfffd
	v_cndmask_b32_e64 v22, 0, -1, vcc_lo
	v_cmp_le_u32_e32 vcc_lo, s60, v11
	s_wait_alu 0xfffd
	v_cndmask_b32_e64 v11, 0, -1, vcc_lo
	;; [unrolled: 3-line block ×3, first 2 shown]
	v_cmp_eq_u32_e32 vcc_lo, s61, v18
	s_wait_alu 0xfffd
	v_cndmask_b32_e32 v18, v22, v21, vcc_lo
	v_add_co_u32 v21, vcc_lo, v15, 1
	s_wait_alu 0xfffd
	v_add_co_ci_u32_e64 v22, null, 0, v16, vcc_lo
	v_cmp_eq_u32_e32 vcc_lo, s61, v12
	s_wait_alu 0xfffd
	v_cndmask_b32_e32 v11, v23, v11, vcc_lo
	v_cmp_ne_u32_e32 vcc_lo, 0, v18
	s_delay_alu instid0(VALU_DEP_2) | instskip(SKIP_3) | instid1(VALU_DEP_1)
	v_cmp_ne_u32_e64 s0, 0, v11
	s_wait_alu 0xfffd
	v_dual_cndmask_b32 v12, v22, v20 :: v_dual_cndmask_b32 v11, v21, v19
	s_wait_alu 0xf1ff
	v_cndmask_b32_e64 v12, v16, v12, s0
	s_delay_alu instid0(VALU_DEP_2) | instskip(NEXT) | instid1(VALU_DEP_2)
	v_cndmask_b32_e64 v11, v15, v11, s0
                                        ; implicit-def: $vgpr15
	v_xor_b32_e32 v12, v12, v2
	s_delay_alu instid0(VALU_DEP_2) | instskip(NEXT) | instid1(VALU_DEP_1)
	v_xor_b32_e32 v11, v11, v2
	v_sub_co_u32 v11, vcc_lo, v11, v2
	s_wait_alu 0xfffd
	s_delay_alu instid0(VALU_DEP_3)
	v_sub_co_ci_u32_e64 v12, null, v12, v2, vcc_lo
.LBB59_13:                              ;   in Loop: Header=BB59_3 Depth=1
	s_wait_alu 0xfffe
	s_and_not1_saveexec_b32 s0, s57
	s_cbranch_execz .LBB59_15
; %bb.14:                               ;   in Loop: Header=BB59_3 Depth=1
	s_sub_co_i32 s57, 0, s2
	s_wait_alu 0xfffe
	v_mul_lo_u32 v2, s57, v13
	s_delay_alu instid0(VALU_DEP_1) | instskip(NEXT) | instid1(VALU_DEP_1)
	v_mul_hi_u32 v2, v13, v2
	v_add_nc_u32_e32 v2, v13, v2
	s_delay_alu instid0(VALU_DEP_1) | instskip(NEXT) | instid1(VALU_DEP_1)
	v_mul_hi_u32 v2, v15, v2
	v_mul_lo_u32 v11, v2, s2
	v_add_nc_u32_e32 v12, 1, v2
	s_delay_alu instid0(VALU_DEP_2) | instskip(NEXT) | instid1(VALU_DEP_1)
	v_sub_nc_u32_e32 v11, v15, v11
	v_subrev_nc_u32_e32 v15, s2, v11
	v_cmp_le_u32_e32 vcc_lo, s2, v11
	s_wait_alu 0xfffd
	s_delay_alu instid0(VALU_DEP_2) | instskip(NEXT) | instid1(VALU_DEP_1)
	v_dual_cndmask_b32 v11, v11, v15 :: v_dual_cndmask_b32 v2, v2, v12
	v_cmp_le_u32_e32 vcc_lo, s2, v11
	s_delay_alu instid0(VALU_DEP_2) | instskip(SKIP_1) | instid1(VALU_DEP_1)
	v_add_nc_u32_e32 v12, 1, v2
	s_wait_alu 0xfffd
	v_dual_cndmask_b32 v11, v2, v12 :: v_dual_mov_b32 v12, v1
.LBB59_15:                              ;   in Loop: Header=BB59_3 Depth=1
	s_wait_alu 0xfffe
	s_or_b32 exec_lo, exec_lo, s0
	s_delay_alu instid0(VALU_DEP_1) | instskip(NEXT) | instid1(VALU_DEP_2)
	v_mul_lo_u32 v2, v12, s2
	v_mul_lo_u32 v18, v11, s3
	v_mad_co_u64_u32 v[15:16], null, v11, s2, 0
	s_mov_b32 s0, exec_lo
	v_add3_u32 v2, v16, v18, v2
	v_sub_co_u32 v9, vcc_lo, v9, v15
	v_mul_lo_u32 v16, v12, s24
	v_mul_lo_u32 v15, v11, s25
	s_wait_alu 0xfffd
	v_sub_co_ci_u32_e64 v2, null, v10, v2, vcc_lo
	v_add_co_u32 v12, vcc_lo, v3, v9
	v_mad_co_u64_u32 v[9:10], null, v11, s24, 0
	s_wait_alu 0xfffd
	s_delay_alu instid0(VALU_DEP_3) | instskip(NEXT) | instid1(VALU_DEP_3)
	v_add_co_ci_u32_e64 v2, null, v4, v2, vcc_lo
	v_mul_lo_u32 v18, v12, s27
	v_mad_co_u64_u32 v[11:12], null, v12, s26, 0
	s_delay_alu instid0(VALU_DEP_3) | instskip(SKIP_1) | instid1(VALU_DEP_1)
	v_mul_lo_u32 v2, v2, s26
	v_add3_u32 v10, v10, v15, v16
	v_lshlrev_b64_e32 v[9:10], 1, v[9:10]
	s_delay_alu instid0(VALU_DEP_3) | instskip(NEXT) | instid1(VALU_DEP_2)
	v_add3_u32 v12, v12, v18, v2
	v_add_co_u32 v2, vcc_lo, s28, v9
	s_delay_alu instid0(VALU_DEP_2) | instskip(SKIP_1) | instid1(VALU_DEP_4)
	v_lshlrev_b64_e32 v[11:12], 1, v[11:12]
	s_wait_alu 0xfffd
	v_add_co_ci_u32_e64 v10, null, s29, v10, vcc_lo
	s_delay_alu instid0(VALU_DEP_2) | instskip(SKIP_1) | instid1(VALU_DEP_2)
	v_add_co_u32 v9, vcc_lo, v2, v11
	s_wait_alu 0xfffd
	v_add_co_ci_u32_e64 v10, null, v10, v12, vcc_lo
	v_add_co_u32 v2, vcc_lo, v7, 2
	global_load_u16 v15, v[9:10], off
	s_wait_alu 0xfffd
	v_add_co_ci_u32_e64 v9, null, 0, v8, vcc_lo
	v_mul_lo_u32 v11, s5, v2
	s_delay_alu instid0(VALU_DEP_2) | instskip(SKIP_1) | instid1(VALU_DEP_1)
	v_mul_lo_u32 v12, s4, v9
	v_mad_co_u64_u32 v[9:10], null, s4, v2, 0
	v_add3_u32 v10, v10, v12, v11
	s_delay_alu instid0(VALU_DEP_2) | instskip(SKIP_1) | instid1(VALU_DEP_2)
	v_add_co_u32 v16, vcc_lo, v3, v9
                                        ; implicit-def: $vgpr11_vgpr12
	s_wait_alu 0xfffd
	v_add_co_ci_u32_e64 v18, null, v4, v10, vcc_lo
	s_delay_alu instid0(VALU_DEP_1) | instskip(NEXT) | instid1(VALU_DEP_1)
	v_or_b32_e32 v2, s3, v18
	v_cmpx_ne_u64_e32 0, v[1:2]
	s_wait_alu 0xfffe
	s_xor_b32 s57, exec_lo, s0
	s_cbranch_execz .LBB59_17
; %bb.16:                               ;   in Loop: Header=BB59_3 Depth=1
	s_ashr_i32 s58, s3, 31
	v_ashrrev_i32_e32 v2, 31, v18
	s_wait_alu 0xfffe
	s_mov_b32 s59, s58
	s_wait_alu 0xfffe
	s_add_nc_u64 s[60:61], s[2:3], s[58:59]
	v_add_co_u32 v11, vcc_lo, v16, v2
	s_wait_alu 0xfffe
	s_xor_b64 s[60:61], s[60:61], s[58:59]
	s_wait_alu 0xfffd
	v_add_co_ci_u32_e64 v12, null, v18, v2, vcc_lo
	s_wait_alu 0xfffe
	s_cvt_f32_u32 s0, s60
	s_cvt_f32_u32 s59, s61
	s_sub_nc_u64 s[66:67], 0, s[60:61]
	v_xor_b32_e32 v16, v11, v2
	v_xor_b32_e32 v22, v12, v2
	s_wait_alu 0xfffe
	s_fmamk_f32 s0, s59, 0x4f800000, s0
	v_xor_b32_e32 v2, s58, v2
	s_wait_alu 0xfffe
	s_delay_alu instid0(SALU_CYCLE_1) | instskip(NEXT) | instid1(TRANS32_DEP_1)
	v_s_rcp_f32 s0, s0
	s_mul_f32 s0, s0, 0x5f7ffffc
	s_wait_alu 0xfffe
	s_delay_alu instid0(SALU_CYCLE_2) | instskip(SKIP_1) | instid1(SALU_CYCLE_2)
	s_mul_f32 s59, s0, 0x2f800000
	s_wait_alu 0xfffe
	s_trunc_f32 s59, s59
	s_wait_alu 0xfffe
	s_delay_alu instid0(SALU_CYCLE_2) | instskip(SKIP_2) | instid1(SALU_CYCLE_1)
	s_fmamk_f32 s0, s59, 0xcf800000, s0
	s_cvt_u32_f32 s65, s59
	s_wait_alu 0xfffe
	s_cvt_u32_f32 s64, s0
	s_delay_alu instid0(SALU_CYCLE_3) | instskip(NEXT) | instid1(SALU_CYCLE_1)
	s_mul_u64 s[68:69], s[66:67], s[64:65]
	s_mul_hi_u32 s71, s64, s69
	s_mul_i32 s70, s64, s69
	s_mul_hi_u32 s0, s64, s68
	s_mul_i32 s72, s65, s68
	s_wait_alu 0xfffe
	s_add_nc_u64 s[70:71], s[0:1], s[70:71]
	s_mul_hi_u32 s59, s65, s68
	s_mul_hi_u32 s73, s65, s69
	s_add_co_u32 s0, s70, s72
	s_wait_alu 0xfffe
	s_add_co_ci_u32 s0, s71, s59
	s_mul_i32 s68, s65, s69
	s_add_co_ci_u32 s69, s73, 0
	s_wait_alu 0xfffe
	s_add_nc_u64 s[68:69], s[0:1], s[68:69]
	s_delay_alu instid0(SALU_CYCLE_1) | instskip(SKIP_4) | instid1(SALU_CYCLE_1)
	s_add_co_u32 s64, s64, s68
	s_cselect_b32 s0, -1, 0
	s_wait_alu 0xfffe
	s_cmp_lg_u32 s0, 0
	s_add_co_ci_u32 s65, s65, s69
	s_mul_u64 s[66:67], s[66:67], s[64:65]
	s_delay_alu instid0(SALU_CYCLE_1)
	s_mul_hi_u32 s69, s64, s67
	s_mul_i32 s68, s64, s67
	s_mul_hi_u32 s0, s64, s66
	s_mul_i32 s70, s65, s66
	s_wait_alu 0xfffe
	s_add_nc_u64 s[68:69], s[0:1], s[68:69]
	s_mul_hi_u32 s59, s65, s66
	s_mul_hi_u32 s71, s65, s67
	s_add_co_u32 s0, s68, s70
	s_wait_alu 0xfffe
	s_add_co_ci_u32 s0, s69, s59
	s_mul_i32 s66, s65, s67
	s_add_co_ci_u32 s67, s71, 0
	s_wait_alu 0xfffe
	s_add_nc_u64 s[66:67], s[0:1], s[66:67]
	s_delay_alu instid0(SALU_CYCLE_1)
	s_add_co_u32 s0, s64, s66
	s_cselect_b32 s59, -1, 0
	s_wait_alu 0xfffe
	v_mul_hi_u32 v23, v16, s0
	s_cmp_lg_u32 s59, 0
	v_mad_co_u64_u32 v[18:19], null, v22, s0, 0
	s_add_co_ci_u32 s59, s65, s67
	s_wait_alu 0xfffe
	v_mad_co_u64_u32 v[11:12], null, v16, s59, 0
	v_mad_co_u64_u32 v[20:21], null, v22, s59, 0
	s_delay_alu instid0(VALU_DEP_2) | instskip(SKIP_1) | instid1(VALU_DEP_3)
	v_add_co_u32 v11, vcc_lo, v23, v11
	s_wait_alu 0xfffd
	v_add_co_ci_u32_e64 v12, null, 0, v12, vcc_lo
	s_delay_alu instid0(VALU_DEP_2) | instskip(SKIP_1) | instid1(VALU_DEP_2)
	v_add_co_u32 v11, vcc_lo, v11, v18
	s_wait_alu 0xfffd
	v_add_co_ci_u32_e32 v11, vcc_lo, v12, v19, vcc_lo
	s_wait_alu 0xfffd
	v_add_co_ci_u32_e32 v12, vcc_lo, 0, v21, vcc_lo
	s_delay_alu instid0(VALU_DEP_2) | instskip(SKIP_1) | instid1(VALU_DEP_2)
	v_add_co_u32 v18, vcc_lo, v11, v20
	s_wait_alu 0xfffd
	v_add_co_ci_u32_e64 v19, null, 0, v12, vcc_lo
	s_delay_alu instid0(VALU_DEP_2) | instskip(SKIP_1) | instid1(VALU_DEP_3)
	v_mul_lo_u32 v20, s61, v18
	v_mad_co_u64_u32 v[11:12], null, s60, v18, 0
	v_mul_lo_u32 v21, s60, v19
	s_delay_alu instid0(VALU_DEP_2) | instskip(NEXT) | instid1(VALU_DEP_2)
	v_sub_co_u32 v11, vcc_lo, v16, v11
	v_add3_u32 v12, v12, v21, v20
	s_delay_alu instid0(VALU_DEP_1) | instskip(SKIP_2) | instid1(VALU_DEP_2)
	v_sub_nc_u32_e32 v20, v22, v12
	s_wait_alu 0xfffd
	v_sub_co_ci_u32_e64 v12, null, v22, v12, vcc_lo
	v_subrev_co_ci_u32_e64 v16, null, s61, v20, vcc_lo
	v_add_co_u32 v20, s0, v18, 2
	s_wait_alu 0xf1ff
	v_add_co_ci_u32_e64 v21, null, 0, v19, s0
	v_sub_co_u32 v23, s0, v11, s60
	s_wait_alu 0xf1ff
	v_subrev_co_ci_u32_e64 v16, null, 0, v16, s0
	s_delay_alu instid0(VALU_DEP_2) | instskip(SKIP_2) | instid1(VALU_DEP_3)
	v_cmp_le_u32_e32 vcc_lo, s60, v23
	s_wait_alu 0xfffd
	v_cndmask_b32_e64 v22, 0, -1, vcc_lo
	v_cmp_le_u32_e32 vcc_lo, s61, v16
	s_wait_alu 0xfffd
	v_cndmask_b32_e64 v23, 0, -1, vcc_lo
	v_cmp_le_u32_e32 vcc_lo, s60, v11
	s_wait_alu 0xfffd
	v_cndmask_b32_e64 v11, 0, -1, vcc_lo
	v_cmp_le_u32_e32 vcc_lo, s61, v12
	s_wait_alu 0xfffd
	v_cndmask_b32_e64 v24, 0, -1, vcc_lo
	v_cmp_eq_u32_e32 vcc_lo, s61, v16
	s_wait_alu 0xfffd
	v_cndmask_b32_e32 v16, v23, v22, vcc_lo
	v_add_co_u32 v22, vcc_lo, v18, 1
	s_wait_alu 0xfffd
	v_add_co_ci_u32_e64 v23, null, 0, v19, vcc_lo
	v_cmp_eq_u32_e32 vcc_lo, s61, v12
	s_wait_alu 0xfffd
	v_cndmask_b32_e32 v11, v24, v11, vcc_lo
	v_cmp_ne_u32_e32 vcc_lo, 0, v16
                                        ; implicit-def: $vgpr16
	s_delay_alu instid0(VALU_DEP_2) | instskip(SKIP_3) | instid1(VALU_DEP_1)
	v_cmp_ne_u32_e64 s0, 0, v11
	s_wait_alu 0xfffd
	v_dual_cndmask_b32 v12, v23, v21 :: v_dual_cndmask_b32 v11, v22, v20
	s_wait_alu 0xf1ff
	v_cndmask_b32_e64 v12, v19, v12, s0
	s_delay_alu instid0(VALU_DEP_2) | instskip(NEXT) | instid1(VALU_DEP_2)
	v_cndmask_b32_e64 v11, v18, v11, s0
	v_xor_b32_e32 v12, v12, v2
	s_delay_alu instid0(VALU_DEP_2) | instskip(NEXT) | instid1(VALU_DEP_1)
	v_xor_b32_e32 v11, v11, v2
	v_sub_co_u32 v11, vcc_lo, v11, v2
	s_wait_alu 0xfffd
	s_delay_alu instid0(VALU_DEP_3)
	v_sub_co_ci_u32_e64 v12, null, v12, v2, vcc_lo
.LBB59_17:                              ;   in Loop: Header=BB59_3 Depth=1
	s_wait_alu 0xfffe
	s_and_not1_saveexec_b32 s0, s57
	s_cbranch_execz .LBB59_19
; %bb.18:                               ;   in Loop: Header=BB59_3 Depth=1
	s_sub_co_i32 s57, 0, s2
	s_wait_alu 0xfffe
	v_mul_lo_u32 v2, s57, v13
	s_delay_alu instid0(VALU_DEP_1) | instskip(NEXT) | instid1(VALU_DEP_1)
	v_mul_hi_u32 v2, v13, v2
	v_add_nc_u32_e32 v2, v13, v2
	s_delay_alu instid0(VALU_DEP_1) | instskip(NEXT) | instid1(VALU_DEP_1)
	v_mul_hi_u32 v2, v16, v2
	v_mul_lo_u32 v11, v2, s2
	v_add_nc_u32_e32 v12, 1, v2
	s_delay_alu instid0(VALU_DEP_2) | instskip(NEXT) | instid1(VALU_DEP_1)
	v_sub_nc_u32_e32 v11, v16, v11
	v_subrev_nc_u32_e32 v16, s2, v11
	v_cmp_le_u32_e32 vcc_lo, s2, v11
	s_wait_alu 0xfffd
	s_delay_alu instid0(VALU_DEP_2) | instskip(SKIP_1) | instid1(VALU_DEP_2)
	v_cndmask_b32_e32 v11, v11, v16, vcc_lo
	v_cndmask_b32_e32 v2, v2, v12, vcc_lo
	v_cmp_le_u32_e32 vcc_lo, s2, v11
	s_delay_alu instid0(VALU_DEP_2) | instskip(SKIP_1) | instid1(VALU_DEP_1)
	v_add_nc_u32_e32 v12, 1, v2
	s_wait_alu 0xfffd
	v_dual_cndmask_b32 v11, v2, v12 :: v_dual_mov_b32 v12, v1
.LBB59_19:                              ;   in Loop: Header=BB59_3 Depth=1
	s_wait_alu 0xfffe
	s_or_b32 exec_lo, exec_lo, s0
	s_delay_alu instid0(VALU_DEP_1) | instskip(NEXT) | instid1(VALU_DEP_2)
	v_mul_lo_u32 v2, v12, s2
	v_mul_lo_u32 v16, v11, s3
	v_mad_co_u64_u32 v[18:19], null, v11, s2, 0
	s_mov_b32 s0, exec_lo
	v_add3_u32 v2, v19, v16, v2
	v_sub_co_u32 v9, vcc_lo, v9, v18
	v_mul_lo_u32 v16, v12, s24
	v_mul_lo_u32 v18, v11, s25
	s_wait_alu 0xfffd
	v_sub_co_ci_u32_e64 v2, null, v10, v2, vcc_lo
	v_add_co_u32 v12, vcc_lo, v3, v9
	v_mad_co_u64_u32 v[9:10], null, v11, s24, 0
	s_wait_alu 0xfffd
	s_delay_alu instid0(VALU_DEP_3) | instskip(NEXT) | instid1(VALU_DEP_3)
	v_add_co_ci_u32_e64 v2, null, v4, v2, vcc_lo
	v_mul_lo_u32 v19, v12, s27
	v_mad_co_u64_u32 v[11:12], null, v12, s26, 0
	s_delay_alu instid0(VALU_DEP_3) | instskip(SKIP_1) | instid1(VALU_DEP_1)
	v_mul_lo_u32 v2, v2, s26
	v_add3_u32 v10, v10, v18, v16
	v_lshlrev_b64_e32 v[9:10], 1, v[9:10]
	s_delay_alu instid0(VALU_DEP_3) | instskip(NEXT) | instid1(VALU_DEP_2)
	v_add3_u32 v12, v12, v19, v2
	v_add_co_u32 v2, vcc_lo, s28, v9
	s_delay_alu instid0(VALU_DEP_2) | instskip(SKIP_1) | instid1(VALU_DEP_4)
	v_lshlrev_b64_e32 v[11:12], 1, v[11:12]
	s_wait_alu 0xfffd
	v_add_co_ci_u32_e64 v10, null, s29, v10, vcc_lo
	s_delay_alu instid0(VALU_DEP_2) | instskip(SKIP_1) | instid1(VALU_DEP_2)
	v_add_co_u32 v9, vcc_lo, v2, v11
	s_wait_alu 0xfffd
	v_add_co_ci_u32_e64 v10, null, v10, v12, vcc_lo
	v_add_co_u32 v2, vcc_lo, v7, 3
	global_load_u16 v20, v[9:10], off
	s_wait_alu 0xfffd
	v_add_co_ci_u32_e64 v9, null, 0, v8, vcc_lo
	v_mul_lo_u32 v11, s5, v2
	s_delay_alu instid0(VALU_DEP_2) | instskip(SKIP_1) | instid1(VALU_DEP_1)
	v_mul_lo_u32 v12, s4, v9
	v_mad_co_u64_u32 v[9:10], null, s4, v2, 0
	v_add3_u32 v10, v10, v12, v11
	s_delay_alu instid0(VALU_DEP_2) | instskip(SKIP_1) | instid1(VALU_DEP_2)
	v_add_co_u32 v16, vcc_lo, v3, v9
                                        ; implicit-def: $vgpr11_vgpr12
	s_wait_alu 0xfffd
	v_add_co_ci_u32_e64 v18, null, v4, v10, vcc_lo
	s_delay_alu instid0(VALU_DEP_1) | instskip(NEXT) | instid1(VALU_DEP_1)
	v_or_b32_e32 v2, s3, v18
	v_cmpx_ne_u64_e32 0, v[1:2]
	s_wait_alu 0xfffe
	s_xor_b32 s57, exec_lo, s0
	s_cbranch_execz .LBB59_21
; %bb.20:                               ;   in Loop: Header=BB59_3 Depth=1
	s_ashr_i32 s58, s3, 31
	v_ashrrev_i32_e32 v2, 31, v18
	s_wait_alu 0xfffe
	s_mov_b32 s59, s58
	s_wait_alu 0xfffe
	s_add_nc_u64 s[60:61], s[2:3], s[58:59]
	v_add_co_u32 v11, vcc_lo, v16, v2
	s_wait_alu 0xfffe
	s_xor_b64 s[60:61], s[60:61], s[58:59]
	s_wait_alu 0xfffd
	v_add_co_ci_u32_e64 v12, null, v18, v2, vcc_lo
	s_wait_alu 0xfffe
	s_cvt_f32_u32 s0, s60
	s_cvt_f32_u32 s59, s61
	s_sub_nc_u64 s[66:67], 0, s[60:61]
	v_xor_b32_e32 v16, v11, v2
	v_xor_b32_e32 v23, v12, v2
	s_wait_alu 0xfffe
	s_fmamk_f32 s0, s59, 0x4f800000, s0
	v_xor_b32_e32 v2, s58, v2
	s_wait_alu 0xfffe
	s_delay_alu instid0(SALU_CYCLE_1) | instskip(NEXT) | instid1(TRANS32_DEP_1)
	v_s_rcp_f32 s0, s0
	s_mul_f32 s0, s0, 0x5f7ffffc
	s_wait_alu 0xfffe
	s_delay_alu instid0(SALU_CYCLE_2) | instskip(SKIP_1) | instid1(SALU_CYCLE_2)
	s_mul_f32 s59, s0, 0x2f800000
	s_wait_alu 0xfffe
	s_trunc_f32 s59, s59
	s_wait_alu 0xfffe
	s_delay_alu instid0(SALU_CYCLE_2) | instskip(SKIP_2) | instid1(SALU_CYCLE_1)
	s_fmamk_f32 s0, s59, 0xcf800000, s0
	s_cvt_u32_f32 s65, s59
	s_wait_alu 0xfffe
	s_cvt_u32_f32 s64, s0
	s_delay_alu instid0(SALU_CYCLE_3) | instskip(NEXT) | instid1(SALU_CYCLE_1)
	s_mul_u64 s[68:69], s[66:67], s[64:65]
	s_mul_hi_u32 s71, s64, s69
	s_mul_i32 s70, s64, s69
	s_mul_hi_u32 s0, s64, s68
	s_mul_i32 s72, s65, s68
	s_wait_alu 0xfffe
	s_add_nc_u64 s[70:71], s[0:1], s[70:71]
	s_mul_hi_u32 s59, s65, s68
	s_mul_hi_u32 s73, s65, s69
	s_add_co_u32 s0, s70, s72
	s_wait_alu 0xfffe
	s_add_co_ci_u32 s0, s71, s59
	s_mul_i32 s68, s65, s69
	s_add_co_ci_u32 s69, s73, 0
	s_wait_alu 0xfffe
	s_add_nc_u64 s[68:69], s[0:1], s[68:69]
	s_delay_alu instid0(SALU_CYCLE_1) | instskip(SKIP_4) | instid1(SALU_CYCLE_1)
	s_add_co_u32 s64, s64, s68
	s_cselect_b32 s0, -1, 0
	s_wait_alu 0xfffe
	s_cmp_lg_u32 s0, 0
	s_add_co_ci_u32 s65, s65, s69
	s_mul_u64 s[66:67], s[66:67], s[64:65]
	s_delay_alu instid0(SALU_CYCLE_1)
	s_mul_hi_u32 s69, s64, s67
	s_mul_i32 s68, s64, s67
	s_mul_hi_u32 s0, s64, s66
	s_mul_i32 s70, s65, s66
	s_wait_alu 0xfffe
	s_add_nc_u64 s[68:69], s[0:1], s[68:69]
	s_mul_hi_u32 s59, s65, s66
	s_mul_hi_u32 s71, s65, s67
	s_add_co_u32 s0, s68, s70
	s_wait_alu 0xfffe
	s_add_co_ci_u32 s0, s69, s59
	s_mul_i32 s66, s65, s67
	s_add_co_ci_u32 s67, s71, 0
	s_wait_alu 0xfffe
	s_add_nc_u64 s[66:67], s[0:1], s[66:67]
	s_delay_alu instid0(SALU_CYCLE_1)
	s_add_co_u32 s0, s64, s66
	s_cselect_b32 s59, -1, 0
	s_wait_alu 0xfffe
	v_mul_hi_u32 v24, v16, s0
	s_cmp_lg_u32 s59, 0
	v_mad_co_u64_u32 v[18:19], null, v23, s0, 0
	s_add_co_ci_u32 s59, s65, s67
	s_wait_alu 0xfffe
	v_mad_co_u64_u32 v[11:12], null, v16, s59, 0
	v_mad_co_u64_u32 v[21:22], null, v23, s59, 0
	s_delay_alu instid0(VALU_DEP_2) | instskip(SKIP_1) | instid1(VALU_DEP_3)
	v_add_co_u32 v11, vcc_lo, v24, v11
	s_wait_alu 0xfffd
	v_add_co_ci_u32_e64 v12, null, 0, v12, vcc_lo
	s_delay_alu instid0(VALU_DEP_2) | instskip(SKIP_1) | instid1(VALU_DEP_2)
	v_add_co_u32 v11, vcc_lo, v11, v18
	s_wait_alu 0xfffd
	v_add_co_ci_u32_e32 v11, vcc_lo, v12, v19, vcc_lo
	s_wait_alu 0xfffd
	v_add_co_ci_u32_e32 v12, vcc_lo, 0, v22, vcc_lo
	s_delay_alu instid0(VALU_DEP_2) | instskip(SKIP_1) | instid1(VALU_DEP_2)
	v_add_co_u32 v18, vcc_lo, v11, v21
	s_wait_alu 0xfffd
	v_add_co_ci_u32_e64 v19, null, 0, v12, vcc_lo
	s_delay_alu instid0(VALU_DEP_2) | instskip(SKIP_1) | instid1(VALU_DEP_3)
	v_mul_lo_u32 v21, s61, v18
	v_mad_co_u64_u32 v[11:12], null, s60, v18, 0
	v_mul_lo_u32 v22, s60, v19
	s_delay_alu instid0(VALU_DEP_2) | instskip(NEXT) | instid1(VALU_DEP_2)
	v_sub_co_u32 v11, vcc_lo, v16, v11
	v_add3_u32 v12, v12, v22, v21
	s_delay_alu instid0(VALU_DEP_1) | instskip(SKIP_2) | instid1(VALU_DEP_2)
	v_sub_nc_u32_e32 v21, v23, v12
	s_wait_alu 0xfffd
	v_sub_co_ci_u32_e64 v12, null, v23, v12, vcc_lo
	v_subrev_co_ci_u32_e64 v16, null, s61, v21, vcc_lo
	v_add_co_u32 v21, s0, v18, 2
	s_wait_alu 0xf1ff
	v_add_co_ci_u32_e64 v22, null, 0, v19, s0
	v_sub_co_u32 v24, s0, v11, s60
	s_wait_alu 0xf1ff
	v_subrev_co_ci_u32_e64 v16, null, 0, v16, s0
	s_delay_alu instid0(VALU_DEP_2) | instskip(SKIP_2) | instid1(VALU_DEP_3)
	v_cmp_le_u32_e32 vcc_lo, s60, v24
	s_wait_alu 0xfffd
	v_cndmask_b32_e64 v23, 0, -1, vcc_lo
	v_cmp_le_u32_e32 vcc_lo, s61, v16
	s_wait_alu 0xfffd
	v_cndmask_b32_e64 v24, 0, -1, vcc_lo
	;; [unrolled: 3-line block ×4, first 2 shown]
	v_cmp_eq_u32_e32 vcc_lo, s61, v16
	s_wait_alu 0xfffd
	v_cndmask_b32_e32 v16, v24, v23, vcc_lo
	v_add_co_u32 v23, vcc_lo, v18, 1
	s_wait_alu 0xfffd
	v_add_co_ci_u32_e64 v24, null, 0, v19, vcc_lo
	v_cmp_eq_u32_e32 vcc_lo, s61, v12
	s_wait_alu 0xfffd
	v_cndmask_b32_e32 v11, v25, v11, vcc_lo
	v_cmp_ne_u32_e32 vcc_lo, 0, v16
                                        ; implicit-def: $vgpr16
	s_wait_alu 0xfffd
	v_cndmask_b32_e32 v12, v24, v22, vcc_lo
	s_delay_alu instid0(VALU_DEP_3) | instskip(SKIP_2) | instid1(VALU_DEP_2)
	v_cmp_ne_u32_e64 s0, 0, v11
	v_cndmask_b32_e32 v11, v23, v21, vcc_lo
	s_wait_alu 0xf1ff
	v_cndmask_b32_e64 v12, v19, v12, s0
	s_delay_alu instid0(VALU_DEP_2) | instskip(NEXT) | instid1(VALU_DEP_2)
	v_cndmask_b32_e64 v11, v18, v11, s0
	v_xor_b32_e32 v12, v12, v2
	s_delay_alu instid0(VALU_DEP_2) | instskip(NEXT) | instid1(VALU_DEP_1)
	v_xor_b32_e32 v11, v11, v2
	v_sub_co_u32 v11, vcc_lo, v11, v2
	s_wait_alu 0xfffd
	s_delay_alu instid0(VALU_DEP_3)
	v_sub_co_ci_u32_e64 v12, null, v12, v2, vcc_lo
.LBB59_21:                              ;   in Loop: Header=BB59_3 Depth=1
	s_wait_alu 0xfffe
	s_and_not1_saveexec_b32 s0, s57
	s_cbranch_execz .LBB59_23
; %bb.22:                               ;   in Loop: Header=BB59_3 Depth=1
	s_sub_co_i32 s57, 0, s2
	s_wait_alu 0xfffe
	v_mul_lo_u32 v2, s57, v13
	s_delay_alu instid0(VALU_DEP_1) | instskip(NEXT) | instid1(VALU_DEP_1)
	v_mul_hi_u32 v2, v13, v2
	v_add_nc_u32_e32 v2, v13, v2
	s_delay_alu instid0(VALU_DEP_1) | instskip(NEXT) | instid1(VALU_DEP_1)
	v_mul_hi_u32 v2, v16, v2
	v_mul_lo_u32 v11, v2, s2
	v_add_nc_u32_e32 v12, 1, v2
	s_delay_alu instid0(VALU_DEP_2) | instskip(NEXT) | instid1(VALU_DEP_1)
	v_sub_nc_u32_e32 v11, v16, v11
	v_subrev_nc_u32_e32 v16, s2, v11
	v_cmp_le_u32_e32 vcc_lo, s2, v11
	s_wait_alu 0xfffd
	s_delay_alu instid0(VALU_DEP_2) | instskip(SKIP_1) | instid1(VALU_DEP_2)
	v_cndmask_b32_e32 v11, v11, v16, vcc_lo
	v_cndmask_b32_e32 v2, v2, v12, vcc_lo
	v_cmp_le_u32_e32 vcc_lo, s2, v11
	s_delay_alu instid0(VALU_DEP_2) | instskip(SKIP_1) | instid1(VALU_DEP_1)
	v_add_nc_u32_e32 v12, 1, v2
	s_wait_alu 0xfffd
	v_dual_cndmask_b32 v11, v2, v12 :: v_dual_mov_b32 v12, v1
.LBB59_23:                              ;   in Loop: Header=BB59_3 Depth=1
	s_wait_alu 0xfffe
	s_or_b32 exec_lo, exec_lo, s0
	s_delay_alu instid0(VALU_DEP_1) | instskip(NEXT) | instid1(VALU_DEP_2)
	v_mul_lo_u32 v2, v12, s2
	v_mul_lo_u32 v16, v11, s3
	v_mad_co_u64_u32 v[18:19], null, v11, s2, 0
	s_mov_b32 s0, exec_lo
	v_add3_u32 v2, v19, v16, v2
	v_sub_co_u32 v9, vcc_lo, v9, v18
	v_mul_lo_u32 v16, v12, s24
	v_mul_lo_u32 v18, v11, s25
	s_wait_alu 0xfffd
	v_sub_co_ci_u32_e64 v2, null, v10, v2, vcc_lo
	v_add_co_u32 v12, vcc_lo, v3, v9
	v_mad_co_u64_u32 v[9:10], null, v11, s24, 0
	s_wait_alu 0xfffd
	s_delay_alu instid0(VALU_DEP_3) | instskip(NEXT) | instid1(VALU_DEP_3)
	v_add_co_ci_u32_e64 v2, null, v4, v2, vcc_lo
	v_mul_lo_u32 v19, v12, s27
	v_mad_co_u64_u32 v[11:12], null, v12, s26, 0
	s_delay_alu instid0(VALU_DEP_3) | instskip(SKIP_1) | instid1(VALU_DEP_1)
	v_mul_lo_u32 v2, v2, s26
	v_add3_u32 v10, v10, v18, v16
	v_lshlrev_b64_e32 v[9:10], 1, v[9:10]
	s_delay_alu instid0(VALU_DEP_3) | instskip(NEXT) | instid1(VALU_DEP_2)
	v_add3_u32 v12, v12, v19, v2
	v_add_co_u32 v2, vcc_lo, s28, v9
	s_delay_alu instid0(VALU_DEP_2) | instskip(SKIP_1) | instid1(VALU_DEP_4)
	v_lshlrev_b64_e32 v[11:12], 1, v[11:12]
	s_wait_alu 0xfffd
	v_add_co_ci_u32_e64 v10, null, s29, v10, vcc_lo
	s_delay_alu instid0(VALU_DEP_2) | instskip(SKIP_1) | instid1(VALU_DEP_2)
	v_add_co_u32 v9, vcc_lo, v2, v11
	s_wait_alu 0xfffd
	v_add_co_ci_u32_e64 v10, null, v10, v12, vcc_lo
	v_add_co_u32 v2, vcc_lo, v7, 4
	s_wait_alu 0xfffd
	v_add_co_ci_u32_e64 v7, null, 0, v8, vcc_lo
	global_load_u16 v21, v[9:10], off
	v_mul_lo_u32 v9, s5, v2
	v_mul_lo_u32 v10, s4, v7
	v_mad_co_u64_u32 v[7:8], null, s4, v2, 0
	s_delay_alu instid0(VALU_DEP_1) | instskip(NEXT) | instid1(VALU_DEP_2)
	v_add3_u32 v8, v8, v10, v9
	v_add_co_u32 v11, vcc_lo, v3, v7
                                        ; implicit-def: $vgpr9_vgpr10
	s_wait_alu 0xfffd
	s_delay_alu instid0(VALU_DEP_2) | instskip(NEXT) | instid1(VALU_DEP_1)
	v_add_co_ci_u32_e64 v12, null, v4, v8, vcc_lo
	v_or_b32_e32 v2, s3, v12
	s_delay_alu instid0(VALU_DEP_1)
	v_cmpx_ne_u64_e32 0, v[1:2]
	s_wait_alu 0xfffe
	s_xor_b32 s57, exec_lo, s0
	s_cbranch_execz .LBB59_25
; %bb.24:                               ;   in Loop: Header=BB59_3 Depth=1
	s_ashr_i32 s58, s3, 31
	v_ashrrev_i32_e32 v2, 31, v12
	s_wait_alu 0xfffe
	s_mov_b32 s59, s58
	s_wait_alu 0xfffe
	s_add_nc_u64 s[60:61], s[2:3], s[58:59]
	v_add_co_u32 v9, vcc_lo, v11, v2
	s_wait_alu 0xfffe
	s_xor_b64 s[60:61], s[60:61], s[58:59]
	s_wait_alu 0xfffd
	v_add_co_ci_u32_e64 v10, null, v12, v2, vcc_lo
	s_wait_alu 0xfffe
	s_cvt_f32_u32 s0, s60
	s_cvt_f32_u32 s59, s61
	s_sub_nc_u64 s[66:67], 0, s[60:61]
	v_xor_b32_e32 v16, v9, v2
	v_xor_b32_e32 v22, v10, v2
	s_wait_alu 0xfffe
	s_fmamk_f32 s0, s59, 0x4f800000, s0
	v_xor_b32_e32 v2, s58, v2
	s_wait_alu 0xfffe
	s_delay_alu instid0(SALU_CYCLE_1) | instskip(NEXT) | instid1(TRANS32_DEP_1)
	v_s_rcp_f32 s0, s0
	s_mul_f32 s0, s0, 0x5f7ffffc
	s_wait_alu 0xfffe
	s_delay_alu instid0(SALU_CYCLE_2) | instskip(SKIP_1) | instid1(SALU_CYCLE_2)
	s_mul_f32 s59, s0, 0x2f800000
	s_wait_alu 0xfffe
	s_trunc_f32 s59, s59
	s_wait_alu 0xfffe
	s_delay_alu instid0(SALU_CYCLE_2) | instskip(SKIP_2) | instid1(SALU_CYCLE_1)
	s_fmamk_f32 s0, s59, 0xcf800000, s0
	s_cvt_u32_f32 s65, s59
	s_wait_alu 0xfffe
	s_cvt_u32_f32 s64, s0
	s_delay_alu instid0(SALU_CYCLE_3) | instskip(NEXT) | instid1(SALU_CYCLE_1)
	s_mul_u64 s[68:69], s[66:67], s[64:65]
	s_mul_hi_u32 s71, s64, s69
	s_mul_i32 s70, s64, s69
	s_mul_hi_u32 s0, s64, s68
	s_mul_i32 s72, s65, s68
	s_wait_alu 0xfffe
	s_add_nc_u64 s[70:71], s[0:1], s[70:71]
	s_mul_hi_u32 s59, s65, s68
	s_mul_hi_u32 s73, s65, s69
	s_add_co_u32 s0, s70, s72
	s_wait_alu 0xfffe
	s_add_co_ci_u32 s0, s71, s59
	s_mul_i32 s68, s65, s69
	s_add_co_ci_u32 s69, s73, 0
	s_wait_alu 0xfffe
	s_add_nc_u64 s[68:69], s[0:1], s[68:69]
	s_delay_alu instid0(SALU_CYCLE_1) | instskip(SKIP_4) | instid1(SALU_CYCLE_1)
	s_add_co_u32 s64, s64, s68
	s_cselect_b32 s0, -1, 0
	s_wait_alu 0xfffe
	s_cmp_lg_u32 s0, 0
	s_add_co_ci_u32 s65, s65, s69
	s_mul_u64 s[66:67], s[66:67], s[64:65]
	s_delay_alu instid0(SALU_CYCLE_1)
	s_mul_hi_u32 s69, s64, s67
	s_mul_i32 s68, s64, s67
	s_mul_hi_u32 s0, s64, s66
	s_mul_i32 s70, s65, s66
	s_wait_alu 0xfffe
	s_add_nc_u64 s[68:69], s[0:1], s[68:69]
	s_mul_hi_u32 s59, s65, s66
	s_mul_hi_u32 s71, s65, s67
	s_add_co_u32 s0, s68, s70
	s_wait_alu 0xfffe
	s_add_co_ci_u32 s0, s69, s59
	s_mul_i32 s66, s65, s67
	s_add_co_ci_u32 s67, s71, 0
	s_wait_alu 0xfffe
	s_add_nc_u64 s[66:67], s[0:1], s[66:67]
	s_delay_alu instid0(SALU_CYCLE_1)
	s_add_co_u32 s0, s64, s66
	s_cselect_b32 s59, -1, 0
	s_wait_alu 0xfffe
	v_mul_hi_u32 v23, v16, s0
	s_cmp_lg_u32 s59, 0
	v_mad_co_u64_u32 v[11:12], null, v22, s0, 0
	s_add_co_ci_u32 s59, s65, s67
	s_wait_alu 0xfffe
	v_mad_co_u64_u32 v[9:10], null, v16, s59, 0
	v_mad_co_u64_u32 v[18:19], null, v22, s59, 0
	s_delay_alu instid0(VALU_DEP_2) | instskip(SKIP_1) | instid1(VALU_DEP_3)
	v_add_co_u32 v9, vcc_lo, v23, v9
	s_wait_alu 0xfffd
	v_add_co_ci_u32_e64 v10, null, 0, v10, vcc_lo
	s_delay_alu instid0(VALU_DEP_2) | instskip(SKIP_1) | instid1(VALU_DEP_2)
	v_add_co_u32 v9, vcc_lo, v9, v11
	s_wait_alu 0xfffd
	v_add_co_ci_u32_e32 v9, vcc_lo, v10, v12, vcc_lo
	s_wait_alu 0xfffd
	v_add_co_ci_u32_e32 v10, vcc_lo, 0, v19, vcc_lo
	s_delay_alu instid0(VALU_DEP_2) | instskip(SKIP_1) | instid1(VALU_DEP_2)
	v_add_co_u32 v11, vcc_lo, v9, v18
	s_wait_alu 0xfffd
	v_add_co_ci_u32_e64 v12, null, 0, v10, vcc_lo
	s_delay_alu instid0(VALU_DEP_2) | instskip(SKIP_1) | instid1(VALU_DEP_3)
	v_mul_lo_u32 v18, s61, v11
	v_mad_co_u64_u32 v[9:10], null, s60, v11, 0
	v_mul_lo_u32 v19, s60, v12
	s_delay_alu instid0(VALU_DEP_2) | instskip(NEXT) | instid1(VALU_DEP_2)
	v_sub_co_u32 v9, vcc_lo, v16, v9
	v_add3_u32 v10, v10, v19, v18
	s_delay_alu instid0(VALU_DEP_1) | instskip(SKIP_2) | instid1(VALU_DEP_2)
	v_sub_nc_u32_e32 v18, v22, v10
	s_wait_alu 0xfffd
	v_sub_co_ci_u32_e64 v10, null, v22, v10, vcc_lo
	v_subrev_co_ci_u32_e64 v16, null, s61, v18, vcc_lo
	v_add_co_u32 v18, s0, v11, 2
	s_wait_alu 0xf1ff
	v_add_co_ci_u32_e64 v19, null, 0, v12, s0
	v_sub_co_u32 v23, s0, v9, s60
	s_wait_alu 0xf1ff
	v_subrev_co_ci_u32_e64 v16, null, 0, v16, s0
	s_delay_alu instid0(VALU_DEP_2) | instskip(SKIP_2) | instid1(VALU_DEP_3)
	v_cmp_le_u32_e32 vcc_lo, s60, v23
	s_wait_alu 0xfffd
	v_cndmask_b32_e64 v22, 0, -1, vcc_lo
	v_cmp_le_u32_e32 vcc_lo, s61, v16
	s_wait_alu 0xfffd
	v_cndmask_b32_e64 v23, 0, -1, vcc_lo
	;; [unrolled: 3-line block ×4, first 2 shown]
	v_cmp_eq_u32_e32 vcc_lo, s61, v16
	s_wait_alu 0xfffd
	v_cndmask_b32_e32 v16, v23, v22, vcc_lo
	v_add_co_u32 v22, vcc_lo, v11, 1
	s_wait_alu 0xfffd
	v_add_co_ci_u32_e64 v23, null, 0, v12, vcc_lo
	v_cmp_eq_u32_e32 vcc_lo, s61, v10
	s_wait_alu 0xfffd
	v_cndmask_b32_e32 v9, v24, v9, vcc_lo
	v_cmp_ne_u32_e32 vcc_lo, 0, v16
	s_delay_alu instid0(VALU_DEP_2) | instskip(SKIP_3) | instid1(VALU_DEP_1)
	v_cmp_ne_u32_e64 s0, 0, v9
	s_wait_alu 0xfffd
	v_dual_cndmask_b32 v10, v23, v19 :: v_dual_cndmask_b32 v9, v22, v18
	s_wait_alu 0xf1ff
	v_cndmask_b32_e64 v10, v12, v10, s0
	s_delay_alu instid0(VALU_DEP_2) | instskip(NEXT) | instid1(VALU_DEP_2)
	v_cndmask_b32_e64 v9, v11, v9, s0
                                        ; implicit-def: $vgpr11
	v_xor_b32_e32 v10, v10, v2
	s_delay_alu instid0(VALU_DEP_2) | instskip(NEXT) | instid1(VALU_DEP_1)
	v_xor_b32_e32 v9, v9, v2
	v_sub_co_u32 v9, vcc_lo, v9, v2
	s_wait_alu 0xfffd
	s_delay_alu instid0(VALU_DEP_3)
	v_sub_co_ci_u32_e64 v10, null, v10, v2, vcc_lo
.LBB59_25:                              ;   in Loop: Header=BB59_3 Depth=1
	s_wait_alu 0xfffe
	s_and_not1_saveexec_b32 s0, s57
	s_cbranch_execz .LBB59_27
; %bb.26:                               ;   in Loop: Header=BB59_3 Depth=1
	s_sub_co_i32 s57, 0, s2
	s_wait_alu 0xfffe
	v_mul_lo_u32 v2, s57, v13
	s_delay_alu instid0(VALU_DEP_1) | instskip(NEXT) | instid1(VALU_DEP_1)
	v_mul_hi_u32 v2, v13, v2
	v_add_nc_u32_e32 v2, v13, v2
	s_delay_alu instid0(VALU_DEP_1) | instskip(NEXT) | instid1(VALU_DEP_1)
	v_mul_hi_u32 v2, v11, v2
	v_mul_lo_u32 v9, v2, s2
	s_delay_alu instid0(VALU_DEP_1) | instskip(NEXT) | instid1(VALU_DEP_1)
	v_sub_nc_u32_e32 v9, v11, v9
	v_subrev_nc_u32_e32 v11, s2, v9
	v_cmp_le_u32_e32 vcc_lo, s2, v9
	s_wait_alu 0xfffd
	s_delay_alu instid0(VALU_DEP_2) | instskip(NEXT) | instid1(VALU_DEP_1)
	v_dual_cndmask_b32 v9, v9, v11 :: v_dual_add_nc_u32 v10, 1, v2
	v_cndmask_b32_e32 v2, v2, v10, vcc_lo
	s_delay_alu instid0(VALU_DEP_2) | instskip(NEXT) | instid1(VALU_DEP_2)
	v_cmp_le_u32_e32 vcc_lo, s2, v9
	v_add_nc_u32_e32 v10, 1, v2
	s_wait_alu 0xfffd
	s_delay_alu instid0(VALU_DEP_1)
	v_dual_cndmask_b32 v9, v2, v10 :: v_dual_mov_b32 v10, v1
.LBB59_27:                              ;   in Loop: Header=BB59_3 Depth=1
	s_wait_alu 0xfffe
	s_or_b32 exec_lo, exec_lo, s0
	s_delay_alu instid0(VALU_DEP_1) | instskip(NEXT) | instid1(VALU_DEP_2)
	v_mul_lo_u32 v2, v10, s2
	v_mul_lo_u32 v16, v9, s3
	v_mad_co_u64_u32 v[11:12], null, v9, s2, 0
	s_mov_b32 s0, exec_lo
	v_add3_u32 v2, v12, v16, v2
	v_sub_co_u32 v7, vcc_lo, v7, v11
	v_mul_lo_u32 v12, v10, s24
	v_mul_lo_u32 v11, v9, s25
	s_wait_alu 0xfffd
	v_sub_co_ci_u32_e64 v2, null, v8, v2, vcc_lo
	v_add_co_u32 v10, vcc_lo, v3, v7
	v_mad_co_u64_u32 v[7:8], null, v9, s24, 0
	s_wait_alu 0xfffd
	s_delay_alu instid0(VALU_DEP_3) | instskip(NEXT) | instid1(VALU_DEP_3)
	v_add_co_ci_u32_e64 v2, null, v4, v2, vcc_lo
	v_mul_lo_u32 v16, v10, s27
	v_mad_co_u64_u32 v[9:10], null, v10, s26, 0
	s_delay_alu instid0(VALU_DEP_3) | instskip(SKIP_1) | instid1(VALU_DEP_1)
	v_mul_lo_u32 v2, v2, s26
	v_add3_u32 v8, v8, v11, v12
	v_lshlrev_b64_e32 v[7:8], 1, v[7:8]
	s_delay_alu instid0(VALU_DEP_3) | instskip(NEXT) | instid1(VALU_DEP_2)
	v_add3_u32 v10, v10, v16, v2
	v_add_co_u32 v2, vcc_lo, s28, v7
	s_delay_alu instid0(VALU_DEP_2) | instskip(SKIP_1) | instid1(VALU_DEP_4)
	v_lshlrev_b64_e32 v[9:10], 1, v[9:10]
	s_wait_alu 0xfffd
	v_add_co_ci_u32_e64 v8, null, s29, v8, vcc_lo
	s_delay_alu instid0(VALU_DEP_2) | instskip(SKIP_1) | instid1(VALU_DEP_2)
	v_add_co_u32 v7, vcc_lo, v2, v9
	s_wait_alu 0xfffd
	v_add_co_ci_u32_e64 v8, null, v8, v10, vcc_lo
	v_or_b32_e32 v2, s43, v4
	global_load_u16 v9, v[7:8], off
                                        ; implicit-def: $vgpr7_vgpr8
	v_cmpx_ne_u64_e32 0, v[1:2]
	s_wait_alu 0xfffe
	s_xor_b32 s57, exec_lo, s0
	s_cbranch_execz .LBB59_29
; %bb.28:                               ;   in Loop: Header=BB59_3 Depth=1
	s_ashr_i32 s58, s43, 31
	v_add_co_u32 v2, vcc_lo, v3, v14
	s_wait_alu 0xfffe
	s_mov_b32 s59, s58
	s_wait_alu 0xfffd
	v_add_co_ci_u32_e64 v7, null, v4, v14, vcc_lo
	s_wait_alu 0xfffe
	s_add_nc_u64 s[60:61], s[42:43], s[58:59]
	v_xor_b32_e32 v2, v2, v14
	s_wait_alu 0xfffe
	s_xor_b64 s[60:61], s[60:61], s[58:59]
	v_xor_b32_e32 v12, v7, v14
	s_wait_alu 0xfffe
	s_cvt_f32_u32 s0, s60
	s_cvt_f32_u32 s59, s61
	s_sub_nc_u64 s[66:67], 0, s[60:61]
	s_wait_alu 0xfffe
	s_delay_alu instid0(SALU_CYCLE_1) | instskip(SKIP_1) | instid1(SALU_CYCLE_2)
	s_fmamk_f32 s0, s59, 0x4f800000, s0
	s_wait_alu 0xfffe
	v_s_rcp_f32 s0, s0
	s_delay_alu instid0(TRANS32_DEP_1) | instskip(SKIP_1) | instid1(SALU_CYCLE_2)
	s_mul_f32 s0, s0, 0x5f7ffffc
	s_wait_alu 0xfffe
	s_mul_f32 s59, s0, 0x2f800000
	s_wait_alu 0xfffe
	s_delay_alu instid0(SALU_CYCLE_2) | instskip(SKIP_1) | instid1(SALU_CYCLE_2)
	s_trunc_f32 s59, s59
	s_wait_alu 0xfffe
	s_fmamk_f32 s0, s59, 0xcf800000, s0
	s_cvt_u32_f32 s65, s59
	s_wait_alu 0xfffe
	s_delay_alu instid0(SALU_CYCLE_1) | instskip(NEXT) | instid1(SALU_CYCLE_3)
	s_cvt_u32_f32 s64, s0
	s_mul_u64 s[68:69], s[66:67], s[64:65]
	s_delay_alu instid0(SALU_CYCLE_1)
	s_mul_hi_u32 s71, s64, s69
	s_mul_i32 s70, s64, s69
	s_mul_hi_u32 s0, s64, s68
	s_mul_i32 s72, s65, s68
	s_wait_alu 0xfffe
	s_add_nc_u64 s[70:71], s[0:1], s[70:71]
	s_mul_hi_u32 s59, s65, s68
	s_mul_hi_u32 s73, s65, s69
	s_add_co_u32 s0, s70, s72
	s_wait_alu 0xfffe
	s_add_co_ci_u32 s0, s71, s59
	s_mul_i32 s68, s65, s69
	s_add_co_ci_u32 s69, s73, 0
	s_wait_alu 0xfffe
	s_add_nc_u64 s[68:69], s[0:1], s[68:69]
	s_delay_alu instid0(SALU_CYCLE_1) | instskip(SKIP_4) | instid1(SALU_CYCLE_1)
	s_add_co_u32 s64, s64, s68
	s_cselect_b32 s0, -1, 0
	s_wait_alu 0xfffe
	s_cmp_lg_u32 s0, 0
	s_add_co_ci_u32 s65, s65, s69
	s_mul_u64 s[66:67], s[66:67], s[64:65]
	s_delay_alu instid0(SALU_CYCLE_1)
	s_mul_hi_u32 s69, s64, s67
	s_mul_i32 s68, s64, s67
	s_mul_hi_u32 s0, s64, s66
	s_mul_i32 s70, s65, s66
	s_wait_alu 0xfffe
	s_add_nc_u64 s[68:69], s[0:1], s[68:69]
	s_mul_hi_u32 s59, s65, s66
	s_mul_hi_u32 s71, s65, s67
	s_add_co_u32 s0, s68, s70
	s_wait_alu 0xfffe
	s_add_co_ci_u32 s0, s69, s59
	s_mul_i32 s66, s65, s67
	s_add_co_ci_u32 s67, s71, 0
	s_wait_alu 0xfffe
	s_add_nc_u64 s[66:67], s[0:1], s[66:67]
	s_delay_alu instid0(SALU_CYCLE_1)
	s_add_co_u32 s0, s64, s66
	s_cselect_b32 s59, -1, 0
	s_wait_alu 0xfffe
	v_mul_hi_u32 v16, v2, s0
	s_cmp_lg_u32 s59, 0
	v_mad_co_u64_u32 v[10:11], null, v12, s0, 0
	s_add_co_ci_u32 s59, s65, s67
	s_wait_alu 0xfffe
	v_mad_co_u64_u32 v[7:8], null, v2, s59, 0
	v_mad_co_u64_u32 v[18:19], null, v12, s59, 0
	s_delay_alu instid0(VALU_DEP_2) | instskip(SKIP_1) | instid1(VALU_DEP_3)
	v_add_co_u32 v7, vcc_lo, v16, v7
	s_wait_alu 0xfffd
	v_add_co_ci_u32_e64 v8, null, 0, v8, vcc_lo
	s_delay_alu instid0(VALU_DEP_2) | instskip(SKIP_1) | instid1(VALU_DEP_2)
	v_add_co_u32 v7, vcc_lo, v7, v10
	s_wait_alu 0xfffd
	v_add_co_ci_u32_e32 v7, vcc_lo, v8, v11, vcc_lo
	s_wait_alu 0xfffd
	v_add_co_ci_u32_e32 v8, vcc_lo, 0, v19, vcc_lo
	s_delay_alu instid0(VALU_DEP_2) | instskip(SKIP_1) | instid1(VALU_DEP_2)
	v_add_co_u32 v10, vcc_lo, v7, v18
	s_wait_alu 0xfffd
	v_add_co_ci_u32_e64 v11, null, 0, v8, vcc_lo
	s_delay_alu instid0(VALU_DEP_2) | instskip(SKIP_1) | instid1(VALU_DEP_3)
	v_mul_lo_u32 v16, s61, v10
	v_mad_co_u64_u32 v[7:8], null, s60, v10, 0
	v_mul_lo_u32 v18, s60, v11
	s_delay_alu instid0(VALU_DEP_2) | instskip(NEXT) | instid1(VALU_DEP_2)
	v_sub_co_u32 v2, vcc_lo, v2, v7
	v_add3_u32 v8, v8, v18, v16
	s_delay_alu instid0(VALU_DEP_1) | instskip(SKIP_2) | instid1(VALU_DEP_2)
	v_sub_nc_u32_e32 v16, v12, v8
	s_wait_alu 0xfffd
	v_sub_co_ci_u32_e64 v8, null, v12, v8, vcc_lo
	v_subrev_co_ci_u32_e64 v7, null, s61, v16, vcc_lo
	v_add_co_u32 v16, s0, v10, 2
	s_wait_alu 0xf1ff
	v_add_co_ci_u32_e64 v18, null, 0, v11, s0
	v_sub_co_u32 v19, s0, v2, s60
	s_wait_alu 0xf1ff
	v_subrev_co_ci_u32_e64 v7, null, 0, v7, s0
	s_delay_alu instid0(VALU_DEP_2) | instskip(SKIP_2) | instid1(VALU_DEP_3)
	v_cmp_le_u32_e32 vcc_lo, s60, v19
	s_wait_alu 0xfffd
	v_cndmask_b32_e64 v12, 0, -1, vcc_lo
	v_cmp_le_u32_e32 vcc_lo, s61, v7
	s_wait_alu 0xfffd
	v_cndmask_b32_e64 v19, 0, -1, vcc_lo
	;; [unrolled: 3-line block ×4, first 2 shown]
	v_cmp_eq_u32_e32 vcc_lo, s61, v7
	s_wait_alu 0xfffd
	v_cndmask_b32_e32 v7, v19, v12, vcc_lo
	v_add_co_u32 v12, vcc_lo, v10, 1
	s_wait_alu 0xfffd
	v_add_co_ci_u32_e64 v19, null, 0, v11, vcc_lo
	v_cmp_eq_u32_e32 vcc_lo, s61, v8
	v_xor_b32_e32 v8, s58, v14
	s_wait_alu 0xfffd
	v_cndmask_b32_e32 v2, v22, v2, vcc_lo
	v_cmp_ne_u32_e32 vcc_lo, 0, v7
	s_delay_alu instid0(VALU_DEP_2) | instskip(SKIP_3) | instid1(VALU_DEP_1)
	v_cmp_ne_u32_e64 s0, 0, v2
	s_wait_alu 0xfffd
	v_dual_cndmask_b32 v7, v19, v18 :: v_dual_cndmask_b32 v2, v12, v16
	s_wait_alu 0xf1ff
	v_cndmask_b32_e64 v7, v11, v7, s0
	s_delay_alu instid0(VALU_DEP_2) | instskip(NEXT) | instid1(VALU_DEP_2)
	v_cndmask_b32_e64 v2, v10, v2, s0
	v_xor_b32_e32 v10, v7, v8
	s_delay_alu instid0(VALU_DEP_2) | instskip(NEXT) | instid1(VALU_DEP_1)
	v_xor_b32_e32 v2, v2, v8
	v_sub_co_u32 v7, vcc_lo, v2, v8
	s_wait_alu 0xfffd
	s_delay_alu instid0(VALU_DEP_3)
	v_sub_co_ci_u32_e64 v8, null, v10, v8, vcc_lo
.LBB59_29:                              ;   in Loop: Header=BB59_3 Depth=1
	s_wait_alu 0xfffe
	s_and_not1_saveexec_b32 s0, s57
	s_cbranch_execz .LBB59_31
; %bb.30:                               ;   in Loop: Header=BB59_3 Depth=1
	v_cvt_f32_u32_e32 v2, s42
	s_sub_co_i32 s57, 0, s42
	s_delay_alu instid0(VALU_DEP_1) | instskip(NEXT) | instid1(TRANS32_DEP_1)
	v_rcp_iflag_f32_e32 v2, v2
	v_mul_f32_e32 v2, 0x4f7ffffe, v2
	s_delay_alu instid0(VALU_DEP_1) | instskip(SKIP_1) | instid1(VALU_DEP_1)
	v_cvt_u32_f32_e32 v2, v2
	s_wait_alu 0xfffe
	v_mul_lo_u32 v7, s57, v2
	s_delay_alu instid0(VALU_DEP_1) | instskip(NEXT) | instid1(VALU_DEP_1)
	v_mul_hi_u32 v7, v2, v7
	v_add_nc_u32_e32 v2, v2, v7
	s_delay_alu instid0(VALU_DEP_1) | instskip(NEXT) | instid1(VALU_DEP_1)
	v_mul_hi_u32 v2, v3, v2
	v_mul_lo_u32 v7, v2, s42
	v_add_nc_u32_e32 v8, 1, v2
	s_delay_alu instid0(VALU_DEP_2) | instskip(NEXT) | instid1(VALU_DEP_1)
	v_sub_nc_u32_e32 v7, v3, v7
	v_subrev_nc_u32_e32 v10, s42, v7
	v_cmp_le_u32_e32 vcc_lo, s42, v7
	s_wait_alu 0xfffd
	s_delay_alu instid0(VALU_DEP_2) | instskip(NEXT) | instid1(VALU_DEP_1)
	v_dual_cndmask_b32 v7, v7, v10 :: v_dual_cndmask_b32 v2, v2, v8
	v_cmp_le_u32_e32 vcc_lo, s42, v7
	s_delay_alu instid0(VALU_DEP_2) | instskip(SKIP_1) | instid1(VALU_DEP_1)
	v_add_nc_u32_e32 v8, 1, v2
	s_wait_alu 0xfffd
	v_dual_cndmask_b32 v7, v2, v8 :: v_dual_mov_b32 v8, v1
.LBB59_31:                              ;   in Loop: Header=BB59_3 Depth=1
	s_wait_alu 0xfffe
	s_or_b32 exec_lo, exec_lo, s0
	s_delay_alu instid0(VALU_DEP_1) | instskip(NEXT) | instid1(VALU_DEP_2)
	v_mad_co_u64_u32 v[10:11], null, s52, v7, v[3:4]
	v_mul_lo_u32 v2, s52, v8
	v_mul_lo_u32 v12, s53, v7
	;; [unrolled: 1-line block ×4, first 2 shown]
	v_mad_co_u64_u32 v[7:8], null, v7, s16, 0
	s_mov_b32 s0, exec_lo
	v_add3_u32 v2, v12, v11, v2
	v_mul_lo_u32 v12, v10, s19
	v_mad_co_u64_u32 v[10:11], null, v10, s18, 0
	v_add3_u32 v8, v8, v18, v16
	s_delay_alu instid0(VALU_DEP_4) | instskip(NEXT) | instid1(VALU_DEP_2)
	v_mul_lo_u32 v2, v2, s18
	v_lshlrev_b64_e32 v[7:8], 1, v[7:8]
	s_delay_alu instid0(VALU_DEP_2) | instskip(NEXT) | instid1(VALU_DEP_2)
	v_add3_u32 v11, v11, v12, v2
	v_add_co_u32 v2, vcc_lo, s40, v7
	s_wait_alu 0xfffd
	s_delay_alu instid0(VALU_DEP_3) | instskip(NEXT) | instid1(VALU_DEP_3)
	v_add_co_ci_u32_e64 v8, null, s41, v8, vcc_lo
	v_lshlrev_b64_e32 v[10:11], 1, v[10:11]
	s_delay_alu instid0(VALU_DEP_1) | instskip(SKIP_1) | instid1(VALU_DEP_2)
	v_add_co_u32 v7, vcc_lo, v2, v10
	s_wait_alu 0xfffd
	v_add_co_ci_u32_e64 v8, null, v8, v11, vcc_lo
	v_mul_lo_u32 v2, s51, v5
	v_mul_lo_u32 v10, s50, v6
                                        ; implicit-def: $vgpr11_vgpr12
	global_load_u16 v16, v[7:8], off
	v_mad_co_u64_u32 v[7:8], null, s50, v5, 0
	s_delay_alu instid0(VALU_DEP_1) | instskip(NEXT) | instid1(VALU_DEP_2)
	v_add3_u32 v8, v8, v10, v2
	v_add_co_u32 v23, vcc_lo, v3, v7
	s_wait_alu 0xfffd
	s_delay_alu instid0(VALU_DEP_2) | instskip(NEXT) | instid1(VALU_DEP_1)
	v_add_co_ci_u32_e64 v24, null, v4, v8, vcc_lo
	v_or_b32_e32 v2, s35, v24
	v_ashrrev_i32_e32 v22, 31, v24
	s_delay_alu instid0(VALU_DEP_2)
	v_cmpx_ne_u64_e32 0, v[1:2]
	s_wait_alu 0xfffe
	s_xor_b32 s57, exec_lo, s0
	s_cbranch_execz .LBB59_33
; %bb.32:                               ;   in Loop: Header=BB59_3 Depth=1
	s_ashr_i32 s58, s35, 31
	v_add_co_u32 v2, vcc_lo, v23, v22
	s_wait_alu 0xfffe
	s_mov_b32 s59, s58
	s_wait_alu 0xfffd
	v_add_co_ci_u32_e64 v10, null, v24, v22, vcc_lo
	s_wait_alu 0xfffe
	s_add_nc_u64 s[60:61], s[34:35], s[58:59]
	v_xor_b32_e32 v2, v2, v22
	s_wait_alu 0xfffe
	s_xor_b64 s[60:61], s[60:61], s[58:59]
	v_xor_b32_e32 v12, v10, v22
	s_wait_alu 0xfffe
	s_cvt_f32_u32 s0, s60
	s_cvt_f32_u32 s59, s61
	s_sub_nc_u64 s[66:67], 0, s[60:61]
	s_wait_alu 0xfffe
	s_delay_alu instid0(SALU_CYCLE_1) | instskip(SKIP_1) | instid1(SALU_CYCLE_2)
	s_fmamk_f32 s0, s59, 0x4f800000, s0
	s_wait_alu 0xfffe
	v_s_rcp_f32 s0, s0
	s_delay_alu instid0(TRANS32_DEP_1) | instskip(SKIP_1) | instid1(SALU_CYCLE_2)
	s_mul_f32 s0, s0, 0x5f7ffffc
	s_wait_alu 0xfffe
	s_mul_f32 s59, s0, 0x2f800000
	s_wait_alu 0xfffe
	s_delay_alu instid0(SALU_CYCLE_2) | instskip(SKIP_1) | instid1(SALU_CYCLE_2)
	s_trunc_f32 s59, s59
	s_wait_alu 0xfffe
	s_fmamk_f32 s0, s59, 0xcf800000, s0
	s_cvt_u32_f32 s65, s59
	s_wait_alu 0xfffe
	s_delay_alu instid0(SALU_CYCLE_1) | instskip(NEXT) | instid1(SALU_CYCLE_3)
	s_cvt_u32_f32 s64, s0
	s_mul_u64 s[68:69], s[66:67], s[64:65]
	s_delay_alu instid0(SALU_CYCLE_1)
	s_mul_hi_u32 s71, s64, s69
	s_mul_i32 s70, s64, s69
	s_mul_hi_u32 s0, s64, s68
	s_mul_i32 s72, s65, s68
	s_wait_alu 0xfffe
	s_add_nc_u64 s[70:71], s[0:1], s[70:71]
	s_mul_hi_u32 s59, s65, s68
	s_mul_hi_u32 s73, s65, s69
	s_add_co_u32 s0, s70, s72
	s_wait_alu 0xfffe
	s_add_co_ci_u32 s0, s71, s59
	s_mul_i32 s68, s65, s69
	s_add_co_ci_u32 s69, s73, 0
	s_wait_alu 0xfffe
	s_add_nc_u64 s[68:69], s[0:1], s[68:69]
	s_delay_alu instid0(SALU_CYCLE_1) | instskip(SKIP_4) | instid1(SALU_CYCLE_1)
	s_add_co_u32 s64, s64, s68
	s_cselect_b32 s0, -1, 0
	s_wait_alu 0xfffe
	s_cmp_lg_u32 s0, 0
	s_add_co_ci_u32 s65, s65, s69
	s_mul_u64 s[66:67], s[66:67], s[64:65]
	s_delay_alu instid0(SALU_CYCLE_1)
	s_mul_hi_u32 s69, s64, s67
	s_mul_i32 s68, s64, s67
	s_mul_hi_u32 s0, s64, s66
	s_mul_i32 s70, s65, s66
	s_wait_alu 0xfffe
	s_add_nc_u64 s[68:69], s[0:1], s[68:69]
	s_mul_hi_u32 s59, s65, s66
	s_mul_hi_u32 s71, s65, s67
	s_add_co_u32 s0, s68, s70
	s_wait_alu 0xfffe
	s_add_co_ci_u32 s0, s69, s59
	s_mul_i32 s66, s65, s67
	s_add_co_ci_u32 s67, s71, 0
	s_wait_alu 0xfffe
	s_add_nc_u64 s[66:67], s[0:1], s[66:67]
	s_delay_alu instid0(SALU_CYCLE_1)
	s_add_co_u32 s0, s64, s66
	s_cselect_b32 s59, -1, 0
	s_wait_alu 0xfffe
	v_mul_hi_u32 v27, v2, s0
	s_cmp_lg_u32 s59, 0
	v_mad_co_u64_u32 v[18:19], null, v12, s0, 0
	s_add_co_ci_u32 s59, s65, s67
	s_wait_alu 0xfffe
	v_mad_co_u64_u32 v[10:11], null, v2, s59, 0
	v_mad_co_u64_u32 v[25:26], null, v12, s59, 0
	s_delay_alu instid0(VALU_DEP_2) | instskip(SKIP_1) | instid1(VALU_DEP_3)
	v_add_co_u32 v10, vcc_lo, v27, v10
	s_wait_alu 0xfffd
	v_add_co_ci_u32_e64 v11, null, 0, v11, vcc_lo
	s_delay_alu instid0(VALU_DEP_2) | instskip(SKIP_1) | instid1(VALU_DEP_2)
	v_add_co_u32 v10, vcc_lo, v10, v18
	s_wait_alu 0xfffd
	v_add_co_ci_u32_e32 v10, vcc_lo, v11, v19, vcc_lo
	s_wait_alu 0xfffd
	v_add_co_ci_u32_e32 v11, vcc_lo, 0, v26, vcc_lo
	s_delay_alu instid0(VALU_DEP_2) | instskip(SKIP_1) | instid1(VALU_DEP_2)
	v_add_co_u32 v18, vcc_lo, v10, v25
	s_wait_alu 0xfffd
	v_add_co_ci_u32_e64 v19, null, 0, v11, vcc_lo
	s_delay_alu instid0(VALU_DEP_2) | instskip(SKIP_1) | instid1(VALU_DEP_3)
	v_mul_lo_u32 v25, s61, v18
	v_mad_co_u64_u32 v[10:11], null, s60, v18, 0
	v_mul_lo_u32 v26, s60, v19
	s_delay_alu instid0(VALU_DEP_2) | instskip(NEXT) | instid1(VALU_DEP_2)
	v_sub_co_u32 v2, vcc_lo, v2, v10
	v_add3_u32 v11, v11, v26, v25
	s_delay_alu instid0(VALU_DEP_1) | instskip(SKIP_2) | instid1(VALU_DEP_2)
	v_sub_nc_u32_e32 v25, v12, v11
	s_wait_alu 0xfffd
	v_sub_co_ci_u32_e64 v11, null, v12, v11, vcc_lo
	v_subrev_co_ci_u32_e64 v10, null, s61, v25, vcc_lo
	v_add_co_u32 v25, s0, v18, 2
	s_wait_alu 0xf1ff
	v_add_co_ci_u32_e64 v26, null, 0, v19, s0
	v_sub_co_u32 v27, s0, v2, s60
	s_wait_alu 0xf1ff
	v_subrev_co_ci_u32_e64 v10, null, 0, v10, s0
	s_delay_alu instid0(VALU_DEP_2) | instskip(SKIP_2) | instid1(VALU_DEP_3)
	v_cmp_le_u32_e32 vcc_lo, s60, v27
	s_wait_alu 0xfffd
	v_cndmask_b32_e64 v12, 0, -1, vcc_lo
	v_cmp_le_u32_e32 vcc_lo, s61, v10
	s_wait_alu 0xfffd
	v_cndmask_b32_e64 v27, 0, -1, vcc_lo
	;; [unrolled: 3-line block ×4, first 2 shown]
	v_cmp_eq_u32_e32 vcc_lo, s61, v10
	s_wait_alu 0xfffd
	v_cndmask_b32_e32 v10, v27, v12, vcc_lo
	v_add_co_u32 v12, vcc_lo, v18, 1
	s_wait_alu 0xfffd
	v_add_co_ci_u32_e64 v27, null, 0, v19, vcc_lo
	v_cmp_eq_u32_e32 vcc_lo, s61, v11
	s_wait_alu 0xfffd
	v_cndmask_b32_e32 v2, v28, v2, vcc_lo
	v_cmp_ne_u32_e32 vcc_lo, 0, v10
	s_delay_alu instid0(VALU_DEP_2)
	v_cmp_ne_u32_e64 s0, 0, v2
	s_wait_alu 0xfffd
	v_cndmask_b32_e32 v2, v12, v25, vcc_lo
	v_cndmask_b32_e32 v10, v27, v26, vcc_lo
	v_xor_b32_e32 v12, s58, v22
	s_wait_alu 0xf1ff
	s_delay_alu instid0(VALU_DEP_3) | instskip(NEXT) | instid1(VALU_DEP_3)
	v_cndmask_b32_e64 v2, v18, v2, s0
	v_cndmask_b32_e64 v10, v19, v10, s0
	s_delay_alu instid0(VALU_DEP_2) | instskip(NEXT) | instid1(VALU_DEP_2)
	v_xor_b32_e32 v2, v2, v12
	v_xor_b32_e32 v10, v10, v12
	s_delay_alu instid0(VALU_DEP_2) | instskip(SKIP_1) | instid1(VALU_DEP_2)
	v_sub_co_u32 v11, vcc_lo, v2, v12
	s_wait_alu 0xfffd
	v_sub_co_ci_u32_e64 v12, null, v10, v12, vcc_lo
.LBB59_33:                              ;   in Loop: Header=BB59_3 Depth=1
	s_wait_alu 0xfffe
	s_or_saveexec_b32 s0, s57
	v_cvt_f32_u32_e32 v30, s34
	s_wait_alu 0xfffe
	s_xor_b32 exec_lo, exec_lo, s0
	s_cbranch_execz .LBB59_35
; %bb.34:                               ;   in Loop: Header=BB59_3 Depth=1
	s_delay_alu instid0(VALU_DEP_1) | instskip(SKIP_1) | instid1(TRANS32_DEP_1)
	v_rcp_iflag_f32_e32 v2, v30
	s_sub_co_i32 s57, 0, s34
	v_mul_f32_e32 v2, 0x4f7ffffe, v2
	s_delay_alu instid0(VALU_DEP_1) | instskip(SKIP_1) | instid1(VALU_DEP_1)
	v_cvt_u32_f32_e32 v2, v2
	s_wait_alu 0xfffe
	v_mul_lo_u32 v10, s57, v2
	s_delay_alu instid0(VALU_DEP_1) | instskip(NEXT) | instid1(VALU_DEP_1)
	v_mul_hi_u32 v10, v2, v10
	v_add_nc_u32_e32 v2, v2, v10
	s_delay_alu instid0(VALU_DEP_1) | instskip(NEXT) | instid1(VALU_DEP_1)
	v_mul_hi_u32 v2, v23, v2
	v_mul_lo_u32 v10, v2, s34
	s_delay_alu instid0(VALU_DEP_1) | instskip(NEXT) | instid1(VALU_DEP_1)
	v_sub_nc_u32_e32 v10, v23, v10
	v_subrev_nc_u32_e32 v12, s34, v10
	v_cmp_le_u32_e32 vcc_lo, s34, v10
	s_wait_alu 0xfffd
	s_delay_alu instid0(VALU_DEP_2) | instskip(NEXT) | instid1(VALU_DEP_1)
	v_dual_cndmask_b32 v10, v10, v12 :: v_dual_add_nc_u32 v11, 1, v2
	v_cndmask_b32_e32 v2, v2, v11, vcc_lo
	v_mov_b32_e32 v12, v1
	s_delay_alu instid0(VALU_DEP_3) | instskip(NEXT) | instid1(VALU_DEP_3)
	v_cmp_le_u32_e32 vcc_lo, s34, v10
	v_add_nc_u32_e32 v11, 1, v2
	s_wait_alu 0xfffd
	s_delay_alu instid0(VALU_DEP_1)
	v_cndmask_b32_e32 v11, v2, v11, vcc_lo
.LBB59_35:                              ;   in Loop: Header=BB59_3 Depth=1
	s_or_b32 exec_lo, exec_lo, s0
	s_wait_loadcnt 0x4
	v_cvt_f32_f16_e32 v27, v15
	v_mul_lo_u32 v2, v12, s34
	v_mul_lo_u32 v10, v11, s35
	v_mad_co_u64_u32 v[25:26], null, v11, s34, 0
	s_wait_loadcnt 0x0
	v_cvt_f32_f16_e32 v31, v16
	v_cvt_f32_f16_e32 v18, v17
	v_sub_f32_e32 v29, 1.0, v27
	v_fma_mix_f32 v19, -v20, v20, s62 op_sel_hi:[1,1,0]
	v_cvt_f32_f16_e32 v9, v9
	v_mul_lo_u32 v34, v12, s8
	v_add3_u32 v2, v26, v10, v2
	v_sub_f32_e32 v28, 1.0, v18
	v_mul_f32_e32 v10, v29, v31
	v_sub_co_u32 v25, vcc_lo, v7, v25
	s_wait_alu 0xfffd
	v_sub_co_ci_u32_e64 v2, null, v8, v2, vcc_lo
	s_delay_alu instid0(VALU_DEP_3) | instskip(NEXT) | instid1(VALU_DEP_3)
	v_mul_f32_e32 v19, v19, v10
	v_add_co_u32 v25, vcc_lo, v3, v25
	s_wait_alu 0xfffd
	s_delay_alu instid0(VALU_DEP_3) | instskip(NEXT) | instid1(VALU_DEP_3)
	v_add_co_ci_u32_e64 v2, null, v4, v2, vcc_lo
	v_mul_f32_e32 v32, v19, v9
	v_mul_lo_u32 v35, v11, s9
	v_lshlrev_b64_e32 v[9:10], 1, v[5:6]
	v_mad_co_u64_u32 v[11:12], null, v11, s8, 0
	v_alignbit_b32 v5, v6, v5, 31
	v_mul_lo_u32 v2, v2, s10
	v_mul_lo_u32 v33, v25, s11
	v_mad_co_u64_u32 v[25:26], null, v25, s10, 0
	s_delay_alu instid0(VALU_DEP_4)
	v_mul_lo_u32 v36, s4, v5
	v_mul_lo_u32 v37, s5, v9
	v_mad_co_u64_u32 v[5:6], null, s4, v9, s[4:5]
	v_add3_u32 v12, v12, v35, v34
	v_mul_f32_e32 v28, v28, v32
	v_add3_u32 v26, v26, v33, v2
	s_mov_b32 s0, exec_lo
	s_delay_alu instid0(VALU_DEP_3) | instskip(SKIP_1) | instid1(VALU_DEP_3)
	v_lshlrev_b64_e32 v[11:12], 1, v[11:12]
	v_add3_u32 v6, v37, v6, v36
	v_lshlrev_b64_e32 v[32:33], 1, v[25:26]
	v_add_co_u32 v25, vcc_lo, v3, v5
	v_fma_mixlo_f16 v28, v28, v17, 0 op_sel_hi:[0,1,0]
	s_wait_alu 0xfffd
	v_add_co_ci_u32_e64 v26, null, v4, v6, vcc_lo
	v_add_co_u32 v11, vcc_lo, s30, v11
	s_wait_alu 0xfffd
	v_add_co_ci_u32_e64 v12, null, s31, v12, vcc_lo
	s_delay_alu instid0(VALU_DEP_3) | instskip(NEXT) | instid1(VALU_DEP_3)
	v_or_b32_e32 v2, s35, v26
	v_add_co_u32 v11, vcc_lo, v11, v32
	s_wait_alu 0xfffd
	s_delay_alu instid0(VALU_DEP_3)
	v_add_co_ci_u32_e64 v12, null, v12, v33, vcc_lo
	v_ashrrev_i32_e32 v17, 31, v26
	global_store_b16 v[11:12], v28, off
                                        ; implicit-def: $vgpr11_vgpr12
	v_cmpx_ne_u64_e32 0, v[1:2]
	s_wait_alu 0xfffe
	s_xor_b32 s57, exec_lo, s0
	s_cbranch_execz .LBB59_37
; %bb.36:                               ;   in Loop: Header=BB59_3 Depth=1
	s_ashr_i32 s58, s35, 31
	v_add_co_u32 v2, vcc_lo, v25, v17
	s_wait_alu 0xfffe
	s_mov_b32 s59, s58
	s_wait_alu 0xfffd
	v_add_co_ci_u32_e64 v11, null, v26, v17, vcc_lo
	s_wait_alu 0xfffe
	s_add_nc_u64 s[60:61], s[34:35], s[58:59]
	v_xor_b32_e32 v2, v2, v17
	s_wait_alu 0xfffe
	s_xor_b64 s[60:61], s[60:61], s[58:59]
	v_xor_b32_e32 v36, v11, v17
	s_wait_alu 0xfffe
	s_cvt_f32_u32 s0, s60
	s_cvt_f32_u32 s59, s61
	s_sub_nc_u64 s[66:67], 0, s[60:61]
	s_wait_alu 0xfffe
	s_delay_alu instid0(SALU_CYCLE_1) | instskip(SKIP_1) | instid1(SALU_CYCLE_2)
	s_fmamk_f32 s0, s59, 0x4f800000, s0
	s_wait_alu 0xfffe
	v_s_rcp_f32 s0, s0
	s_delay_alu instid0(TRANS32_DEP_1) | instskip(SKIP_1) | instid1(SALU_CYCLE_2)
	s_mul_f32 s0, s0, 0x5f7ffffc
	s_wait_alu 0xfffe
	s_mul_f32 s59, s0, 0x2f800000
	s_wait_alu 0xfffe
	s_delay_alu instid0(SALU_CYCLE_2) | instskip(SKIP_1) | instid1(SALU_CYCLE_2)
	s_trunc_f32 s59, s59
	s_wait_alu 0xfffe
	s_fmamk_f32 s0, s59, 0xcf800000, s0
	s_cvt_u32_f32 s65, s59
	s_wait_alu 0xfffe
	s_delay_alu instid0(SALU_CYCLE_1) | instskip(NEXT) | instid1(SALU_CYCLE_3)
	s_cvt_u32_f32 s64, s0
	s_mul_u64 s[68:69], s[66:67], s[64:65]
	s_delay_alu instid0(SALU_CYCLE_1)
	s_mul_hi_u32 s71, s64, s69
	s_mul_i32 s70, s64, s69
	s_mul_hi_u32 s0, s64, s68
	s_mul_i32 s72, s65, s68
	s_wait_alu 0xfffe
	s_add_nc_u64 s[70:71], s[0:1], s[70:71]
	s_mul_hi_u32 s59, s65, s68
	s_mul_hi_u32 s73, s65, s69
	s_add_co_u32 s0, s70, s72
	s_wait_alu 0xfffe
	s_add_co_ci_u32 s0, s71, s59
	s_mul_i32 s68, s65, s69
	s_add_co_ci_u32 s69, s73, 0
	s_wait_alu 0xfffe
	s_add_nc_u64 s[68:69], s[0:1], s[68:69]
	s_delay_alu instid0(SALU_CYCLE_1) | instskip(SKIP_4) | instid1(SALU_CYCLE_1)
	s_add_co_u32 s64, s64, s68
	s_cselect_b32 s0, -1, 0
	s_wait_alu 0xfffe
	s_cmp_lg_u32 s0, 0
	s_add_co_ci_u32 s65, s65, s69
	s_mul_u64 s[66:67], s[66:67], s[64:65]
	s_delay_alu instid0(SALU_CYCLE_1)
	s_mul_hi_u32 s69, s64, s67
	s_mul_i32 s68, s64, s67
	s_mul_hi_u32 s0, s64, s66
	s_mul_i32 s70, s65, s66
	s_wait_alu 0xfffe
	s_add_nc_u64 s[68:69], s[0:1], s[68:69]
	s_mul_hi_u32 s59, s65, s66
	s_mul_hi_u32 s71, s65, s67
	s_add_co_u32 s0, s68, s70
	s_wait_alu 0xfffe
	s_add_co_ci_u32 s0, s69, s59
	s_mul_i32 s66, s65, s67
	s_add_co_ci_u32 s67, s71, 0
	s_wait_alu 0xfffe
	s_add_nc_u64 s[66:67], s[0:1], s[66:67]
	s_delay_alu instid0(SALU_CYCLE_1)
	s_add_co_u32 s0, s64, s66
	s_cselect_b32 s59, -1, 0
	s_wait_alu 0xfffe
	v_mul_hi_u32 v37, v2, s0
	s_cmp_lg_u32 s59, 0
	v_mad_co_u64_u32 v[32:33], null, v36, s0, 0
	s_add_co_ci_u32 s59, s65, s67
	s_wait_alu 0xfffe
	v_mad_co_u64_u32 v[11:12], null, v2, s59, 0
	v_mad_co_u64_u32 v[34:35], null, v36, s59, 0
	s_delay_alu instid0(VALU_DEP_2) | instskip(SKIP_1) | instid1(VALU_DEP_3)
	v_add_co_u32 v11, vcc_lo, v37, v11
	s_wait_alu 0xfffd
	v_add_co_ci_u32_e64 v12, null, 0, v12, vcc_lo
	s_delay_alu instid0(VALU_DEP_2) | instskip(SKIP_1) | instid1(VALU_DEP_2)
	v_add_co_u32 v11, vcc_lo, v11, v32
	s_wait_alu 0xfffd
	v_add_co_ci_u32_e32 v11, vcc_lo, v12, v33, vcc_lo
	s_wait_alu 0xfffd
	v_add_co_ci_u32_e32 v12, vcc_lo, 0, v35, vcc_lo
	s_delay_alu instid0(VALU_DEP_2) | instskip(SKIP_1) | instid1(VALU_DEP_2)
	v_add_co_u32 v32, vcc_lo, v11, v34
	s_wait_alu 0xfffd
	v_add_co_ci_u32_e64 v33, null, 0, v12, vcc_lo
	s_delay_alu instid0(VALU_DEP_2) | instskip(SKIP_1) | instid1(VALU_DEP_3)
	v_mul_lo_u32 v34, s61, v32
	v_mad_co_u64_u32 v[11:12], null, s60, v32, 0
	v_mul_lo_u32 v35, s60, v33
	s_delay_alu instid0(VALU_DEP_2) | instskip(NEXT) | instid1(VALU_DEP_2)
	v_sub_co_u32 v2, vcc_lo, v2, v11
	v_add3_u32 v12, v12, v35, v34
	s_delay_alu instid0(VALU_DEP_1) | instskip(SKIP_2) | instid1(VALU_DEP_2)
	v_sub_nc_u32_e32 v34, v36, v12
	s_wait_alu 0xfffd
	v_sub_co_ci_u32_e64 v12, null, v36, v12, vcc_lo
	v_subrev_co_ci_u32_e64 v11, null, s61, v34, vcc_lo
	v_add_co_u32 v34, s0, v32, 2
	s_wait_alu 0xf1ff
	v_add_co_ci_u32_e64 v35, null, 0, v33, s0
	v_sub_co_u32 v37, s0, v2, s60
	s_wait_alu 0xf1ff
	v_subrev_co_ci_u32_e64 v11, null, 0, v11, s0
	s_delay_alu instid0(VALU_DEP_2) | instskip(SKIP_2) | instid1(VALU_DEP_3)
	v_cmp_le_u32_e32 vcc_lo, s60, v37
	s_wait_alu 0xfffd
	v_cndmask_b32_e64 v36, 0, -1, vcc_lo
	v_cmp_le_u32_e32 vcc_lo, s61, v11
	s_wait_alu 0xfffd
	v_cndmask_b32_e64 v37, 0, -1, vcc_lo
	;; [unrolled: 3-line block ×4, first 2 shown]
	v_cmp_eq_u32_e32 vcc_lo, s61, v11
	s_wait_alu 0xfffd
	v_cndmask_b32_e32 v11, v37, v36, vcc_lo
	v_add_co_u32 v36, vcc_lo, v32, 1
	s_wait_alu 0xfffd
	v_add_co_ci_u32_e64 v37, null, 0, v33, vcc_lo
	v_cmp_eq_u32_e32 vcc_lo, s61, v12
	v_xor_b32_e32 v12, s58, v17
	s_wait_alu 0xfffd
	v_cndmask_b32_e32 v2, v38, v2, vcc_lo
	v_cmp_ne_u32_e32 vcc_lo, 0, v11
	s_delay_alu instid0(VALU_DEP_2) | instskip(SKIP_3) | instid1(VALU_DEP_1)
	v_cmp_ne_u32_e64 s0, 0, v2
	s_wait_alu 0xfffd
	v_dual_cndmask_b32 v11, v37, v35 :: v_dual_cndmask_b32 v2, v36, v34
	s_wait_alu 0xf1ff
	v_cndmask_b32_e64 v11, v33, v11, s0
	s_delay_alu instid0(VALU_DEP_2) | instskip(NEXT) | instid1(VALU_DEP_2)
	v_cndmask_b32_e64 v2, v32, v2, s0
	v_xor_b32_e32 v32, v11, v12
	s_delay_alu instid0(VALU_DEP_2) | instskip(NEXT) | instid1(VALU_DEP_1)
	v_xor_b32_e32 v2, v2, v12
	v_sub_co_u32 v11, vcc_lo, v2, v12
	s_wait_alu 0xfffd
	s_delay_alu instid0(VALU_DEP_3)
	v_sub_co_ci_u32_e64 v12, null, v32, v12, vcc_lo
.LBB59_37:                              ;   in Loop: Header=BB59_3 Depth=1
	s_wait_alu 0xfffe
	s_and_not1_saveexec_b32 s0, s57
	s_cbranch_execz .LBB59_39
; %bb.38:                               ;   in Loop: Header=BB59_3 Depth=1
	v_rcp_iflag_f32_e32 v2, v30
	s_sub_co_i32 s57, 0, s34
	s_delay_alu instid0(TRANS32_DEP_1) | instskip(NEXT) | instid1(VALU_DEP_1)
	v_mul_f32_e32 v2, 0x4f7ffffe, v2
	v_cvt_u32_f32_e32 v2, v2
	s_wait_alu 0xfffe
	s_delay_alu instid0(VALU_DEP_1) | instskip(NEXT) | instid1(VALU_DEP_1)
	v_mul_lo_u32 v11, s57, v2
	v_mul_hi_u32 v11, v2, v11
	s_delay_alu instid0(VALU_DEP_1) | instskip(NEXT) | instid1(VALU_DEP_1)
	v_add_nc_u32_e32 v2, v2, v11
	v_mul_hi_u32 v2, v25, v2
	s_delay_alu instid0(VALU_DEP_1) | instskip(SKIP_1) | instid1(VALU_DEP_2)
	v_mul_lo_u32 v11, v2, s34
	v_add_nc_u32_e32 v12, 1, v2
	v_sub_nc_u32_e32 v11, v25, v11
	s_delay_alu instid0(VALU_DEP_1) | instskip(SKIP_2) | instid1(VALU_DEP_2)
	v_subrev_nc_u32_e32 v32, s34, v11
	v_cmp_le_u32_e32 vcc_lo, s34, v11
	s_wait_alu 0xfffd
	v_cndmask_b32_e32 v11, v11, v32, vcc_lo
	v_cndmask_b32_e32 v2, v2, v12, vcc_lo
	s_delay_alu instid0(VALU_DEP_2) | instskip(NEXT) | instid1(VALU_DEP_2)
	v_cmp_le_u32_e32 vcc_lo, s34, v11
	v_add_nc_u32_e32 v12, 1, v2
	s_wait_alu 0xfffd
	s_delay_alu instid0(VALU_DEP_1)
	v_dual_cndmask_b32 v11, v2, v12 :: v_dual_mov_b32 v12, v1
.LBB59_39:                              ;   in Loop: Header=BB59_3 Depth=1
	s_wait_alu 0xfffe
	s_or_b32 exec_lo, exec_lo, s0
	s_delay_alu instid0(VALU_DEP_1) | instskip(NEXT) | instid1(VALU_DEP_2)
	v_mul_lo_u32 v2, v12, s34
	v_mul_lo_u32 v34, v11, s35
	v_mad_co_u64_u32 v[32:33], null, v11, s34, 0
	v_cvt_f32_f16_e32 v20, v20
	v_cvt_f32_f16_e32 v21, v21
	s_mov_b32 s0, exec_lo
	s_delay_alu instid0(VALU_DEP_1) | instskip(NEXT) | instid1(VALU_DEP_4)
	v_sub_f32_e32 v20, v21, v20
	v_add3_u32 v2, v33, v34, v2
	v_sub_co_u32 v32, vcc_lo, v5, v32
	v_mul_lo_u32 v33, v11, s9
	s_delay_alu instid0(VALU_DEP_4)
	v_mul_f32_e32 v31, v20, v31
	s_wait_alu 0xfffd
	v_sub_co_ci_u32_e64 v2, null, v6, v2, vcc_lo
	v_add_co_u32 v21, vcc_lo, v3, v32
	v_mul_lo_u32 v32, v12, s8
	s_wait_alu 0xfffd
	s_delay_alu instid0(VALU_DEP_3)
	v_add_co_ci_u32_e64 v2, null, v4, v2, vcc_lo
	v_add_co_u32 v9, vcc_lo, v9, 2
	v_mad_co_u64_u32 v[11:12], null, v11, s8, 0
	s_wait_alu 0xfffd
	v_add_co_ci_u32_e64 v10, null, 0, v10, vcc_lo
	v_mul_lo_u32 v34, v21, s11
	v_mul_lo_u32 v2, v2, s10
	v_mad_co_u64_u32 v[20:21], null, v21, s10, 0
	v_mul_lo_u32 v35, s5, v9
	v_mul_lo_u32 v36, s4, v10
	v_mad_co_u64_u32 v[9:10], null, s4, v9, 0
	v_add3_u32 v12, v12, v33, v32
	v_mul_f32_e32 v29, v29, v31
	v_add3_u32 v21, v21, v34, v2
	s_delay_alu instid0(VALU_DEP_3) | instskip(SKIP_1) | instid1(VALU_DEP_3)
	v_lshlrev_b64_e32 v[11:12], 1, v[11:12]
	v_add3_u32 v10, v10, v36, v35
	v_lshlrev_b64_e32 v[31:32], 1, v[20:21]
	v_add_co_u32 v21, vcc_lo, v3, v9
	v_fma_mixlo_f16 v29, v29, v27, 0
	s_wait_alu 0xfffd
	v_add_co_ci_u32_e64 v27, null, v4, v10, vcc_lo
	v_add_co_u32 v11, vcc_lo, s30, v11
	s_wait_alu 0xfffd
	v_add_co_ci_u32_e64 v12, null, s31, v12, vcc_lo
	s_delay_alu instid0(VALU_DEP_3) | instskip(NEXT) | instid1(VALU_DEP_3)
	v_or_b32_e32 v2, s35, v27
	v_add_co_u32 v11, vcc_lo, v11, v31
	s_wait_alu 0xfffd
	s_delay_alu instid0(VALU_DEP_3)
	v_add_co_ci_u32_e64 v12, null, v12, v32, vcc_lo
	v_ashrrev_i32_e32 v20, 31, v27
	global_store_b16 v[11:12], v29, off
                                        ; implicit-def: $vgpr11_vgpr12
	v_cmpx_ne_u64_e32 0, v[1:2]
	s_wait_alu 0xfffe
	s_xor_b32 s57, exec_lo, s0
	s_cbranch_execz .LBB59_41
; %bb.40:                               ;   in Loop: Header=BB59_3 Depth=1
	s_ashr_i32 s58, s35, 31
	v_add_co_u32 v2, vcc_lo, v21, v20
	s_wait_alu 0xfffe
	s_mov_b32 s59, s58
	s_wait_alu 0xfffd
	v_add_co_ci_u32_e64 v11, null, v27, v20, vcc_lo
	s_wait_alu 0xfffe
	s_add_nc_u64 s[60:61], s[34:35], s[58:59]
	v_xor_b32_e32 v2, v2, v20
	s_wait_alu 0xfffe
	s_xor_b64 s[60:61], s[60:61], s[58:59]
	v_xor_b32_e32 v34, v11, v20
	s_wait_alu 0xfffe
	s_cvt_f32_u32 s0, s60
	s_cvt_f32_u32 s59, s61
	s_sub_nc_u64 s[66:67], 0, s[60:61]
	s_wait_alu 0xfffe
	s_delay_alu instid0(SALU_CYCLE_1) | instskip(SKIP_1) | instid1(SALU_CYCLE_2)
	s_fmamk_f32 s0, s59, 0x4f800000, s0
	s_wait_alu 0xfffe
	v_s_rcp_f32 s0, s0
	s_delay_alu instid0(TRANS32_DEP_1) | instskip(SKIP_1) | instid1(SALU_CYCLE_2)
	s_mul_f32 s0, s0, 0x5f7ffffc
	s_wait_alu 0xfffe
	s_mul_f32 s59, s0, 0x2f800000
	s_wait_alu 0xfffe
	s_delay_alu instid0(SALU_CYCLE_2) | instskip(SKIP_1) | instid1(SALU_CYCLE_2)
	s_trunc_f32 s59, s59
	s_wait_alu 0xfffe
	s_fmamk_f32 s0, s59, 0xcf800000, s0
	s_cvt_u32_f32 s65, s59
	s_wait_alu 0xfffe
	s_delay_alu instid0(SALU_CYCLE_1) | instskip(NEXT) | instid1(SALU_CYCLE_3)
	s_cvt_u32_f32 s64, s0
	s_mul_u64 s[68:69], s[66:67], s[64:65]
	s_delay_alu instid0(SALU_CYCLE_1)
	s_mul_hi_u32 s71, s64, s69
	s_mul_i32 s70, s64, s69
	s_mul_hi_u32 s0, s64, s68
	s_mul_i32 s72, s65, s68
	s_wait_alu 0xfffe
	s_add_nc_u64 s[70:71], s[0:1], s[70:71]
	s_mul_hi_u32 s59, s65, s68
	s_mul_hi_u32 s73, s65, s69
	s_add_co_u32 s0, s70, s72
	s_wait_alu 0xfffe
	s_add_co_ci_u32 s0, s71, s59
	s_mul_i32 s68, s65, s69
	s_add_co_ci_u32 s69, s73, 0
	s_wait_alu 0xfffe
	s_add_nc_u64 s[68:69], s[0:1], s[68:69]
	s_delay_alu instid0(SALU_CYCLE_1) | instskip(SKIP_4) | instid1(SALU_CYCLE_1)
	s_add_co_u32 s64, s64, s68
	s_cselect_b32 s0, -1, 0
	s_wait_alu 0xfffe
	s_cmp_lg_u32 s0, 0
	s_add_co_ci_u32 s65, s65, s69
	s_mul_u64 s[66:67], s[66:67], s[64:65]
	s_delay_alu instid0(SALU_CYCLE_1)
	s_mul_hi_u32 s69, s64, s67
	s_mul_i32 s68, s64, s67
	s_mul_hi_u32 s0, s64, s66
	s_mul_i32 s70, s65, s66
	s_wait_alu 0xfffe
	s_add_nc_u64 s[68:69], s[0:1], s[68:69]
	s_mul_hi_u32 s59, s65, s66
	s_mul_hi_u32 s71, s65, s67
	s_add_co_u32 s0, s68, s70
	s_wait_alu 0xfffe
	s_add_co_ci_u32 s0, s69, s59
	s_mul_i32 s66, s65, s67
	s_add_co_ci_u32 s67, s71, 0
	s_wait_alu 0xfffe
	s_add_nc_u64 s[66:67], s[0:1], s[66:67]
	s_delay_alu instid0(SALU_CYCLE_1)
	s_add_co_u32 s0, s64, s66
	s_cselect_b32 s59, -1, 0
	s_wait_alu 0xfffe
	v_mul_hi_u32 v35, v2, s0
	s_cmp_lg_u32 s59, 0
	v_mad_co_u64_u32 v[30:31], null, v34, s0, 0
	s_add_co_ci_u32 s59, s65, s67
	s_wait_alu 0xfffe
	v_mad_co_u64_u32 v[11:12], null, v2, s59, 0
	v_mad_co_u64_u32 v[32:33], null, v34, s59, 0
	s_delay_alu instid0(VALU_DEP_2) | instskip(SKIP_1) | instid1(VALU_DEP_3)
	v_add_co_u32 v11, vcc_lo, v35, v11
	s_wait_alu 0xfffd
	v_add_co_ci_u32_e64 v12, null, 0, v12, vcc_lo
	s_delay_alu instid0(VALU_DEP_2) | instskip(SKIP_1) | instid1(VALU_DEP_2)
	v_add_co_u32 v11, vcc_lo, v11, v30
	s_wait_alu 0xfffd
	v_add_co_ci_u32_e32 v11, vcc_lo, v12, v31, vcc_lo
	s_wait_alu 0xfffd
	v_add_co_ci_u32_e32 v12, vcc_lo, 0, v33, vcc_lo
	s_delay_alu instid0(VALU_DEP_2) | instskip(SKIP_1) | instid1(VALU_DEP_2)
	v_add_co_u32 v30, vcc_lo, v11, v32
	s_wait_alu 0xfffd
	v_add_co_ci_u32_e64 v31, null, 0, v12, vcc_lo
	s_delay_alu instid0(VALU_DEP_2) | instskip(SKIP_1) | instid1(VALU_DEP_3)
	v_mul_lo_u32 v32, s61, v30
	v_mad_co_u64_u32 v[11:12], null, s60, v30, 0
	v_mul_lo_u32 v33, s60, v31
	s_delay_alu instid0(VALU_DEP_2) | instskip(NEXT) | instid1(VALU_DEP_2)
	v_sub_co_u32 v2, vcc_lo, v2, v11
	v_add3_u32 v12, v12, v33, v32
	s_delay_alu instid0(VALU_DEP_1) | instskip(SKIP_2) | instid1(VALU_DEP_2)
	v_sub_nc_u32_e32 v32, v34, v12
	s_wait_alu 0xfffd
	v_sub_co_ci_u32_e64 v12, null, v34, v12, vcc_lo
	v_subrev_co_ci_u32_e64 v11, null, s61, v32, vcc_lo
	v_add_co_u32 v32, s0, v30, 2
	s_wait_alu 0xf1ff
	v_add_co_ci_u32_e64 v33, null, 0, v31, s0
	v_sub_co_u32 v35, s0, v2, s60
	s_wait_alu 0xf1ff
	v_subrev_co_ci_u32_e64 v11, null, 0, v11, s0
	s_delay_alu instid0(VALU_DEP_2) | instskip(SKIP_2) | instid1(VALU_DEP_3)
	v_cmp_le_u32_e32 vcc_lo, s60, v35
	s_wait_alu 0xfffd
	v_cndmask_b32_e64 v34, 0, -1, vcc_lo
	v_cmp_le_u32_e32 vcc_lo, s61, v11
	s_wait_alu 0xfffd
	v_cndmask_b32_e64 v35, 0, -1, vcc_lo
	;; [unrolled: 3-line block ×4, first 2 shown]
	v_cmp_eq_u32_e32 vcc_lo, s61, v11
	s_wait_alu 0xfffd
	v_cndmask_b32_e32 v11, v35, v34, vcc_lo
	v_add_co_u32 v34, vcc_lo, v30, 1
	s_wait_alu 0xfffd
	v_add_co_ci_u32_e64 v35, null, 0, v31, vcc_lo
	v_cmp_eq_u32_e32 vcc_lo, s61, v12
	v_xor_b32_e32 v12, s58, v20
	s_wait_alu 0xfffd
	v_cndmask_b32_e32 v2, v36, v2, vcc_lo
	v_cmp_ne_u32_e32 vcc_lo, 0, v11
	s_wait_alu 0xfffd
	v_cndmask_b32_e32 v11, v35, v33, vcc_lo
	s_delay_alu instid0(VALU_DEP_3) | instskip(SKIP_2) | instid1(VALU_DEP_2)
	v_cmp_ne_u32_e64 s0, 0, v2
	v_cndmask_b32_e32 v2, v34, v32, vcc_lo
	s_wait_alu 0xf1ff
	v_cndmask_b32_e64 v11, v31, v11, s0
	s_delay_alu instid0(VALU_DEP_2) | instskip(NEXT) | instid1(VALU_DEP_2)
	v_cndmask_b32_e64 v2, v30, v2, s0
	v_xor_b32_e32 v30, v11, v12
	s_delay_alu instid0(VALU_DEP_2) | instskip(NEXT) | instid1(VALU_DEP_1)
	v_xor_b32_e32 v2, v2, v12
	v_sub_co_u32 v11, vcc_lo, v2, v12
	s_wait_alu 0xfffd
	s_delay_alu instid0(VALU_DEP_3)
	v_sub_co_ci_u32_e64 v12, null, v30, v12, vcc_lo
                                        ; implicit-def: $vgpr30
.LBB59_41:                              ;   in Loop: Header=BB59_3 Depth=1
	s_wait_alu 0xfffe
	s_and_not1_saveexec_b32 s0, s57
	s_cbranch_execz .LBB59_43
; %bb.42:                               ;   in Loop: Header=BB59_3 Depth=1
	v_rcp_iflag_f32_e32 v2, v30
	s_sub_co_i32 s57, 0, s34
	s_delay_alu instid0(TRANS32_DEP_1) | instskip(NEXT) | instid1(VALU_DEP_1)
	v_mul_f32_e32 v2, 0x4f7ffffe, v2
	v_cvt_u32_f32_e32 v2, v2
	s_wait_alu 0xfffe
	s_delay_alu instid0(VALU_DEP_1) | instskip(NEXT) | instid1(VALU_DEP_1)
	v_mul_lo_u32 v11, s57, v2
	v_mul_hi_u32 v11, v2, v11
	s_delay_alu instid0(VALU_DEP_1) | instskip(NEXT) | instid1(VALU_DEP_1)
	v_add_nc_u32_e32 v2, v2, v11
	v_mul_hi_u32 v2, v21, v2
	s_delay_alu instid0(VALU_DEP_1) | instskip(SKIP_1) | instid1(VALU_DEP_2)
	v_mul_lo_u32 v11, v2, s34
	v_add_nc_u32_e32 v12, 1, v2
	v_sub_nc_u32_e32 v11, v21, v11
	s_delay_alu instid0(VALU_DEP_1) | instskip(SKIP_2) | instid1(VALU_DEP_2)
	v_subrev_nc_u32_e32 v30, s34, v11
	v_cmp_le_u32_e32 vcc_lo, s34, v11
	s_wait_alu 0xfffd
	v_dual_cndmask_b32 v11, v11, v30 :: v_dual_cndmask_b32 v2, v2, v12
	s_delay_alu instid0(VALU_DEP_1) | instskip(NEXT) | instid1(VALU_DEP_2)
	v_cmp_le_u32_e32 vcc_lo, s34, v11
	v_add_nc_u32_e32 v12, 1, v2
	s_wait_alu 0xfffd
	s_delay_alu instid0(VALU_DEP_1)
	v_dual_cndmask_b32 v11, v2, v12 :: v_dual_mov_b32 v12, v1
.LBB59_43:                              ;   in Loop: Header=BB59_3 Depth=1
	s_wait_alu 0xfffe
	s_or_b32 exec_lo, exec_lo, s0
	s_delay_alu instid0(VALU_DEP_1) | instskip(NEXT) | instid1(VALU_DEP_2)
	v_mul_lo_u32 v2, v12, s34
	v_mul_lo_u32 v32, v11, s35
	v_mad_co_u64_u32 v[30:31], null, v11, s34, 0
	v_mul_lo_u32 v33, v11, s9
	s_mov_b32 s0, exec_lo
	s_delay_alu instid0(VALU_DEP_2) | instskip(SKIP_1) | instid1(VALU_DEP_4)
	v_add3_u32 v2, v31, v32, v2
	v_mul_lo_u32 v32, v12, s8
	v_sub_co_u32 v12, vcc_lo, v9, v30
	s_wait_alu 0xfffd
	s_delay_alu instid0(VALU_DEP_3) | instskip(NEXT) | instid1(VALU_DEP_2)
	v_sub_co_ci_u32_e64 v2, null, v10, v2, vcc_lo
	v_add_co_u32 v30, vcc_lo, v3, v12
	v_mad_co_u64_u32 v[11:12], null, v11, s8, 0
	s_wait_alu 0xfffd
	s_delay_alu instid0(VALU_DEP_3) | instskip(NEXT) | instid1(VALU_DEP_3)
	v_add_co_ci_u32_e64 v2, null, v4, v2, vcc_lo
	v_mul_lo_u32 v34, v30, s11
	v_mad_co_u64_u32 v[30:31], null, v30, s10, 0
	s_delay_alu instid0(VALU_DEP_3) | instskip(SKIP_2) | instid1(VALU_DEP_2)
	v_mul_lo_u32 v2, v2, s10
	v_add3_u32 v12, v12, v33, v32
	v_cvt_f16_f32_e32 v32, v19
	v_lshlrev_b64_e32 v[11:12], 1, v[11:12]
	s_delay_alu instid0(VALU_DEP_4) | instskip(SKIP_1) | instid1(VALU_DEP_3)
	v_add3_u32 v31, v31, v34, v2
	v_or_b32_e32 v2, s39, v24
	v_add_co_u32 v11, vcc_lo, s30, v11
	s_delay_alu instid0(VALU_DEP_3) | instskip(SKIP_2) | instid1(VALU_DEP_2)
	v_lshlrev_b64_e32 v[30:31], 1, v[30:31]
	s_wait_alu 0xfffd
	v_add_co_ci_u32_e64 v12, null, s31, v12, vcc_lo
	v_add_co_u32 v11, vcc_lo, v11, v30
	s_wait_alu 0xfffd
	s_delay_alu instid0(VALU_DEP_2)
	v_add_co_ci_u32_e64 v12, null, v12, v31, vcc_lo
	global_store_b16 v[11:12], v32, off
                                        ; implicit-def: $vgpr11_vgpr12
	v_cmpx_ne_u64_e32 0, v[1:2]
	s_wait_alu 0xfffe
	s_xor_b32 s57, exec_lo, s0
	s_cbranch_execz .LBB59_45
; %bb.44:                               ;   in Loop: Header=BB59_3 Depth=1
	s_ashr_i32 s58, s39, 31
	v_add_co_u32 v2, vcc_lo, v23, v22
	s_wait_alu 0xfffe
	s_mov_b32 s59, s58
	s_wait_alu 0xfffd
	v_add_co_ci_u32_e64 v11, null, v24, v22, vcc_lo
	s_wait_alu 0xfffe
	s_add_nc_u64 s[60:61], s[38:39], s[58:59]
	v_xor_b32_e32 v2, v2, v22
	s_wait_alu 0xfffe
	s_xor_b64 s[60:61], s[60:61], s[58:59]
	v_xor_b32_e32 v32, v11, v22
	s_wait_alu 0xfffe
	s_cvt_f32_u32 s0, s60
	s_cvt_f32_u32 s59, s61
	s_sub_nc_u64 s[66:67], 0, s[60:61]
	s_wait_alu 0xfffe
	s_delay_alu instid0(SALU_CYCLE_1) | instskip(SKIP_1) | instid1(SALU_CYCLE_2)
	s_fmamk_f32 s0, s59, 0x4f800000, s0
	s_wait_alu 0xfffe
	v_s_rcp_f32 s0, s0
	s_delay_alu instid0(TRANS32_DEP_1) | instskip(SKIP_1) | instid1(SALU_CYCLE_2)
	s_mul_f32 s0, s0, 0x5f7ffffc
	s_wait_alu 0xfffe
	s_mul_f32 s59, s0, 0x2f800000
	s_wait_alu 0xfffe
	s_delay_alu instid0(SALU_CYCLE_2) | instskip(SKIP_1) | instid1(SALU_CYCLE_2)
	s_trunc_f32 s59, s59
	s_wait_alu 0xfffe
	s_fmamk_f32 s0, s59, 0xcf800000, s0
	s_cvt_u32_f32 s65, s59
	s_wait_alu 0xfffe
	s_delay_alu instid0(SALU_CYCLE_1) | instskip(NEXT) | instid1(SALU_CYCLE_3)
	s_cvt_u32_f32 s64, s0
	s_mul_u64 s[68:69], s[66:67], s[64:65]
	s_delay_alu instid0(SALU_CYCLE_1)
	s_mul_hi_u32 s71, s64, s69
	s_mul_i32 s70, s64, s69
	s_mul_hi_u32 s0, s64, s68
	s_mul_i32 s72, s65, s68
	s_wait_alu 0xfffe
	s_add_nc_u64 s[70:71], s[0:1], s[70:71]
	s_mul_hi_u32 s59, s65, s68
	s_mul_hi_u32 s73, s65, s69
	s_add_co_u32 s0, s70, s72
	s_wait_alu 0xfffe
	s_add_co_ci_u32 s0, s71, s59
	s_mul_i32 s68, s65, s69
	s_add_co_ci_u32 s69, s73, 0
	s_wait_alu 0xfffe
	s_add_nc_u64 s[68:69], s[0:1], s[68:69]
	s_delay_alu instid0(SALU_CYCLE_1) | instskip(SKIP_4) | instid1(SALU_CYCLE_1)
	s_add_co_u32 s64, s64, s68
	s_cselect_b32 s0, -1, 0
	s_wait_alu 0xfffe
	s_cmp_lg_u32 s0, 0
	s_add_co_ci_u32 s65, s65, s69
	s_mul_u64 s[66:67], s[66:67], s[64:65]
	s_delay_alu instid0(SALU_CYCLE_1)
	s_mul_hi_u32 s69, s64, s67
	s_mul_i32 s68, s64, s67
	s_mul_hi_u32 s0, s64, s66
	s_mul_i32 s70, s65, s66
	s_wait_alu 0xfffe
	s_add_nc_u64 s[68:69], s[0:1], s[68:69]
	s_mul_hi_u32 s59, s65, s66
	s_mul_hi_u32 s71, s65, s67
	s_add_co_u32 s0, s68, s70
	s_wait_alu 0xfffe
	s_add_co_ci_u32 s0, s69, s59
	s_mul_i32 s66, s65, s67
	s_add_co_ci_u32 s67, s71, 0
	s_wait_alu 0xfffe
	s_add_nc_u64 s[66:67], s[0:1], s[66:67]
	s_delay_alu instid0(SALU_CYCLE_1)
	s_add_co_u32 s0, s64, s66
	s_cselect_b32 s59, -1, 0
	s_wait_alu 0xfffe
	v_mul_hi_u32 v33, v2, s0
	s_cmp_lg_u32 s59, 0
	v_mad_co_u64_u32 v[23:24], null, v32, s0, 0
	s_add_co_ci_u32 s59, s65, s67
	s_wait_alu 0xfffe
	v_mad_co_u64_u32 v[11:12], null, v2, s59, 0
	v_mad_co_u64_u32 v[30:31], null, v32, s59, 0
	s_delay_alu instid0(VALU_DEP_2) | instskip(SKIP_1) | instid1(VALU_DEP_3)
	v_add_co_u32 v11, vcc_lo, v33, v11
	s_wait_alu 0xfffd
	v_add_co_ci_u32_e64 v12, null, 0, v12, vcc_lo
	s_delay_alu instid0(VALU_DEP_2) | instskip(SKIP_1) | instid1(VALU_DEP_2)
	v_add_co_u32 v11, vcc_lo, v11, v23
	s_wait_alu 0xfffd
	v_add_co_ci_u32_e32 v11, vcc_lo, v12, v24, vcc_lo
	s_wait_alu 0xfffd
	v_add_co_ci_u32_e32 v12, vcc_lo, 0, v31, vcc_lo
	s_delay_alu instid0(VALU_DEP_2) | instskip(SKIP_1) | instid1(VALU_DEP_2)
	v_add_co_u32 v23, vcc_lo, v11, v30
	s_wait_alu 0xfffd
	v_add_co_ci_u32_e64 v24, null, 0, v12, vcc_lo
	s_delay_alu instid0(VALU_DEP_2) | instskip(SKIP_1) | instid1(VALU_DEP_3)
	v_mul_lo_u32 v30, s61, v23
	v_mad_co_u64_u32 v[11:12], null, s60, v23, 0
	v_mul_lo_u32 v31, s60, v24
	s_delay_alu instid0(VALU_DEP_2) | instskip(NEXT) | instid1(VALU_DEP_2)
	v_sub_co_u32 v2, vcc_lo, v2, v11
	v_add3_u32 v12, v12, v31, v30
	s_delay_alu instid0(VALU_DEP_1) | instskip(SKIP_2) | instid1(VALU_DEP_2)
	v_sub_nc_u32_e32 v30, v32, v12
	s_wait_alu 0xfffd
	v_sub_co_ci_u32_e64 v12, null, v32, v12, vcc_lo
	v_subrev_co_ci_u32_e64 v11, null, s61, v30, vcc_lo
	v_add_co_u32 v30, s0, v23, 2
	s_wait_alu 0xf1ff
	v_add_co_ci_u32_e64 v31, null, 0, v24, s0
	v_sub_co_u32 v33, s0, v2, s60
	s_wait_alu 0xf1ff
	v_subrev_co_ci_u32_e64 v11, null, 0, v11, s0
	s_delay_alu instid0(VALU_DEP_2) | instskip(SKIP_2) | instid1(VALU_DEP_3)
	v_cmp_le_u32_e32 vcc_lo, s60, v33
	s_wait_alu 0xfffd
	v_cndmask_b32_e64 v32, 0, -1, vcc_lo
	v_cmp_le_u32_e32 vcc_lo, s61, v11
	s_wait_alu 0xfffd
	v_cndmask_b32_e64 v33, 0, -1, vcc_lo
	v_cmp_le_u32_e32 vcc_lo, s60, v2
	s_wait_alu 0xfffd
	v_cndmask_b32_e64 v2, 0, -1, vcc_lo
	v_cmp_le_u32_e32 vcc_lo, s61, v12
	s_wait_alu 0xfffd
	v_cndmask_b32_e64 v34, 0, -1, vcc_lo
	v_cmp_eq_u32_e32 vcc_lo, s61, v11
	s_wait_alu 0xfffd
	v_cndmask_b32_e32 v11, v33, v32, vcc_lo
	v_add_co_u32 v32, vcc_lo, v23, 1
	s_wait_alu 0xfffd
	v_add_co_ci_u32_e64 v33, null, 0, v24, vcc_lo
	v_cmp_eq_u32_e32 vcc_lo, s61, v12
	v_xor_b32_e32 v12, s58, v22
	s_wait_alu 0xfffd
	v_cndmask_b32_e32 v2, v34, v2, vcc_lo
	v_cmp_ne_u32_e32 vcc_lo, 0, v11
	s_delay_alu instid0(VALU_DEP_2) | instskip(SKIP_3) | instid1(VALU_DEP_1)
	v_cmp_ne_u32_e64 s0, 0, v2
	s_wait_alu 0xfffd
	v_dual_cndmask_b32 v11, v33, v31 :: v_dual_cndmask_b32 v2, v32, v30
	s_wait_alu 0xf1ff
	v_cndmask_b32_e64 v11, v24, v11, s0
	s_delay_alu instid0(VALU_DEP_2) | instskip(NEXT) | instid1(VALU_DEP_2)
	v_cndmask_b32_e64 v2, v23, v2, s0
                                        ; implicit-def: $vgpr23
	v_xor_b32_e32 v22, v11, v12
	s_delay_alu instid0(VALU_DEP_2) | instskip(NEXT) | instid1(VALU_DEP_1)
	v_xor_b32_e32 v2, v2, v12
	v_sub_co_u32 v11, vcc_lo, v2, v12
	s_wait_alu 0xfffd
	s_delay_alu instid0(VALU_DEP_3)
	v_sub_co_ci_u32_e64 v12, null, v22, v12, vcc_lo
.LBB59_45:                              ;   in Loop: Header=BB59_3 Depth=1
	s_wait_alu 0xfffe
	s_or_saveexec_b32 s0, s57
	v_cvt_f32_u32_e32 v22, s38
	s_wait_alu 0xfffe
	s_xor_b32 exec_lo, exec_lo, s0
	s_cbranch_execz .LBB59_47
; %bb.46:                               ;   in Loop: Header=BB59_3 Depth=1
	s_delay_alu instid0(VALU_DEP_1) | instskip(SKIP_1) | instid1(TRANS32_DEP_1)
	v_rcp_iflag_f32_e32 v2, v22
	s_sub_co_i32 s57, 0, s38
	v_mul_f32_e32 v2, 0x4f7ffffe, v2
	s_delay_alu instid0(VALU_DEP_1) | instskip(SKIP_1) | instid1(VALU_DEP_1)
	v_cvt_u32_f32_e32 v2, v2
	s_wait_alu 0xfffe
	v_mul_lo_u32 v11, s57, v2
	s_delay_alu instid0(VALU_DEP_1) | instskip(NEXT) | instid1(VALU_DEP_1)
	v_mul_hi_u32 v11, v2, v11
	v_add_nc_u32_e32 v2, v2, v11
	s_delay_alu instid0(VALU_DEP_1) | instskip(NEXT) | instid1(VALU_DEP_1)
	v_mul_hi_u32 v2, v23, v2
	v_mul_lo_u32 v11, v2, s38
	v_add_nc_u32_e32 v12, 1, v2
	s_delay_alu instid0(VALU_DEP_2) | instskip(NEXT) | instid1(VALU_DEP_1)
	v_sub_nc_u32_e32 v11, v23, v11
	v_subrev_nc_u32_e32 v23, s38, v11
	v_cmp_le_u32_e32 vcc_lo, s38, v11
	s_wait_alu 0xfffd
	s_delay_alu instid0(VALU_DEP_2) | instskip(NEXT) | instid1(VALU_DEP_1)
	v_dual_cndmask_b32 v11, v11, v23 :: v_dual_cndmask_b32 v2, v2, v12
	v_cmp_le_u32_e32 vcc_lo, s38, v11
	s_delay_alu instid0(VALU_DEP_2) | instskip(SKIP_1) | instid1(VALU_DEP_1)
	v_add_nc_u32_e32 v12, 1, v2
	s_wait_alu 0xfffd
	v_dual_cndmask_b32 v11, v2, v12 :: v_dual_mov_b32 v12, v1
.LBB59_47:                              ;   in Loop: Header=BB59_3 Depth=1
	s_or_b32 exec_lo, exec_lo, s0
	s_delay_alu instid0(VALU_DEP_1) | instskip(NEXT) | instid1(VALU_DEP_2)
	v_mul_lo_u32 v2, v12, s38
	v_mul_lo_u32 v30, v11, s39
	v_mad_co_u64_u32 v[23:24], null, v11, s38, 0
	s_mov_b32 s0, exec_lo
	v_add3_u32 v2, v24, v30, v2
	v_sub_co_u32 v7, vcc_lo, v7, v23
	v_mul_lo_u32 v24, v12, s12
	v_mul_lo_u32 v23, v11, s13
	s_wait_alu 0xfffd
	v_sub_co_ci_u32_e64 v2, null, v8, v2, vcc_lo
	v_add_co_u32 v12, vcc_lo, v3, v7
	v_mad_co_u64_u32 v[7:8], null, v11, s12, 0
	s_wait_alu 0xfffd
	s_delay_alu instid0(VALU_DEP_3) | instskip(NEXT) | instid1(VALU_DEP_3)
	v_add_co_ci_u32_e64 v2, null, v4, v2, vcc_lo
	v_mul_lo_u32 v30, v12, s15
	v_mad_co_u64_u32 v[11:12], null, v12, s14, 0
	s_delay_alu instid0(VALU_DEP_3) | instskip(SKIP_1) | instid1(VALU_DEP_1)
	v_mul_lo_u32 v2, v2, s14
	v_add3_u32 v8, v8, v23, v24
	v_lshlrev_b64_e32 v[7:8], 1, v[7:8]
	s_delay_alu instid0(VALU_DEP_3) | instskip(SKIP_1) | instid1(VALU_DEP_3)
	v_add3_u32 v12, v12, v30, v2
	v_or_b32_e32 v2, s39, v26
	v_add_co_u32 v7, vcc_lo, s36, v7
	s_delay_alu instid0(VALU_DEP_3) | instskip(SKIP_2) | instid1(VALU_DEP_2)
	v_lshlrev_b64_e32 v[11:12], 1, v[11:12]
	s_wait_alu 0xfffd
	v_add_co_ci_u32_e64 v8, null, s37, v8, vcc_lo
	v_add_co_u32 v7, vcc_lo, v7, v11
	s_wait_alu 0xfffd
	s_delay_alu instid0(VALU_DEP_2)
	v_add_co_ci_u32_e64 v8, null, v8, v12, vcc_lo
	global_store_b16 v[7:8], v28, off
                                        ; implicit-def: $vgpr7_vgpr8
	v_cmpx_ne_u64_e32 0, v[1:2]
	s_wait_alu 0xfffe
	s_xor_b32 s57, exec_lo, s0
	s_cbranch_execz .LBB59_49
; %bb.48:                               ;   in Loop: Header=BB59_3 Depth=1
	s_ashr_i32 s58, s39, 31
	v_add_co_u32 v2, vcc_lo, v25, v17
	s_wait_alu 0xfffe
	s_mov_b32 s59, s58
	s_wait_alu 0xfffd
	v_add_co_ci_u32_e64 v7, null, v26, v17, vcc_lo
	s_wait_alu 0xfffe
	s_add_nc_u64 s[60:61], s[38:39], s[58:59]
	v_xor_b32_e32 v2, v2, v17
	s_wait_alu 0xfffe
	s_xor_b64 s[60:61], s[60:61], s[58:59]
	v_xor_b32_e32 v25, v7, v17
	s_wait_alu 0xfffe
	s_cvt_f32_u32 s0, s60
	s_cvt_f32_u32 s59, s61
	s_sub_nc_u64 s[66:67], 0, s[60:61]
	s_wait_alu 0xfffe
	s_delay_alu instid0(SALU_CYCLE_1) | instskip(SKIP_1) | instid1(SALU_CYCLE_2)
	s_fmamk_f32 s0, s59, 0x4f800000, s0
	s_wait_alu 0xfffe
	v_s_rcp_f32 s0, s0
	s_delay_alu instid0(TRANS32_DEP_1) | instskip(SKIP_1) | instid1(SALU_CYCLE_2)
	s_mul_f32 s0, s0, 0x5f7ffffc
	s_wait_alu 0xfffe
	s_mul_f32 s59, s0, 0x2f800000
	s_wait_alu 0xfffe
	s_delay_alu instid0(SALU_CYCLE_2) | instskip(SKIP_1) | instid1(SALU_CYCLE_2)
	s_trunc_f32 s59, s59
	s_wait_alu 0xfffe
	s_fmamk_f32 s0, s59, 0xcf800000, s0
	s_cvt_u32_f32 s65, s59
	s_wait_alu 0xfffe
	s_delay_alu instid0(SALU_CYCLE_1) | instskip(NEXT) | instid1(SALU_CYCLE_3)
	s_cvt_u32_f32 s64, s0
	s_mul_u64 s[68:69], s[66:67], s[64:65]
	s_delay_alu instid0(SALU_CYCLE_1)
	s_mul_hi_u32 s71, s64, s69
	s_mul_i32 s70, s64, s69
	s_mul_hi_u32 s0, s64, s68
	s_mul_i32 s72, s65, s68
	s_wait_alu 0xfffe
	s_add_nc_u64 s[70:71], s[0:1], s[70:71]
	s_mul_hi_u32 s59, s65, s68
	s_mul_hi_u32 s73, s65, s69
	s_add_co_u32 s0, s70, s72
	s_wait_alu 0xfffe
	s_add_co_ci_u32 s0, s71, s59
	s_mul_i32 s68, s65, s69
	s_add_co_ci_u32 s69, s73, 0
	s_wait_alu 0xfffe
	s_add_nc_u64 s[68:69], s[0:1], s[68:69]
	s_delay_alu instid0(SALU_CYCLE_1) | instskip(SKIP_4) | instid1(SALU_CYCLE_1)
	s_add_co_u32 s64, s64, s68
	s_cselect_b32 s0, -1, 0
	s_wait_alu 0xfffe
	s_cmp_lg_u32 s0, 0
	s_add_co_ci_u32 s65, s65, s69
	s_mul_u64 s[66:67], s[66:67], s[64:65]
	s_delay_alu instid0(SALU_CYCLE_1)
	s_mul_hi_u32 s69, s64, s67
	s_mul_i32 s68, s64, s67
	s_mul_hi_u32 s0, s64, s66
	s_mul_i32 s70, s65, s66
	s_wait_alu 0xfffe
	s_add_nc_u64 s[68:69], s[0:1], s[68:69]
	s_mul_hi_u32 s59, s65, s66
	s_mul_hi_u32 s71, s65, s67
	s_add_co_u32 s0, s68, s70
	s_wait_alu 0xfffe
	s_add_co_ci_u32 s0, s69, s59
	s_mul_i32 s66, s65, s67
	s_add_co_ci_u32 s67, s71, 0
	s_wait_alu 0xfffe
	s_add_nc_u64 s[66:67], s[0:1], s[66:67]
	s_delay_alu instid0(SALU_CYCLE_1)
	s_add_co_u32 s0, s64, s66
	s_cselect_b32 s59, -1, 0
	s_wait_alu 0xfffe
	v_mul_hi_u32 v26, v2, s0
	s_cmp_lg_u32 s59, 0
	v_mad_co_u64_u32 v[11:12], null, v25, s0, 0
	s_add_co_ci_u32 s59, s65, s67
	s_wait_alu 0xfffe
	v_mad_co_u64_u32 v[7:8], null, v2, s59, 0
	v_mad_co_u64_u32 v[23:24], null, v25, s59, 0
	s_delay_alu instid0(VALU_DEP_2) | instskip(SKIP_1) | instid1(VALU_DEP_3)
	v_add_co_u32 v7, vcc_lo, v26, v7
	s_wait_alu 0xfffd
	v_add_co_ci_u32_e64 v8, null, 0, v8, vcc_lo
	s_delay_alu instid0(VALU_DEP_2) | instskip(SKIP_1) | instid1(VALU_DEP_2)
	v_add_co_u32 v7, vcc_lo, v7, v11
	s_wait_alu 0xfffd
	v_add_co_ci_u32_e32 v7, vcc_lo, v8, v12, vcc_lo
	s_wait_alu 0xfffd
	v_add_co_ci_u32_e32 v8, vcc_lo, 0, v24, vcc_lo
	s_delay_alu instid0(VALU_DEP_2) | instskip(SKIP_1) | instid1(VALU_DEP_2)
	v_add_co_u32 v11, vcc_lo, v7, v23
	s_wait_alu 0xfffd
	v_add_co_ci_u32_e64 v12, null, 0, v8, vcc_lo
	s_delay_alu instid0(VALU_DEP_2) | instskip(SKIP_1) | instid1(VALU_DEP_3)
	v_mul_lo_u32 v23, s61, v11
	v_mad_co_u64_u32 v[7:8], null, s60, v11, 0
	v_mul_lo_u32 v24, s60, v12
	s_delay_alu instid0(VALU_DEP_2) | instskip(NEXT) | instid1(VALU_DEP_2)
	v_sub_co_u32 v2, vcc_lo, v2, v7
	v_add3_u32 v8, v8, v24, v23
	s_delay_alu instid0(VALU_DEP_1) | instskip(SKIP_2) | instid1(VALU_DEP_2)
	v_sub_nc_u32_e32 v23, v25, v8
	s_wait_alu 0xfffd
	v_sub_co_ci_u32_e64 v8, null, v25, v8, vcc_lo
	v_subrev_co_ci_u32_e64 v7, null, s61, v23, vcc_lo
	v_add_co_u32 v23, s0, v11, 2
	s_wait_alu 0xf1ff
	v_add_co_ci_u32_e64 v24, null, 0, v12, s0
	v_sub_co_u32 v26, s0, v2, s60
	s_wait_alu 0xf1ff
	v_subrev_co_ci_u32_e64 v7, null, 0, v7, s0
	s_delay_alu instid0(VALU_DEP_2) | instskip(SKIP_2) | instid1(VALU_DEP_3)
	v_cmp_le_u32_e32 vcc_lo, s60, v26
	s_wait_alu 0xfffd
	v_cndmask_b32_e64 v25, 0, -1, vcc_lo
	v_cmp_le_u32_e32 vcc_lo, s61, v7
	s_wait_alu 0xfffd
	v_cndmask_b32_e64 v26, 0, -1, vcc_lo
	;; [unrolled: 3-line block ×4, first 2 shown]
	v_cmp_eq_u32_e32 vcc_lo, s61, v7
	s_wait_alu 0xfffd
	v_cndmask_b32_e32 v7, v26, v25, vcc_lo
	v_add_co_u32 v25, vcc_lo, v11, 1
	s_wait_alu 0xfffd
	v_add_co_ci_u32_e64 v26, null, 0, v12, vcc_lo
	v_cmp_eq_u32_e32 vcc_lo, s61, v8
	v_xor_b32_e32 v8, s58, v17
	s_wait_alu 0xfffd
	v_cndmask_b32_e32 v2, v28, v2, vcc_lo
	v_cmp_ne_u32_e32 vcc_lo, 0, v7
	s_delay_alu instid0(VALU_DEP_2) | instskip(SKIP_3) | instid1(VALU_DEP_1)
	v_cmp_ne_u32_e64 s0, 0, v2
	s_wait_alu 0xfffd
	v_dual_cndmask_b32 v7, v26, v24 :: v_dual_cndmask_b32 v2, v25, v23
                                        ; implicit-def: $vgpr25
	s_wait_alu 0xf1ff
	v_cndmask_b32_e64 v7, v12, v7, s0
	s_delay_alu instid0(VALU_DEP_2) | instskip(NEXT) | instid1(VALU_DEP_2)
	v_cndmask_b32_e64 v2, v11, v2, s0
	v_xor_b32_e32 v11, v7, v8
	s_delay_alu instid0(VALU_DEP_2) | instskip(NEXT) | instid1(VALU_DEP_1)
	v_xor_b32_e32 v2, v2, v8
	v_sub_co_u32 v7, vcc_lo, v2, v8
	s_wait_alu 0xfffd
	s_delay_alu instid0(VALU_DEP_3)
	v_sub_co_ci_u32_e64 v8, null, v11, v8, vcc_lo
.LBB59_49:                              ;   in Loop: Header=BB59_3 Depth=1
	s_wait_alu 0xfffe
	s_and_not1_saveexec_b32 s0, s57
	s_cbranch_execz .LBB59_51
; %bb.50:                               ;   in Loop: Header=BB59_3 Depth=1
	v_rcp_iflag_f32_e32 v2, v22
	s_sub_co_i32 s57, 0, s38
	s_delay_alu instid0(TRANS32_DEP_1) | instskip(NEXT) | instid1(VALU_DEP_1)
	v_mul_f32_e32 v2, 0x4f7ffffe, v2
	v_cvt_u32_f32_e32 v2, v2
	s_wait_alu 0xfffe
	s_delay_alu instid0(VALU_DEP_1) | instskip(NEXT) | instid1(VALU_DEP_1)
	v_mul_lo_u32 v7, s57, v2
	v_mul_hi_u32 v7, v2, v7
	s_delay_alu instid0(VALU_DEP_1) | instskip(NEXT) | instid1(VALU_DEP_1)
	v_add_nc_u32_e32 v2, v2, v7
	v_mul_hi_u32 v2, v25, v2
	s_delay_alu instid0(VALU_DEP_1) | instskip(SKIP_1) | instid1(VALU_DEP_2)
	v_mul_lo_u32 v7, v2, s38
	v_add_nc_u32_e32 v8, 1, v2
	v_sub_nc_u32_e32 v7, v25, v7
	s_delay_alu instid0(VALU_DEP_1) | instskip(SKIP_2) | instid1(VALU_DEP_2)
	v_subrev_nc_u32_e32 v11, s38, v7
	v_cmp_le_u32_e32 vcc_lo, s38, v7
	s_wait_alu 0xfffd
	v_dual_cndmask_b32 v7, v7, v11 :: v_dual_cndmask_b32 v2, v2, v8
	s_delay_alu instid0(VALU_DEP_1) | instskip(NEXT) | instid1(VALU_DEP_2)
	v_cmp_le_u32_e32 vcc_lo, s38, v7
	v_add_nc_u32_e32 v8, 1, v2
	s_wait_alu 0xfffd
	s_delay_alu instid0(VALU_DEP_1)
	v_dual_cndmask_b32 v7, v2, v8 :: v_dual_mov_b32 v8, v1
.LBB59_51:                              ;   in Loop: Header=BB59_3 Depth=1
	s_wait_alu 0xfffe
	s_or_b32 exec_lo, exec_lo, s0
	s_delay_alu instid0(VALU_DEP_1) | instskip(NEXT) | instid1(VALU_DEP_2)
	v_mul_lo_u32 v2, v8, s38
	v_mul_lo_u32 v17, v7, s39
	v_mad_co_u64_u32 v[11:12], null, v7, s38, 0
	s_mov_b32 s0, exec_lo
	v_add3_u32 v2, v12, v17, v2
	v_sub_co_u32 v5, vcc_lo, v5, v11
	v_mul_lo_u32 v12, v8, s12
	v_mul_lo_u32 v11, v7, s13
	s_wait_alu 0xfffd
	v_sub_co_ci_u32_e64 v2, null, v6, v2, vcc_lo
	v_add_co_u32 v8, vcc_lo, v3, v5
	v_mad_co_u64_u32 v[5:6], null, v7, s12, 0
	s_wait_alu 0xfffd
	s_delay_alu instid0(VALU_DEP_3) | instskip(NEXT) | instid1(VALU_DEP_3)
	v_add_co_ci_u32_e64 v2, null, v4, v2, vcc_lo
	v_mul_lo_u32 v17, v8, s15
	v_mad_co_u64_u32 v[7:8], null, v8, s14, 0
	s_delay_alu instid0(VALU_DEP_3) | instskip(SKIP_1) | instid1(VALU_DEP_1)
	v_mul_lo_u32 v2, v2, s14
	v_add3_u32 v6, v6, v11, v12
	v_lshlrev_b64_e32 v[5:6], 1, v[5:6]
	s_delay_alu instid0(VALU_DEP_3) | instskip(SKIP_1) | instid1(VALU_DEP_3)
	v_add3_u32 v8, v8, v17, v2
	v_or_b32_e32 v2, s39, v27
	v_add_co_u32 v5, vcc_lo, s36, v5
	s_delay_alu instid0(VALU_DEP_3) | instskip(SKIP_2) | instid1(VALU_DEP_2)
	v_lshlrev_b64_e32 v[7:8], 1, v[7:8]
	s_wait_alu 0xfffd
	v_add_co_ci_u32_e64 v6, null, s37, v6, vcc_lo
	v_add_co_u32 v5, vcc_lo, v5, v7
	s_wait_alu 0xfffd
	s_delay_alu instid0(VALU_DEP_2)
	v_add_co_ci_u32_e64 v6, null, v6, v8, vcc_lo
	global_store_b16 v[5:6], v29, off
                                        ; implicit-def: $vgpr5_vgpr6
	v_cmpx_ne_u64_e32 0, v[1:2]
	s_wait_alu 0xfffe
	s_xor_b32 s57, exec_lo, s0
	s_cbranch_execz .LBB59_53
; %bb.52:                               ;   in Loop: Header=BB59_3 Depth=1
	s_ashr_i32 s58, s39, 31
	v_add_co_u32 v2, vcc_lo, v21, v20
	s_wait_alu 0xfffe
	s_mov_b32 s59, s58
	s_wait_alu 0xfffd
	v_add_co_ci_u32_e64 v5, null, v27, v20, vcc_lo
	s_wait_alu 0xfffe
	s_add_nc_u64 s[60:61], s[38:39], s[58:59]
	v_xor_b32_e32 v2, v2, v20
	s_wait_alu 0xfffe
	s_xor_b64 s[60:61], s[60:61], s[58:59]
	v_xor_b32_e32 v17, v5, v20
	s_wait_alu 0xfffe
	s_cvt_f32_u32 s0, s60
	s_cvt_f32_u32 s59, s61
	s_sub_nc_u64 s[66:67], 0, s[60:61]
	s_wait_alu 0xfffe
	s_delay_alu instid0(SALU_CYCLE_1) | instskip(SKIP_1) | instid1(SALU_CYCLE_2)
	s_fmamk_f32 s0, s59, 0x4f800000, s0
	s_wait_alu 0xfffe
	v_s_rcp_f32 s0, s0
	s_delay_alu instid0(TRANS32_DEP_1) | instskip(SKIP_1) | instid1(SALU_CYCLE_2)
	s_mul_f32 s0, s0, 0x5f7ffffc
	s_wait_alu 0xfffe
	s_mul_f32 s59, s0, 0x2f800000
	s_wait_alu 0xfffe
	s_delay_alu instid0(SALU_CYCLE_2) | instskip(SKIP_1) | instid1(SALU_CYCLE_2)
	s_trunc_f32 s59, s59
	s_wait_alu 0xfffe
	s_fmamk_f32 s0, s59, 0xcf800000, s0
	s_cvt_u32_f32 s65, s59
	s_wait_alu 0xfffe
	s_delay_alu instid0(SALU_CYCLE_1) | instskip(NEXT) | instid1(SALU_CYCLE_3)
	s_cvt_u32_f32 s64, s0
	s_mul_u64 s[68:69], s[66:67], s[64:65]
	s_delay_alu instid0(SALU_CYCLE_1)
	s_mul_hi_u32 s71, s64, s69
	s_mul_i32 s70, s64, s69
	s_mul_hi_u32 s0, s64, s68
	s_mul_i32 s72, s65, s68
	s_wait_alu 0xfffe
	s_add_nc_u64 s[70:71], s[0:1], s[70:71]
	s_mul_hi_u32 s59, s65, s68
	s_mul_hi_u32 s73, s65, s69
	s_add_co_u32 s0, s70, s72
	s_wait_alu 0xfffe
	s_add_co_ci_u32 s0, s71, s59
	s_mul_i32 s68, s65, s69
	s_add_co_ci_u32 s69, s73, 0
	s_wait_alu 0xfffe
	s_add_nc_u64 s[68:69], s[0:1], s[68:69]
	s_delay_alu instid0(SALU_CYCLE_1) | instskip(SKIP_4) | instid1(SALU_CYCLE_1)
	s_add_co_u32 s64, s64, s68
	s_cselect_b32 s0, -1, 0
	s_wait_alu 0xfffe
	s_cmp_lg_u32 s0, 0
	s_add_co_ci_u32 s65, s65, s69
	s_mul_u64 s[66:67], s[66:67], s[64:65]
	s_delay_alu instid0(SALU_CYCLE_1)
	s_mul_hi_u32 s69, s64, s67
	s_mul_i32 s68, s64, s67
	s_mul_hi_u32 s0, s64, s66
	s_mul_i32 s70, s65, s66
	s_wait_alu 0xfffe
	s_add_nc_u64 s[68:69], s[0:1], s[68:69]
	s_mul_hi_u32 s59, s65, s66
	s_mul_hi_u32 s71, s65, s67
	s_add_co_u32 s0, s68, s70
	s_wait_alu 0xfffe
	s_add_co_ci_u32 s0, s69, s59
	s_mul_i32 s66, s65, s67
	s_add_co_ci_u32 s67, s71, 0
	s_wait_alu 0xfffe
	s_add_nc_u64 s[66:67], s[0:1], s[66:67]
	s_delay_alu instid0(SALU_CYCLE_1)
	s_add_co_u32 s0, s64, s66
	s_cselect_b32 s59, -1, 0
	s_wait_alu 0xfffe
	v_mul_hi_u32 v21, v2, s0
	s_cmp_lg_u32 s59, 0
	v_mad_co_u64_u32 v[7:8], null, v17, s0, 0
	s_add_co_ci_u32 s59, s65, s67
	s_wait_alu 0xfffe
	v_mad_co_u64_u32 v[5:6], null, v2, s59, 0
	v_mad_co_u64_u32 v[11:12], null, v17, s59, 0
	s_delay_alu instid0(VALU_DEP_2) | instskip(SKIP_1) | instid1(VALU_DEP_3)
	v_add_co_u32 v5, vcc_lo, v21, v5
	s_wait_alu 0xfffd
	v_add_co_ci_u32_e64 v6, null, 0, v6, vcc_lo
	s_delay_alu instid0(VALU_DEP_2) | instskip(SKIP_1) | instid1(VALU_DEP_2)
	v_add_co_u32 v5, vcc_lo, v5, v7
	s_wait_alu 0xfffd
	v_add_co_ci_u32_e32 v5, vcc_lo, v6, v8, vcc_lo
	s_wait_alu 0xfffd
	v_add_co_ci_u32_e32 v6, vcc_lo, 0, v12, vcc_lo
	s_delay_alu instid0(VALU_DEP_2) | instskip(SKIP_1) | instid1(VALU_DEP_2)
	v_add_co_u32 v7, vcc_lo, v5, v11
	s_wait_alu 0xfffd
	v_add_co_ci_u32_e64 v8, null, 0, v6, vcc_lo
	s_delay_alu instid0(VALU_DEP_2) | instskip(SKIP_1) | instid1(VALU_DEP_3)
	v_mul_lo_u32 v11, s61, v7
	v_mad_co_u64_u32 v[5:6], null, s60, v7, 0
	v_mul_lo_u32 v12, s60, v8
	s_delay_alu instid0(VALU_DEP_2) | instskip(NEXT) | instid1(VALU_DEP_2)
	v_sub_co_u32 v2, vcc_lo, v2, v5
	v_add3_u32 v6, v6, v12, v11
	s_delay_alu instid0(VALU_DEP_1) | instskip(SKIP_2) | instid1(VALU_DEP_2)
	v_sub_nc_u32_e32 v11, v17, v6
	s_wait_alu 0xfffd
	v_sub_co_ci_u32_e64 v6, null, v17, v6, vcc_lo
	v_subrev_co_ci_u32_e64 v5, null, s61, v11, vcc_lo
	v_add_co_u32 v11, s0, v7, 2
	s_wait_alu 0xf1ff
	v_add_co_ci_u32_e64 v12, null, 0, v8, s0
	v_sub_co_u32 v21, s0, v2, s60
	s_wait_alu 0xf1ff
	v_subrev_co_ci_u32_e64 v5, null, 0, v5, s0
	s_delay_alu instid0(VALU_DEP_2) | instskip(SKIP_2) | instid1(VALU_DEP_3)
	v_cmp_le_u32_e32 vcc_lo, s60, v21
	s_wait_alu 0xfffd
	v_cndmask_b32_e64 v17, 0, -1, vcc_lo
	v_cmp_le_u32_e32 vcc_lo, s61, v5
	s_wait_alu 0xfffd
	v_cndmask_b32_e64 v21, 0, -1, vcc_lo
	;; [unrolled: 3-line block ×4, first 2 shown]
	v_cmp_eq_u32_e32 vcc_lo, s61, v5
	s_wait_alu 0xfffd
	v_cndmask_b32_e32 v5, v21, v17, vcc_lo
	v_add_co_u32 v17, vcc_lo, v7, 1
	s_wait_alu 0xfffd
	v_add_co_ci_u32_e64 v21, null, 0, v8, vcc_lo
	v_cmp_eq_u32_e32 vcc_lo, s61, v6
	v_xor_b32_e32 v6, s58, v20
	s_wait_alu 0xfffd
	v_cndmask_b32_e32 v2, v22, v2, vcc_lo
	v_cmp_ne_u32_e32 vcc_lo, 0, v5
                                        ; implicit-def: $vgpr22
	s_delay_alu instid0(VALU_DEP_2) | instskip(SKIP_4) | instid1(VALU_DEP_2)
	v_cmp_ne_u32_e64 s0, 0, v2
	s_wait_alu 0xfffd
	v_cndmask_b32_e32 v2, v17, v11, vcc_lo
	v_cndmask_b32_e32 v5, v21, v12, vcc_lo
                                        ; implicit-def: $vgpr21
	s_wait_alu 0xf1ff
	v_cndmask_b32_e64 v2, v7, v2, s0
	s_delay_alu instid0(VALU_DEP_2) | instskip(NEXT) | instid1(VALU_DEP_2)
	v_cndmask_b32_e64 v5, v8, v5, s0
	v_xor_b32_e32 v2, v2, v6
	s_delay_alu instid0(VALU_DEP_2) | instskip(NEXT) | instid1(VALU_DEP_2)
	v_xor_b32_e32 v7, v5, v6
	v_sub_co_u32 v5, vcc_lo, v2, v6
	s_wait_alu 0xfffd
	s_delay_alu instid0(VALU_DEP_2)
	v_sub_co_ci_u32_e64 v6, null, v7, v6, vcc_lo
.LBB59_53:                              ;   in Loop: Header=BB59_3 Depth=1
	s_wait_alu 0xfffe
	s_and_not1_saveexec_b32 s0, s57
	s_cbranch_execz .LBB59_55
; %bb.54:                               ;   in Loop: Header=BB59_3 Depth=1
	v_rcp_iflag_f32_e32 v2, v22
	s_sub_co_i32 s57, 0, s38
	s_delay_alu instid0(TRANS32_DEP_1) | instskip(NEXT) | instid1(VALU_DEP_1)
	v_mul_f32_e32 v2, 0x4f7ffffe, v2
	v_cvt_u32_f32_e32 v2, v2
	s_wait_alu 0xfffe
	s_delay_alu instid0(VALU_DEP_1) | instskip(NEXT) | instid1(VALU_DEP_1)
	v_mul_lo_u32 v5, s57, v2
	v_mul_hi_u32 v5, v2, v5
	s_delay_alu instid0(VALU_DEP_1) | instskip(NEXT) | instid1(VALU_DEP_1)
	v_add_nc_u32_e32 v2, v2, v5
	v_mul_hi_u32 v2, v21, v2
	s_delay_alu instid0(VALU_DEP_1) | instskip(SKIP_1) | instid1(VALU_DEP_2)
	v_mul_lo_u32 v5, v2, s38
	v_add_nc_u32_e32 v6, 1, v2
	v_sub_nc_u32_e32 v5, v21, v5
	s_delay_alu instid0(VALU_DEP_1) | instskip(SKIP_2) | instid1(VALU_DEP_2)
	v_subrev_nc_u32_e32 v7, s38, v5
	v_cmp_le_u32_e32 vcc_lo, s38, v5
	s_wait_alu 0xfffd
	v_dual_cndmask_b32 v5, v5, v7 :: v_dual_cndmask_b32 v2, v2, v6
	s_delay_alu instid0(VALU_DEP_1) | instskip(NEXT) | instid1(VALU_DEP_2)
	v_cmp_le_u32_e32 vcc_lo, s38, v5
	v_add_nc_u32_e32 v6, 1, v2
	s_wait_alu 0xfffd
	s_delay_alu instid0(VALU_DEP_1)
	v_dual_cndmask_b32 v5, v2, v6 :: v_dual_mov_b32 v6, v1
.LBB59_55:                              ;   in Loop: Header=BB59_3 Depth=1
	s_wait_alu 0xfffe
	s_or_b32 exec_lo, exec_lo, s0
	s_delay_alu instid0(VALU_DEP_1) | instskip(NEXT) | instid1(VALU_DEP_2)
	v_mul_lo_u32 v2, v6, s38
	v_mul_lo_u32 v11, v5, s39
	v_mad_co_u64_u32 v[7:8], null, v5, s38, 0
	s_mov_b32 s0, exec_lo
	v_add3_u32 v2, v8, v11, v2
	v_mul_lo_u32 v11, v6, s12
	v_sub_co_u32 v6, vcc_lo, v9, v7
	v_mul_lo_u32 v9, v5, s13
	s_wait_alu 0xfffd
	v_sub_co_ci_u32_e64 v2, null, v10, v2, vcc_lo
	s_delay_alu instid0(VALU_DEP_3) | instskip(SKIP_2) | instid1(VALU_DEP_3)
	v_add_co_u32 v7, vcc_lo, v3, v6
	v_mad_co_u64_u32 v[5:6], null, v5, s12, 0
	s_wait_alu 0xfffd
	v_add_co_ci_u32_e64 v2, null, v4, v2, vcc_lo
	s_delay_alu instid0(VALU_DEP_3) | instskip(SKIP_1) | instid1(VALU_DEP_3)
	v_mul_lo_u32 v10, v7, s15
	v_mad_co_u64_u32 v[7:8], null, v7, s14, 0
	v_mul_lo_u32 v2, v2, s14
	v_add3_u32 v6, v6, v9, v11
	v_fma_mixlo_f16 v9, v19, v18, 0
	s_delay_alu instid0(VALU_DEP_2) | instskip(NEXT) | instid1(VALU_DEP_4)
	v_lshlrev_b64_e32 v[5:6], 1, v[5:6]
	v_add3_u32 v8, v8, v10, v2
	v_or_b32_e32 v2, s45, v4
	s_delay_alu instid0(VALU_DEP_3) | instskip(NEXT) | instid1(VALU_DEP_3)
	v_add_co_u32 v5, vcc_lo, s36, v5
	v_lshlrev_b64_e32 v[7:8], 1, v[7:8]
	s_wait_alu 0xfffd
	v_add_co_ci_u32_e64 v6, null, s37, v6, vcc_lo
	s_delay_alu instid0(VALU_DEP_2) | instskip(SKIP_1) | instid1(VALU_DEP_2)
	v_add_co_u32 v5, vcc_lo, v5, v7
	s_wait_alu 0xfffd
	v_add_co_ci_u32_e64 v6, null, v6, v8, vcc_lo
	global_store_b16 v[5:6], v9, off
                                        ; implicit-def: $vgpr5_vgpr6
	v_cmpx_ne_u64_e32 0, v[1:2]
	s_wait_alu 0xfffe
	s_xor_b32 s57, exec_lo, s0
	s_cbranch_execz .LBB59_57
; %bb.56:                               ;   in Loop: Header=BB59_3 Depth=1
	s_ashr_i32 s58, s45, 31
	v_add_co_u32 v2, vcc_lo, v3, v14
	s_wait_alu 0xfffe
	s_mov_b32 s59, s58
	s_wait_alu 0xfffd
	v_add_co_ci_u32_e64 v5, null, v4, v14, vcc_lo
	s_wait_alu 0xfffe
	s_add_nc_u64 s[60:61], s[44:45], s[58:59]
	v_xor_b32_e32 v2, v2, v14
	s_wait_alu 0xfffe
	s_xor_b64 s[60:61], s[60:61], s[58:59]
	v_xor_b32_e32 v11, v5, v14
	s_wait_alu 0xfffe
	s_cvt_f32_u32 s0, s60
	s_cvt_f32_u32 s59, s61
	s_sub_nc_u64 s[66:67], 0, s[60:61]
	s_wait_alu 0xfffe
	s_delay_alu instid0(SALU_CYCLE_1) | instskip(SKIP_1) | instid1(SALU_CYCLE_2)
	s_fmamk_f32 s0, s59, 0x4f800000, s0
	s_wait_alu 0xfffe
	v_s_rcp_f32 s0, s0
	s_delay_alu instid0(TRANS32_DEP_1) | instskip(SKIP_1) | instid1(SALU_CYCLE_2)
	s_mul_f32 s0, s0, 0x5f7ffffc
	s_wait_alu 0xfffe
	s_mul_f32 s59, s0, 0x2f800000
	s_wait_alu 0xfffe
	s_delay_alu instid0(SALU_CYCLE_2) | instskip(SKIP_1) | instid1(SALU_CYCLE_2)
	s_trunc_f32 s59, s59
	s_wait_alu 0xfffe
	s_fmamk_f32 s0, s59, 0xcf800000, s0
	s_cvt_u32_f32 s65, s59
	s_wait_alu 0xfffe
	s_delay_alu instid0(SALU_CYCLE_1) | instskip(NEXT) | instid1(SALU_CYCLE_3)
	s_cvt_u32_f32 s64, s0
	s_mul_u64 s[68:69], s[66:67], s[64:65]
	s_delay_alu instid0(SALU_CYCLE_1)
	s_mul_hi_u32 s71, s64, s69
	s_mul_i32 s70, s64, s69
	s_mul_hi_u32 s0, s64, s68
	s_mul_i32 s72, s65, s68
	s_wait_alu 0xfffe
	s_add_nc_u64 s[70:71], s[0:1], s[70:71]
	s_mul_hi_u32 s59, s65, s68
	s_mul_hi_u32 s73, s65, s69
	s_add_co_u32 s0, s70, s72
	s_wait_alu 0xfffe
	s_add_co_ci_u32 s0, s71, s59
	s_mul_i32 s68, s65, s69
	s_add_co_ci_u32 s69, s73, 0
	s_wait_alu 0xfffe
	s_add_nc_u64 s[68:69], s[0:1], s[68:69]
	s_delay_alu instid0(SALU_CYCLE_1) | instskip(SKIP_4) | instid1(SALU_CYCLE_1)
	s_add_co_u32 s64, s64, s68
	s_cselect_b32 s0, -1, 0
	s_wait_alu 0xfffe
	s_cmp_lg_u32 s0, 0
	s_add_co_ci_u32 s65, s65, s69
	s_mul_u64 s[66:67], s[66:67], s[64:65]
	s_delay_alu instid0(SALU_CYCLE_1)
	s_mul_hi_u32 s69, s64, s67
	s_mul_i32 s68, s64, s67
	s_mul_hi_u32 s0, s64, s66
	s_mul_i32 s70, s65, s66
	s_wait_alu 0xfffe
	s_add_nc_u64 s[68:69], s[0:1], s[68:69]
	s_mul_hi_u32 s59, s65, s66
	s_mul_hi_u32 s71, s65, s67
	s_add_co_u32 s0, s68, s70
	s_wait_alu 0xfffe
	s_add_co_ci_u32 s0, s69, s59
	s_mul_i32 s66, s65, s67
	s_add_co_ci_u32 s67, s71, 0
	s_wait_alu 0xfffe
	s_add_nc_u64 s[66:67], s[0:1], s[66:67]
	s_delay_alu instid0(SALU_CYCLE_1)
	s_add_co_u32 s0, s64, s66
	s_cselect_b32 s59, -1, 0
	s_wait_alu 0xfffe
	v_mul_hi_u32 v12, v2, s0
	s_cmp_lg_u32 s59, 0
	v_mad_co_u64_u32 v[7:8], null, v11, s0, 0
	s_add_co_ci_u32 s59, s65, s67
	s_wait_alu 0xfffe
	v_mad_co_u64_u32 v[5:6], null, v2, s59, 0
	v_mad_co_u64_u32 v[9:10], null, v11, s59, 0
	s_delay_alu instid0(VALU_DEP_2) | instskip(SKIP_1) | instid1(VALU_DEP_3)
	v_add_co_u32 v5, vcc_lo, v12, v5
	s_wait_alu 0xfffd
	v_add_co_ci_u32_e64 v6, null, 0, v6, vcc_lo
	s_delay_alu instid0(VALU_DEP_2) | instskip(SKIP_1) | instid1(VALU_DEP_2)
	v_add_co_u32 v5, vcc_lo, v5, v7
	s_wait_alu 0xfffd
	v_add_co_ci_u32_e32 v5, vcc_lo, v6, v8, vcc_lo
	s_wait_alu 0xfffd
	v_add_co_ci_u32_e32 v6, vcc_lo, 0, v10, vcc_lo
	s_delay_alu instid0(VALU_DEP_2) | instskip(SKIP_1) | instid1(VALU_DEP_2)
	v_add_co_u32 v7, vcc_lo, v5, v9
	s_wait_alu 0xfffd
	v_add_co_ci_u32_e64 v8, null, 0, v6, vcc_lo
	s_delay_alu instid0(VALU_DEP_2) | instskip(SKIP_1) | instid1(VALU_DEP_3)
	v_mul_lo_u32 v9, s61, v7
	v_mad_co_u64_u32 v[5:6], null, s60, v7, 0
	v_mul_lo_u32 v10, s60, v8
	s_delay_alu instid0(VALU_DEP_2) | instskip(NEXT) | instid1(VALU_DEP_2)
	v_sub_co_u32 v2, vcc_lo, v2, v5
	v_add3_u32 v6, v6, v10, v9
	s_delay_alu instid0(VALU_DEP_1) | instskip(SKIP_2) | instid1(VALU_DEP_2)
	v_sub_nc_u32_e32 v9, v11, v6
	s_wait_alu 0xfffd
	v_sub_co_ci_u32_e64 v6, null, v11, v6, vcc_lo
	v_subrev_co_ci_u32_e64 v5, null, s61, v9, vcc_lo
	v_add_co_u32 v9, s0, v7, 2
	s_wait_alu 0xf1ff
	v_add_co_ci_u32_e64 v10, null, 0, v8, s0
	v_sub_co_u32 v12, s0, v2, s60
	s_wait_alu 0xf1ff
	v_subrev_co_ci_u32_e64 v5, null, 0, v5, s0
	s_delay_alu instid0(VALU_DEP_2) | instskip(SKIP_2) | instid1(VALU_DEP_3)
	v_cmp_le_u32_e32 vcc_lo, s60, v12
	s_wait_alu 0xfffd
	v_cndmask_b32_e64 v11, 0, -1, vcc_lo
	v_cmp_le_u32_e32 vcc_lo, s61, v5
	s_wait_alu 0xfffd
	v_cndmask_b32_e64 v12, 0, -1, vcc_lo
	;; [unrolled: 3-line block ×4, first 2 shown]
	v_cmp_eq_u32_e32 vcc_lo, s61, v5
	s_wait_alu 0xfffd
	v_cndmask_b32_e32 v5, v12, v11, vcc_lo
	v_add_co_u32 v11, vcc_lo, v7, 1
	s_wait_alu 0xfffd
	v_add_co_ci_u32_e64 v12, null, 0, v8, vcc_lo
	v_cmp_eq_u32_e32 vcc_lo, s61, v6
	v_xor_b32_e32 v6, s58, v14
	s_wait_alu 0xfffd
	v_cndmask_b32_e32 v2, v17, v2, vcc_lo
	v_cmp_ne_u32_e32 vcc_lo, 0, v5
	s_delay_alu instid0(VALU_DEP_2) | instskip(SKIP_3) | instid1(VALU_DEP_1)
	v_cmp_ne_u32_e64 s0, 0, v2
	s_wait_alu 0xfffd
	v_dual_cndmask_b32 v5, v12, v10 :: v_dual_cndmask_b32 v2, v11, v9
	s_wait_alu 0xf1ff
	v_cndmask_b32_e64 v5, v8, v5, s0
	s_delay_alu instid0(VALU_DEP_2) | instskip(NEXT) | instid1(VALU_DEP_2)
	v_cndmask_b32_e64 v2, v7, v2, s0
	v_xor_b32_e32 v7, v5, v6
	s_delay_alu instid0(VALU_DEP_2) | instskip(NEXT) | instid1(VALU_DEP_1)
	v_xor_b32_e32 v2, v2, v6
	v_sub_co_u32 v5, vcc_lo, v2, v6
	s_wait_alu 0xfffd
	s_delay_alu instid0(VALU_DEP_3)
	v_sub_co_ci_u32_e64 v6, null, v7, v6, vcc_lo
.LBB59_57:                              ;   in Loop: Header=BB59_3 Depth=1
	s_wait_alu 0xfffe
	s_and_not1_saveexec_b32 s0, s57
	s_cbranch_execz .LBB59_2
; %bb.58:                               ;   in Loop: Header=BB59_3 Depth=1
	v_cvt_f32_u32_e32 v2, s44
	s_sub_co_i32 s57, 0, s44
	s_delay_alu instid0(VALU_DEP_1) | instskip(NEXT) | instid1(TRANS32_DEP_1)
	v_rcp_iflag_f32_e32 v2, v2
	v_mul_f32_e32 v2, 0x4f7ffffe, v2
	s_delay_alu instid0(VALU_DEP_1) | instskip(SKIP_1) | instid1(VALU_DEP_1)
	v_cvt_u32_f32_e32 v2, v2
	s_wait_alu 0xfffe
	v_mul_lo_u32 v5, s57, v2
	s_delay_alu instid0(VALU_DEP_1) | instskip(NEXT) | instid1(VALU_DEP_1)
	v_mul_hi_u32 v5, v2, v5
	v_add_nc_u32_e32 v2, v2, v5
	s_delay_alu instid0(VALU_DEP_1) | instskip(NEXT) | instid1(VALU_DEP_1)
	v_mul_hi_u32 v2, v3, v2
	v_mul_lo_u32 v5, v2, s44
	v_add_nc_u32_e32 v6, 1, v2
	s_delay_alu instid0(VALU_DEP_2) | instskip(NEXT) | instid1(VALU_DEP_1)
	v_sub_nc_u32_e32 v5, v3, v5
	v_subrev_nc_u32_e32 v7, s44, v5
	v_cmp_le_u32_e32 vcc_lo, s44, v5
	s_wait_alu 0xfffd
	s_delay_alu instid0(VALU_DEP_2) | instskip(NEXT) | instid1(VALU_DEP_1)
	v_dual_cndmask_b32 v5, v5, v7 :: v_dual_cndmask_b32 v2, v2, v6
	v_cmp_le_u32_e32 vcc_lo, s44, v5
	s_delay_alu instid0(VALU_DEP_2) | instskip(SKIP_1) | instid1(VALU_DEP_1)
	v_add_nc_u32_e32 v6, 1, v2
	s_wait_alu 0xfffd
	v_dual_cndmask_b32 v5, v2, v6 :: v_dual_mov_b32 v6, v1
	s_branch .LBB59_2
.LBB59_59:
	s_endpgm
	.section	.rodata,"a",@progbits
	.p2align	6, 0x0
	.amdhsa_kernel _ZN2at6native12_GLOBAL__N_16kernel17gru_cell_backwardIN3c104HalfEflLi2EEEvNS_4cuda6detail10TensorInfoIT_T1_EESB_SB_SB_SB_SA_SA_
		.amdhsa_group_segment_fixed_size 0
		.amdhsa_private_segment_fixed_size 0
		.amdhsa_kernarg_size 2352
		.amdhsa_user_sgpr_count 2
		.amdhsa_user_sgpr_dispatch_ptr 0
		.amdhsa_user_sgpr_queue_ptr 0
		.amdhsa_user_sgpr_kernarg_segment_ptr 1
		.amdhsa_user_sgpr_dispatch_id 0
		.amdhsa_user_sgpr_private_segment_size 0
		.amdhsa_wavefront_size32 1
		.amdhsa_uses_dynamic_stack 0
		.amdhsa_enable_private_segment 0
		.amdhsa_system_sgpr_workgroup_id_x 1
		.amdhsa_system_sgpr_workgroup_id_y 0
		.amdhsa_system_sgpr_workgroup_id_z 0
		.amdhsa_system_sgpr_workgroup_info 0
		.amdhsa_system_vgpr_workitem_id 0
		.amdhsa_next_free_vgpr 39
		.amdhsa_next_free_sgpr 74
		.amdhsa_reserve_vcc 1
		.amdhsa_float_round_mode_32 0
		.amdhsa_float_round_mode_16_64 0
		.amdhsa_float_denorm_mode_32 3
		.amdhsa_float_denorm_mode_16_64 3
		.amdhsa_fp16_overflow 0
		.amdhsa_workgroup_processor_mode 1
		.amdhsa_memory_ordered 1
		.amdhsa_forward_progress 1
		.amdhsa_inst_pref_size 135
		.amdhsa_round_robin_scheduling 0
		.amdhsa_exception_fp_ieee_invalid_op 0
		.amdhsa_exception_fp_denorm_src 0
		.amdhsa_exception_fp_ieee_div_zero 0
		.amdhsa_exception_fp_ieee_overflow 0
		.amdhsa_exception_fp_ieee_underflow 0
		.amdhsa_exception_fp_ieee_inexact 0
		.amdhsa_exception_int_div_zero 0
	.end_amdhsa_kernel
	.section	.text._ZN2at6native12_GLOBAL__N_16kernel17gru_cell_backwardIN3c104HalfEflLi2EEEvNS_4cuda6detail10TensorInfoIT_T1_EESB_SB_SB_SB_SA_SA_,"axG",@progbits,_ZN2at6native12_GLOBAL__N_16kernel17gru_cell_backwardIN3c104HalfEflLi2EEEvNS_4cuda6detail10TensorInfoIT_T1_EESB_SB_SB_SB_SA_SA_,comdat
.Lfunc_end59:
	.size	_ZN2at6native12_GLOBAL__N_16kernel17gru_cell_backwardIN3c104HalfEflLi2EEEvNS_4cuda6detail10TensorInfoIT_T1_EESB_SB_SB_SB_SA_SA_, .Lfunc_end59-_ZN2at6native12_GLOBAL__N_16kernel17gru_cell_backwardIN3c104HalfEflLi2EEEvNS_4cuda6detail10TensorInfoIT_T1_EESB_SB_SB_SB_SA_SA_
                                        ; -- End function
	.set _ZN2at6native12_GLOBAL__N_16kernel17gru_cell_backwardIN3c104HalfEflLi2EEEvNS_4cuda6detail10TensorInfoIT_T1_EESB_SB_SB_SB_SA_SA_.num_vgpr, 39
	.set _ZN2at6native12_GLOBAL__N_16kernel17gru_cell_backwardIN3c104HalfEflLi2EEEvNS_4cuda6detail10TensorInfoIT_T1_EESB_SB_SB_SB_SA_SA_.num_agpr, 0
	.set _ZN2at6native12_GLOBAL__N_16kernel17gru_cell_backwardIN3c104HalfEflLi2EEEvNS_4cuda6detail10TensorInfoIT_T1_EESB_SB_SB_SB_SA_SA_.numbered_sgpr, 74
	.set _ZN2at6native12_GLOBAL__N_16kernel17gru_cell_backwardIN3c104HalfEflLi2EEEvNS_4cuda6detail10TensorInfoIT_T1_EESB_SB_SB_SB_SA_SA_.num_named_barrier, 0
	.set _ZN2at6native12_GLOBAL__N_16kernel17gru_cell_backwardIN3c104HalfEflLi2EEEvNS_4cuda6detail10TensorInfoIT_T1_EESB_SB_SB_SB_SA_SA_.private_seg_size, 0
	.set _ZN2at6native12_GLOBAL__N_16kernel17gru_cell_backwardIN3c104HalfEflLi2EEEvNS_4cuda6detail10TensorInfoIT_T1_EESB_SB_SB_SB_SA_SA_.uses_vcc, 1
	.set _ZN2at6native12_GLOBAL__N_16kernel17gru_cell_backwardIN3c104HalfEflLi2EEEvNS_4cuda6detail10TensorInfoIT_T1_EESB_SB_SB_SB_SA_SA_.uses_flat_scratch, 0
	.set _ZN2at6native12_GLOBAL__N_16kernel17gru_cell_backwardIN3c104HalfEflLi2EEEvNS_4cuda6detail10TensorInfoIT_T1_EESB_SB_SB_SB_SA_SA_.has_dyn_sized_stack, 0
	.set _ZN2at6native12_GLOBAL__N_16kernel17gru_cell_backwardIN3c104HalfEflLi2EEEvNS_4cuda6detail10TensorInfoIT_T1_EESB_SB_SB_SB_SA_SA_.has_recursion, 0
	.set _ZN2at6native12_GLOBAL__N_16kernel17gru_cell_backwardIN3c104HalfEflLi2EEEvNS_4cuda6detail10TensorInfoIT_T1_EESB_SB_SB_SB_SA_SA_.has_indirect_call, 0
	.section	.AMDGPU.csdata,"",@progbits
; Kernel info:
; codeLenInByte = 17192
; TotalNumSgprs: 76
; NumVgprs: 39
; ScratchSize: 0
; MemoryBound: 0
; FloatMode: 240
; IeeeMode: 1
; LDSByteSize: 0 bytes/workgroup (compile time only)
; SGPRBlocks: 0
; VGPRBlocks: 4
; NumSGPRsForWavesPerEU: 76
; NumVGPRsForWavesPerEU: 39
; Occupancy: 16
; WaveLimiterHint : 1
; COMPUTE_PGM_RSRC2:SCRATCH_EN: 0
; COMPUTE_PGM_RSRC2:USER_SGPR: 2
; COMPUTE_PGM_RSRC2:TRAP_HANDLER: 0
; COMPUTE_PGM_RSRC2:TGID_X_EN: 1
; COMPUTE_PGM_RSRC2:TGID_Y_EN: 0
; COMPUTE_PGM_RSRC2:TGID_Z_EN: 0
; COMPUTE_PGM_RSRC2:TIDIG_COMP_CNT: 0
	.section	.text._ZN2at6native12_GLOBAL__N_16kernel17gru_cell_backwardIN3c108BFloat16EfiLi1EEEvNS_4cuda6detail10TensorInfoIT_T1_EESB_SB_SB_SB_SA_SA_,"axG",@progbits,_ZN2at6native12_GLOBAL__N_16kernel17gru_cell_backwardIN3c108BFloat16EfiLi1EEEvNS_4cuda6detail10TensorInfoIT_T1_EESB_SB_SB_SB_SA_SA_,comdat
	.globl	_ZN2at6native12_GLOBAL__N_16kernel17gru_cell_backwardIN3c108BFloat16EfiLi1EEEvNS_4cuda6detail10TensorInfoIT_T1_EESB_SB_SB_SB_SA_SA_ ; -- Begin function _ZN2at6native12_GLOBAL__N_16kernel17gru_cell_backwardIN3c108BFloat16EfiLi1EEEvNS_4cuda6detail10TensorInfoIT_T1_EESB_SB_SB_SB_SA_SA_
	.p2align	8
	.type	_ZN2at6native12_GLOBAL__N_16kernel17gru_cell_backwardIN3c108BFloat16EfiLi1EEEvNS_4cuda6detail10TensorInfoIT_T1_EESB_SB_SB_SB_SA_SA_,@function
_ZN2at6native12_GLOBAL__N_16kernel17gru_cell_backwardIN3c108BFloat16EfiLi1EEEvNS_4cuda6detail10TensorInfoIT_T1_EESB_SB_SB_SB_SA_SA_: ; @_ZN2at6native12_GLOBAL__N_16kernel17gru_cell_backwardIN3c108BFloat16EfiLi1EEEvNS_4cuda6detail10TensorInfoIT_T1_EESB_SB_SB_SB_SA_SA_
; %bb.0:
	s_clause 0x1
	s_load_b32 s4, s[0:1], 0x44c
	s_load_b64 s[2:3], s[0:1], 0x438
	s_wait_kmcnt 0x0
	s_and_b32 s21, s4, 0xffff
	s_mov_b32 s4, exec_lo
	v_mad_co_u64_u32 v[0:1], null, ttmp9, s21, v[0:1]
	s_delay_alu instid0(VALU_DEP_1)
	v_cmpx_gt_i32_e64 s3, v0
	s_cbranch_execz .LBB60_3
; %bb.1:
	s_abs_i32 s14, s2
	s_add_nc_u64 s[8:9], s[0:1], 0x440
	s_cvt_f32_u32 s4, s14
	s_sub_co_i32 s25, 0, s14
	s_ashr_i32 s17, s2, 31
	s_mov_b32 s18, 0
	v_rcp_iflag_f32_e32 v1, s4
	s_clause 0x3
	s_load_b64 s[4:5], s[0:1], 0x1b0
	s_load_b32 s22, s[0:1], 0x21c
	s_load_b64 s[6:7], s[0:1], 0x288
	s_load_b32 s24, s[0:1], 0x2f4
	s_load_b32 s23, s[8:9], 0x0
	s_clause 0x5
	s_load_b64 s[8:9], s[0:1], 0x0
	s_load_b32 s15, s[0:1], 0x6c
	s_load_b64 s[10:11], s[0:1], 0xd8
	s_load_b32 s16, s[0:1], 0x144
	;; [unrolled: 2-line block ×3, first 2 shown]
	s_lshl_b32 s19, s2, 2
	s_lshl_b32 s20, s2, 1
	v_readfirstlane_b32 s0, v1
	s_wait_kmcnt 0x0
	v_mul_lo_u32 v1, v0, s22
	v_mul_lo_u32 v3, v0, s24
	s_mul_f32 s0, s0, 0x4f7ffffe
	s_mul_i32 s21, s23, s21
	s_wait_alu 0xfffe
	s_mul_i32 s22, s21, s22
	s_cvt_u32_f32 s0, s0
	s_mul_i32 s24, s21, s24
	s_wait_alu 0xfffe
	s_delay_alu instid0(SALU_CYCLE_1)
	s_mul_i32 s25, s25, s0
	s_wait_alu 0xfffe
	s_mul_hi_u32 s23, s0, s25
	s_wait_alu 0xfffe
	s_add_co_i32 s23, s0, s23
.LBB60_2:                               ; =>This Inner Loop Header: Depth=1
	v_sub_nc_u32_e32 v4, 0, v0
	v_ashrrev_i32_e32 v5, 31, v0
	v_ashrrev_i32_e32 v2, 31, v1
	s_delay_alu instid0(VALU_DEP_3) | instskip(NEXT) | instid1(VALU_DEP_3)
	v_max_i32_e32 v6, v0, v4
	v_xor_b32_e32 v14, s17, v5
	s_delay_alu instid0(VALU_DEP_3) | instskip(SKIP_1) | instid1(VALU_DEP_3)
	v_lshlrev_b64_e32 v[4:5], 1, v[1:2]
	s_wait_alu 0xfffe
	v_mul_hi_u32 v2, v6, s23
	s_delay_alu instid0(VALU_DEP_2) | instskip(SKIP_1) | instid1(VALU_DEP_3)
	v_add_co_u32 v4, vcc_lo, s4, v4
	s_wait_alu 0xfffd
	v_add_co_ci_u32_e64 v5, null, s5, v5, vcc_lo
	global_load_u16 v19, v[4:5], off
	v_mul_lo_u32 v4, v2, s14
	v_add_nc_u32_e32 v5, 1, v2
	s_delay_alu instid0(VALU_DEP_2) | instskip(NEXT) | instid1(VALU_DEP_1)
	v_sub_nc_u32_e32 v4, v6, v4
	v_subrev_nc_u32_e32 v6, s14, v4
	v_cmp_le_u32_e32 vcc_lo, s14, v4
	s_wait_alu 0xfffd
	v_dual_cndmask_b32 v2, v2, v5 :: v_dual_lshlrev_b32 v7, 2, v14
	s_delay_alu instid0(VALU_DEP_3) | instskip(NEXT) | instid1(VALU_DEP_2)
	v_cndmask_b32_e32 v4, v4, v6, vcc_lo
	v_add_nc_u32_e32 v5, 1, v2
	s_delay_alu instid0(VALU_DEP_2) | instskip(SKIP_1) | instid1(VALU_DEP_2)
	v_cmp_le_u32_e32 vcc_lo, s14, v4
	s_wait_alu 0xfffd
	v_cndmask_b32_e32 v2, v2, v5, vcc_lo
	s_delay_alu instid0(VALU_DEP_1) | instskip(NEXT) | instid1(VALU_DEP_1)
	v_xor_b32_e32 v2, v2, v14
	v_lshlrev_b32_e32 v4, 2, v2
	v_sub_nc_u32_e32 v15, v2, v14
	v_lshlrev_b32_e32 v2, 1, v2
	s_delay_alu instid0(VALU_DEP_3) | instskip(NEXT) | instid1(VALU_DEP_3)
	v_sub_nc_u32_e32 v6, v4, v7
	v_mad_co_u64_u32 v[4:5], null, s19, v15, v[0:1]
	s_delay_alu instid0(VALU_DEP_2)
	v_or_b32_e32 v5, 1, v6
	v_or_b32_e32 v8, 2, v6
	;; [unrolled: 1-line block ×3, first 2 shown]
	v_add_nc_u32_e32 v10, 4, v6
	v_mul_lo_u32 v4, v4, s1
	v_mad_co_u64_u32 v[6:7], null, s2, v5, v[0:1]
	v_mad_co_u64_u32 v[7:8], null, s2, v8, v[0:1]
	;; [unrolled: 1-line block ×4, first 2 shown]
	v_ashrrev_i32_e32 v5, 31, v4
	v_mul_lo_u32 v6, v6, s1
	v_mul_lo_u32 v10, v7, s1
	v_add_nc_u32_e32 v1, s22, v1
	v_mul_lo_u32 v8, v8, s1
	v_lshlrev_b64_e32 v[4:5], 1, v[4:5]
	v_mul_lo_u32 v12, v9, s1
	v_ashrrev_i32_e32 v7, 31, v6
	v_ashrrev_i32_e32 v11, 31, v10
	s_delay_alu instid0(VALU_DEP_4) | instskip(SKIP_2) | instid1(VALU_DEP_4)
	v_add_co_u32 v4, vcc_lo, s12, v4
	v_ashrrev_i32_e32 v9, 31, v8
	v_ashrrev_i32_e32 v13, 31, v12
	v_lshlrev_b64_e32 v[10:11], 1, v[10:11]
	s_wait_alu 0xfffd
	v_add_co_ci_u32_e64 v5, null, s13, v5, vcc_lo
	v_lshlrev_b64_e32 v[8:9], 1, v[8:9]
	v_lshlrev_b64_e32 v[12:13], 1, v[12:13]
	;; [unrolled: 1-line block ×3, first 2 shown]
	v_add_co_u32 v10, vcc_lo, s12, v10
	s_wait_alu 0xfffd
	v_add_co_ci_u32_e64 v11, null, s13, v11, vcc_lo
	v_add_co_u32 v8, vcc_lo, s12, v8
	s_wait_alu 0xfffd
	v_add_co_ci_u32_e64 v9, null, s13, v9, vcc_lo
	;; [unrolled: 3-line block ×4, first 2 shown]
	s_clause 0x4
	global_load_u16 v20, v[12:13], off
	global_load_u16 v21, v[10:11], off
	;; [unrolled: 1-line block ×5, first 2 shown]
	v_lshlrev_b32_e32 v8, 1, v14
	v_mad_co_u64_u32 v[6:7], null, s20, v15, v[0:1]
	v_ashrrev_i32_e32 v4, 31, v3
	s_delay_alu instid0(VALU_DEP_3) | instskip(NEXT) | instid1(VALU_DEP_2)
	v_sub_nc_u32_e32 v2, v2, v8
	v_lshlrev_b64_e32 v[4:5], 1, v[3:4]
	s_delay_alu instid0(VALU_DEP_4) | instskip(NEXT) | instid1(VALU_DEP_3)
	v_mul_lo_u32 v7, v6, s15
	v_or_b32_e32 v8, 1, v2
	v_add_nc_u32_e32 v2, 2, v2
	v_mul_lo_u32 v9, v6, s16
	v_add_nc_u32_e32 v3, s24, v3
	v_add_co_u32 v4, vcc_lo, s6, v4
	v_mad_co_u64_u32 v[11:12], null, s2, v8, v[0:1]
	v_mad_co_u64_u32 v[12:13], null, s2, v2, v[0:1]
	v_ashrrev_i32_e32 v8, 31, v7
	v_ashrrev_i32_e32 v10, 31, v9
	s_wait_alu 0xfffd
	v_add_co_ci_u32_e64 v5, null, s7, v5, vcc_lo
	v_mul_lo_u32 v6, v11, s15
	v_mul_lo_u32 v11, v11, s16
	;; [unrolled: 1-line block ×4, first 2 shown]
	v_lshlrev_b64_e32 v[17:18], 1, v[7:8]
	v_lshlrev_b64_e32 v[8:9], 1, v[9:10]
	v_ashrrev_i32_e32 v7, 31, v6
	v_ashrrev_i32_e32 v12, 31, v11
	v_ashrrev_i32_e32 v14, 31, v13
	v_ashrrev_i32_e32 v16, 31, v15
	s_delay_alu instid0(VALU_DEP_4) | instskip(NEXT) | instid1(VALU_DEP_4)
	v_lshlrev_b64_e32 v[6:7], 1, v[6:7]
	v_lshlrev_b64_e32 v[10:11], 1, v[11:12]
	s_delay_alu instid0(VALU_DEP_4) | instskip(NEXT) | instid1(VALU_DEP_4)
	v_lshlrev_b64_e32 v[13:14], 1, v[13:14]
	v_lshlrev_b64_e32 v[15:16], 1, v[15:16]
	s_wait_loadcnt 0x5
	v_lshlrev_b32_e32 v2, 16, v19
	s_wait_loadcnt 0x2
	v_lshlrev_b32_e32 v19, 16, v22
	;; [unrolled: 2-line block ×3, first 2 shown]
	s_delay_alu instid0(VALU_DEP_1) | instskip(NEXT) | instid1(VALU_DEP_1)
	v_dual_sub_f32 v25, 1.0, v22 :: v_dual_add_nc_u32 v0, s21, v0
	v_cmp_le_i32_e32 vcc_lo, s3, v0
	s_or_b32 s18, vcc_lo, s18
	v_add_co_u32 v17, vcc_lo, s8, v17
	s_wait_alu 0xfffd
	v_add_co_ci_u32_e64 v18, null, s9, v18, vcc_lo
	v_add_co_u32 v8, vcc_lo, s10, v8
	s_wait_alu 0xfffd
	v_add_co_ci_u32_e64 v9, null, s11, v9, vcc_lo
	;; [unrolled: 3-line block ×6, first 2 shown]
	v_lshlrev_b32_e32 v16, 16, v21
	v_lshlrev_b32_e32 v21, 16, v23
	s_delay_alu instid0(VALU_DEP_2) | instskip(NEXT) | instid1(VALU_DEP_2)
	v_sub_f32_e32 v19, v19, v16
	v_dual_sub_f32 v23, 1.0, v21 :: v_dual_mul_f32 v24, v21, v2
	s_delay_alu instid0(VALU_DEP_2) | instskip(SKIP_1) | instid1(VALU_DEP_3)
	v_mul_f32_e32 v19, v19, v2
	v_fma_f32 v16, -v16, v16, 1.0
	v_mul_f32_e32 v2, v23, v2
	s_delay_alu instid0(VALU_DEP_4) | instskip(SKIP_1) | instid1(VALU_DEP_3)
	v_bfe_u32 v26, v24, 16, 1
	v_cmp_o_f32_e32 vcc_lo, v24, v24
	v_dual_mul_f32 v19, v23, v19 :: v_dual_mul_f32 v2, v16, v2
	v_lshlrev_b32_e32 v20, 16, v20
	s_delay_alu instid0(VALU_DEP_4) | instskip(NEXT) | instid1(VALU_DEP_3)
	v_add3_u32 v16, v24, v26, 0x7fff
	v_mul_f32_e32 v19, v19, v21
	s_delay_alu instid0(VALU_DEP_4) | instskip(NEXT) | instid1(VALU_DEP_4)
	v_mul_f32_e32 v21, v2, v22
	v_mul_f32_e32 v20, v2, v20
	v_bfe_u32 v23, v2, 16, 1
	v_lshrrev_b32_e32 v16, 16, v16
	v_bfe_u32 v24, v19, 16, 1
	v_cmp_o_f32_e64 s0, v19, v19
	v_mul_f32_e32 v20, v25, v20
	v_add3_u32 v23, v2, v23, 0x7fff
	v_bfe_u32 v25, v21, 16, 1
	s_wait_alu 0xfffd
	v_cndmask_b32_e32 v16, 0x7fc0, v16, vcc_lo
	v_cmp_o_f32_e32 vcc_lo, v2, v2
	v_mul_f32_e32 v20, v20, v22
	v_add3_u32 v22, v19, v24, 0x7fff
	v_lshrrev_b32_e32 v23, 16, v23
	v_add3_u32 v2, v21, v25, 0x7fff
	s_delay_alu instid0(VALU_DEP_4) | instskip(NEXT) | instid1(VALU_DEP_4)
	v_bfe_u32 v24, v20, 16, 1
	v_lshrrev_b32_e32 v22, 16, v22
	s_wait_alu 0xfffd
	v_cndmask_b32_e32 v19, 0x7fc0, v23, vcc_lo
	v_lshrrev_b32_e32 v2, 16, v2
	v_cmp_o_f32_e32 vcc_lo, v21, v21
	v_add3_u32 v21, v20, v24, 0x7fff
	s_wait_alu 0xf1ff
	v_cndmask_b32_e64 v22, 0x7fc0, v22, s0
	s_wait_alu 0xfffd
	v_cndmask_b32_e32 v2, 0x7fc0, v2, vcc_lo
	v_lshrrev_b32_e32 v21, 16, v21
	v_cmp_o_f32_e32 vcc_lo, v20, v20
	s_wait_alu 0xfffd
	s_delay_alu instid0(VALU_DEP_2)
	v_cndmask_b32_e32 v20, 0x7fc0, v21, vcc_lo
	s_clause 0x2
	global_store_b16 v[17:18], v20, off
	global_store_b16 v[6:7], v22, off
	;; [unrolled: 1-line block ×3, first 2 shown]
	s_clause 0x2
	global_store_b16 v[8:9], v20, off
	global_store_b16 v[10:11], v22, off
	;; [unrolled: 1-line block ×4, first 2 shown]
	s_wait_alu 0xfffe
	s_and_not1_b32 exec_lo, exec_lo, s18
	s_cbranch_execnz .LBB60_2
.LBB60_3:
	s_endpgm
	.section	.rodata,"a",@progbits
	.p2align	6, 0x0
	.amdhsa_kernel _ZN2at6native12_GLOBAL__N_16kernel17gru_cell_backwardIN3c108BFloat16EfiLi1EEEvNS_4cuda6detail10TensorInfoIT_T1_EESB_SB_SB_SB_SA_SA_
		.amdhsa_group_segment_fixed_size 0
		.amdhsa_private_segment_fixed_size 0
		.amdhsa_kernarg_size 1344
		.amdhsa_user_sgpr_count 2
		.amdhsa_user_sgpr_dispatch_ptr 0
		.amdhsa_user_sgpr_queue_ptr 0
		.amdhsa_user_sgpr_kernarg_segment_ptr 1
		.amdhsa_user_sgpr_dispatch_id 0
		.amdhsa_user_sgpr_private_segment_size 0
		.amdhsa_wavefront_size32 1
		.amdhsa_uses_dynamic_stack 0
		.amdhsa_enable_private_segment 0
		.amdhsa_system_sgpr_workgroup_id_x 1
		.amdhsa_system_sgpr_workgroup_id_y 0
		.amdhsa_system_sgpr_workgroup_id_z 0
		.amdhsa_system_sgpr_workgroup_info 0
		.amdhsa_system_vgpr_workitem_id 0
		.amdhsa_next_free_vgpr 27
		.amdhsa_next_free_sgpr 26
		.amdhsa_reserve_vcc 1
		.amdhsa_float_round_mode_32 0
		.amdhsa_float_round_mode_16_64 0
		.amdhsa_float_denorm_mode_32 3
		.amdhsa_float_denorm_mode_16_64 3
		.amdhsa_fp16_overflow 0
		.amdhsa_workgroup_processor_mode 1
		.amdhsa_memory_ordered 1
		.amdhsa_forward_progress 1
		.amdhsa_inst_pref_size 12
		.amdhsa_round_robin_scheduling 0
		.amdhsa_exception_fp_ieee_invalid_op 0
		.amdhsa_exception_fp_denorm_src 0
		.amdhsa_exception_fp_ieee_div_zero 0
		.amdhsa_exception_fp_ieee_overflow 0
		.amdhsa_exception_fp_ieee_underflow 0
		.amdhsa_exception_fp_ieee_inexact 0
		.amdhsa_exception_int_div_zero 0
	.end_amdhsa_kernel
	.section	.text._ZN2at6native12_GLOBAL__N_16kernel17gru_cell_backwardIN3c108BFloat16EfiLi1EEEvNS_4cuda6detail10TensorInfoIT_T1_EESB_SB_SB_SB_SA_SA_,"axG",@progbits,_ZN2at6native12_GLOBAL__N_16kernel17gru_cell_backwardIN3c108BFloat16EfiLi1EEEvNS_4cuda6detail10TensorInfoIT_T1_EESB_SB_SB_SB_SA_SA_,comdat
.Lfunc_end60:
	.size	_ZN2at6native12_GLOBAL__N_16kernel17gru_cell_backwardIN3c108BFloat16EfiLi1EEEvNS_4cuda6detail10TensorInfoIT_T1_EESB_SB_SB_SB_SA_SA_, .Lfunc_end60-_ZN2at6native12_GLOBAL__N_16kernel17gru_cell_backwardIN3c108BFloat16EfiLi1EEEvNS_4cuda6detail10TensorInfoIT_T1_EESB_SB_SB_SB_SA_SA_
                                        ; -- End function
	.set _ZN2at6native12_GLOBAL__N_16kernel17gru_cell_backwardIN3c108BFloat16EfiLi1EEEvNS_4cuda6detail10TensorInfoIT_T1_EESB_SB_SB_SB_SA_SA_.num_vgpr, 27
	.set _ZN2at6native12_GLOBAL__N_16kernel17gru_cell_backwardIN3c108BFloat16EfiLi1EEEvNS_4cuda6detail10TensorInfoIT_T1_EESB_SB_SB_SB_SA_SA_.num_agpr, 0
	.set _ZN2at6native12_GLOBAL__N_16kernel17gru_cell_backwardIN3c108BFloat16EfiLi1EEEvNS_4cuda6detail10TensorInfoIT_T1_EESB_SB_SB_SB_SA_SA_.numbered_sgpr, 26
	.set _ZN2at6native12_GLOBAL__N_16kernel17gru_cell_backwardIN3c108BFloat16EfiLi1EEEvNS_4cuda6detail10TensorInfoIT_T1_EESB_SB_SB_SB_SA_SA_.num_named_barrier, 0
	.set _ZN2at6native12_GLOBAL__N_16kernel17gru_cell_backwardIN3c108BFloat16EfiLi1EEEvNS_4cuda6detail10TensorInfoIT_T1_EESB_SB_SB_SB_SA_SA_.private_seg_size, 0
	.set _ZN2at6native12_GLOBAL__N_16kernel17gru_cell_backwardIN3c108BFloat16EfiLi1EEEvNS_4cuda6detail10TensorInfoIT_T1_EESB_SB_SB_SB_SA_SA_.uses_vcc, 1
	.set _ZN2at6native12_GLOBAL__N_16kernel17gru_cell_backwardIN3c108BFloat16EfiLi1EEEvNS_4cuda6detail10TensorInfoIT_T1_EESB_SB_SB_SB_SA_SA_.uses_flat_scratch, 0
	.set _ZN2at6native12_GLOBAL__N_16kernel17gru_cell_backwardIN3c108BFloat16EfiLi1EEEvNS_4cuda6detail10TensorInfoIT_T1_EESB_SB_SB_SB_SA_SA_.has_dyn_sized_stack, 0
	.set _ZN2at6native12_GLOBAL__N_16kernel17gru_cell_backwardIN3c108BFloat16EfiLi1EEEvNS_4cuda6detail10TensorInfoIT_T1_EESB_SB_SB_SB_SA_SA_.has_recursion, 0
	.set _ZN2at6native12_GLOBAL__N_16kernel17gru_cell_backwardIN3c108BFloat16EfiLi1EEEvNS_4cuda6detail10TensorInfoIT_T1_EESB_SB_SB_SB_SA_SA_.has_indirect_call, 0
	.section	.AMDGPU.csdata,"",@progbits
; Kernel info:
; codeLenInByte = 1524
; TotalNumSgprs: 28
; NumVgprs: 27
; ScratchSize: 0
; MemoryBound: 0
; FloatMode: 240
; IeeeMode: 1
; LDSByteSize: 0 bytes/workgroup (compile time only)
; SGPRBlocks: 0
; VGPRBlocks: 3
; NumSGPRsForWavesPerEU: 28
; NumVGPRsForWavesPerEU: 27
; Occupancy: 16
; WaveLimiterHint : 1
; COMPUTE_PGM_RSRC2:SCRATCH_EN: 0
; COMPUTE_PGM_RSRC2:USER_SGPR: 2
; COMPUTE_PGM_RSRC2:TRAP_HANDLER: 0
; COMPUTE_PGM_RSRC2:TGID_X_EN: 1
; COMPUTE_PGM_RSRC2:TGID_Y_EN: 0
; COMPUTE_PGM_RSRC2:TGID_Z_EN: 0
; COMPUTE_PGM_RSRC2:TIDIG_COMP_CNT: 0
	.section	.text._ZN2at6native12_GLOBAL__N_16kernel17gru_cell_backwardIN3c108BFloat16EfiLi2EEEvNS_4cuda6detail10TensorInfoIT_T1_EESB_SB_SB_SB_SA_SA_,"axG",@progbits,_ZN2at6native12_GLOBAL__N_16kernel17gru_cell_backwardIN3c108BFloat16EfiLi2EEEvNS_4cuda6detail10TensorInfoIT_T1_EESB_SB_SB_SB_SA_SA_,comdat
	.globl	_ZN2at6native12_GLOBAL__N_16kernel17gru_cell_backwardIN3c108BFloat16EfiLi2EEEvNS_4cuda6detail10TensorInfoIT_T1_EESB_SB_SB_SB_SA_SA_ ; -- Begin function _ZN2at6native12_GLOBAL__N_16kernel17gru_cell_backwardIN3c108BFloat16EfiLi2EEEvNS_4cuda6detail10TensorInfoIT_T1_EESB_SB_SB_SB_SA_SA_
	.p2align	8
	.type	_ZN2at6native12_GLOBAL__N_16kernel17gru_cell_backwardIN3c108BFloat16EfiLi2EEEvNS_4cuda6detail10TensorInfoIT_T1_EESB_SB_SB_SB_SA_SA_,@function
_ZN2at6native12_GLOBAL__N_16kernel17gru_cell_backwardIN3c108BFloat16EfiLi2EEEvNS_4cuda6detail10TensorInfoIT_T1_EESB_SB_SB_SB_SA_SA_: ; @_ZN2at6native12_GLOBAL__N_16kernel17gru_cell_backwardIN3c108BFloat16EfiLi2EEEvNS_4cuda6detail10TensorInfoIT_T1_EESB_SB_SB_SB_SA_SA_
; %bb.0:
	s_clause 0x1
	s_load_b32 s2, s[0:1], 0x44c
	s_load_b64 s[4:5], s[0:1], 0x438
	s_mov_b32 s3, exec_lo
	s_wait_kmcnt 0x0
	s_and_b32 s2, s2, 0xffff
	s_delay_alu instid0(SALU_CYCLE_1) | instskip(NEXT) | instid1(VALU_DEP_1)
	v_mad_co_u64_u32 v[0:1], null, ttmp9, s2, v[0:1]
	v_cmpx_gt_i32_e64 s5, v0
	s_cbranch_execz .LBB61_3
; %bb.1:
	s_clause 0x4
	s_load_b32 s3, s[0:1], 0x36c
	s_load_b32 s27, s[0:1], 0xe4
	s_load_b64 s[6:7], s[0:1], 0x144
	s_load_b64 s[8:9], s[0:1], 0x1b0
	s_load_b32 s51, s[0:1], 0x1bc
	s_abs_i32 s26, s4
	s_add_nc_u64 s[16:17], s[0:1], 0x440
	s_cvt_f32_u32 s18, s26
	s_clause 0x4
	s_load_b64 s[10:11], s[0:1], 0x0
	s_load_b32 s28, s[0:1], 0xc
	s_load_b64 s[12:13], s[0:1], 0x6c
	s_load_b64 s[14:15], s[0:1], 0xd8
	s_load_b32 s52, s[0:1], 0x294
	s_load_b32 s38, s[16:17], 0x0
	s_ashr_i32 s30, s4, 31
	s_mov_b32 s31, 0
	v_rcp_iflag_f32_e32 v1, s18
	s_clause 0x4
	s_load_b64 s[16:17], s[0:1], 0x21c
	s_load_b64 s[18:19], s[0:1], 0x288
	;; [unrolled: 1-line block ×5, first 2 shown]
	s_sub_co_i32 s1, 0, s26
	s_lshl_b32 s49, s4, 2
	s_lshl_b32 s50, s4, 1
	v_readfirstlane_b32 s39, v1
	s_wait_kmcnt 0x0
	s_abs_i32 s36, s27
	s_abs_i32 s29, s3
	s_abs_i32 s34, s51
	s_cvt_f32_u32 s0, s29
	s_abs_i32 s35, s28
	s_mul_f32 s39, s39, 0x4f7ffffe
	s_cvt_f32_u32 s40, s35
	s_wait_alu 0xfffe
	v_rcp_iflag_f32_e32 v1, s0
	s_cvt_f32_u32 s0, s34
	s_cvt_u32_f32 s39, s39
	s_abs_i32 s37, s52
	s_cvt_f32_u32 s41, s36
	s_wait_alu 0xfffe
	v_rcp_iflag_f32_e32 v2, s0
	s_mul_i32 s1, s1, s39
	s_mul_i32 s38, s38, s2
	s_sub_co_i32 s2, 0, s29
	s_wait_alu 0xfffe
	s_mul_hi_u32 s1, s39, s1
	v_readfirstlane_b32 s0, v1
	v_rcp_iflag_f32_e32 v1, s40
	s_cvt_f32_u32 s42, s37
	s_wait_alu 0xfffe
	s_add_co_i32 s39, s39, s1
	s_sub_co_i32 s46, 0, s37
	s_mul_f32 s0, s0, 0x4f7ffffe
	v_readfirstlane_b32 s40, v2
	v_rcp_iflag_f32_e32 v2, s42
	s_ashr_i32 s33, s3, 31
	s_wait_alu 0xfffe
	s_cvt_u32_f32 s0, s0
	s_mul_f32 s1, s40, 0x4f7ffffe
	v_readfirstlane_b32 s43, v1
	s_wait_alu 0xfffe
	s_mul_i32 s2, s2, s0
	v_rcp_iflag_f32_e32 v1, s41
	s_wait_alu 0xfffe
	s_mul_hi_u32 s2, s0, s2
	s_ashr_i32 s41, s51, 31
	s_wait_alu 0xfffe
	s_add_co_i32 s40, s0, s2
	s_cvt_u32_f32 s0, s1
	s_sub_co_i32 s1, 0, s34
	s_mul_f32 s2, s43, 0x4f7ffffe
	s_sub_co_i32 s43, 0, s35
	s_wait_alu 0xfffe
	s_mul_i32 s1, s1, s0
	s_sub_co_i32 s51, 0, s51
	s_wait_alu 0xfffe
	s_mul_hi_u32 s1, s0, s1
	v_readfirstlane_b32 s44, v1
	s_cvt_u32_f32 s2, s2
	s_wait_alu 0xfffe
	s_add_co_i32 s42, s0, s1
	v_readfirstlane_b32 s0, v2
	s_mul_i32 s43, s43, s2
	s_mul_f32 s45, s44, 0x4f7ffffe
	s_wait_alu 0xfffe
	s_mul_hi_u32 s1, s2, s43
	s_mul_f32 s0, s0, 0x4f7ffffe
	s_wait_alu 0xfffe
	s_add_co_i32 s44, s2, s1
	s_cvt_u32_f32 s1, s45
	s_sub_co_i32 s2, 0, s36
	s_cvt_u32_f32 s0, s0
	s_ashr_i32 s43, s28, 31
	s_wait_alu 0xfffe
	s_mul_i32 s2, s2, s1
	s_ashr_i32 s45, s27, 31
	s_wait_alu 0xfffe
	s_mul_hi_u32 s2, s1, s2
	s_mul_i32 s47, s46, s0
	s_wait_alu 0xfffe
	s_add_co_i32 s46, s1, s2
	s_mul_hi_u32 s1, s0, s47
	s_ashr_i32 s47, s52, 31
	s_wait_alu 0xfffe
	s_add_co_i32 s48, s0, s1
	s_sub_co_i32 s52, 0, s52
.LBB61_2:                               ; =>This Inner Loop Header: Depth=1
	v_sub_nc_u32_e32 v1, 0, v0
	v_ashrrev_i32_e32 v2, 31, v0
	s_delay_alu instid0(VALU_DEP_2) | instskip(NEXT) | instid1(VALU_DEP_2)
	v_max_i32_e32 v1, v0, v1
	v_xor_b32_e32 v3, s30, v2
	v_xor_b32_e32 v4, s41, v2
	;; [unrolled: 1-line block ×3, first 2 shown]
	s_delay_alu instid0(VALU_DEP_4) | instskip(SKIP_1) | instid1(VALU_DEP_2)
	v_mul_hi_u32 v5, v1, s39
	v_mul_hi_u32 v6, v1, s42
	v_mul_lo_u32 v8, v5, s26
	s_delay_alu instid0(VALU_DEP_2) | instskip(SKIP_2) | instid1(VALU_DEP_4)
	v_mul_lo_u32 v9, v6, s34
	v_add_nc_u32_e32 v10, 1, v5
	v_add_nc_u32_e32 v11, 1, v6
	v_sub_nc_u32_e32 v8, v1, v8
	s_delay_alu instid0(VALU_DEP_4) | instskip(NEXT) | instid1(VALU_DEP_2)
	v_sub_nc_u32_e32 v9, v1, v9
	v_subrev_nc_u32_e32 v12, s26, v8
	v_cmp_le_u32_e32 vcc_lo, s26, v8
	s_delay_alu instid0(VALU_DEP_3) | instskip(SKIP_1) | instid1(VALU_DEP_3)
	v_cmp_le_u32_e64 s0, s34, v9
	s_wait_alu 0xfffd
	v_dual_cndmask_b32 v8, v8, v12 :: v_dual_lshlrev_b32 v7, 2, v3
	v_cndmask_b32_e32 v5, v5, v10, vcc_lo
	v_subrev_nc_u32_e32 v10, s34, v9
	s_wait_alu 0xf1ff
	v_cndmask_b32_e64 v6, v6, v11, s0
	v_cmp_le_u32_e32 vcc_lo, s26, v8
	s_delay_alu instid0(VALU_DEP_3) | instskip(NEXT) | instid1(VALU_DEP_3)
	v_cndmask_b32_e64 v9, v9, v10, s0
	v_add_nc_u32_e32 v10, 1, v6
	v_add_nc_u32_e32 v11, 1, v5
	s_wait_alu 0xfffd
	s_delay_alu instid0(VALU_DEP_1) | instskip(SKIP_1) | instid1(VALU_DEP_2)
	v_cndmask_b32_e32 v5, v5, v11, vcc_lo
	v_cmp_le_u32_e32 vcc_lo, s34, v9
	v_xor_b32_e32 v15, v5, v3
	s_wait_alu 0xfffd
	v_cndmask_b32_e32 v6, v6, v10, vcc_lo
	s_delay_alu instid0(VALU_DEP_2) | instskip(NEXT) | instid1(VALU_DEP_2)
	v_sub_nc_u32_e32 v16, v15, v3
	v_xor_b32_e32 v5, v6, v4
	v_lshlrev_b32_e32 v6, 2, v15
	v_lshlrev_b32_e32 v3, 1, v3
	s_delay_alu instid0(VALU_DEP_4) | instskip(NEXT) | instid1(VALU_DEP_4)
	v_mul_lo_u32 v9, s49, v16
	v_sub_nc_u32_e32 v8, v5, v4
	s_delay_alu instid0(VALU_DEP_4) | instskip(NEXT) | instid1(VALU_DEP_2)
	v_sub_nc_u32_e32 v6, v6, v7
	v_mad_co_u64_u32 v[4:5], null, s51, v8, v[0:1]
	s_delay_alu instid0(VALU_DEP_2) | instskip(SKIP_3) | instid1(VALU_DEP_4)
	v_or_b32_e32 v5, 1, v6
	v_add_nc_u32_e32 v11, v0, v9
	v_or_b32_e32 v7, 2, v6
	v_or_b32_e32 v10, 3, v6
	v_mul_lo_u32 v12, s4, v5
	v_mul_lo_u32 v4, v4, s17
	v_ashrrev_i32_e32 v11, 31, v11
	v_mul_lo_u32 v7, s4, v7
	v_mul_lo_u32 v10, s4, v10
	v_add_nc_u32_e32 v13, v0, v12
	v_mad_co_u64_u32 v[4:5], null, v8, s16, v[4:5]
	v_add3_u32 v5, v11, v9, v0
	v_xor_b32_e32 v8, s33, v11
	s_delay_alu instid0(VALU_DEP_4)
	v_ashrrev_i32_e32 v13, 31, v13
	v_add_nc_u32_e32 v14, v0, v7
	v_add_nc_u32_e32 v17, v0, v10
	v_xor_b32_e32 v11, v5, v11
	v_ashrrev_i32_e32 v5, 31, v4
	v_add3_u32 v21, v13, v12, v0
	v_xor_b32_e32 v20, s33, v13
	v_ashrrev_i32_e32 v14, 31, v14
	v_mul_hi_u32 v19, v11, s40
	v_lshlrev_b64_e32 v[4:5], 1, v[4:5]
	v_xor_b32_e32 v13, v21, v13
	v_ashrrev_i32_e32 v17, 31, v17
	v_add3_u32 v23, v14, v7, v0
	v_xor_b32_e32 v22, s33, v14
	v_add_co_u32 v4, vcc_lo, s8, v4
	v_mul_lo_u32 v21, v19, s29
	s_wait_alu 0xfffd
	v_add_co_ci_u32_e64 v5, null, s9, v5, vcc_lo
	v_xor_b32_e32 v14, v23, v14
	v_add_nc_u32_e32 v23, 1, v19
	v_add3_u32 v25, v17, v10, v0
	global_load_u16 v4, v[4:5], off
	v_xor_b32_e32 v24, s33, v17
	v_sub_nc_u32_e32 v5, v11, v21
	v_xor_b32_e32 v17, v25, v17
	v_mul_hi_u32 v25, v13, s40
	s_delay_alu instid0(VALU_DEP_3)
	v_subrev_nc_u32_e32 v36, s29, v5
	v_cmp_le_u32_e32 vcc_lo, s29, v5
	v_add_nc_u32_e32 v6, 4, v6
	v_mul_hi_u32 v28, v17, s40
	s_wait_alu 0xfffd
	v_cndmask_b32_e32 v5, v5, v36, vcc_lo
	s_delay_alu instid0(VALU_DEP_3)
	v_mul_lo_u32 v6, s4, v6
	v_cndmask_b32_e32 v19, v19, v23, vcc_lo
	v_mul_lo_u32 v11, v25, s29
	v_add_nc_u32_e32 v21, 1, v25
	v_cmp_le_u32_e32 vcc_lo, s29, v5
	v_mul_lo_u32 v32, v28, s29
	v_add_nc_u32_e32 v23, 1, v19
	v_add_nc_u32_e32 v33, 1, v28
	;; [unrolled: 1-line block ×3, first 2 shown]
	v_sub_nc_u32_e32 v11, v13, v11
	s_wait_alu 0xfffd
	v_cndmask_b32_e32 v5, v19, v23, vcc_lo
	s_delay_alu instid0(VALU_DEP_3) | instskip(NEXT) | instid1(VALU_DEP_3)
	v_ashrrev_i32_e32 v18, 31, v18
	v_cmp_le_u32_e32 vcc_lo, s29, v11
	v_subrev_nc_u32_e32 v19, s29, v11
	s_delay_alu instid0(VALU_DEP_4) | instskip(NEXT) | instid1(VALU_DEP_4)
	v_xor_b32_e32 v5, v5, v8
	v_add3_u32 v27, v18, v6, v0
	v_xor_b32_e32 v26, s33, v18
	s_wait_alu 0xfffd
	v_cndmask_b32_e32 v11, v11, v19, vcc_lo
	v_sub_nc_u32_e32 v8, v5, v8
	v_xor_b32_e32 v18, v27, v18
	v_mul_hi_u32 v27, v14, s40
	s_delay_alu instid0(VALU_DEP_2) | instskip(NEXT) | instid1(VALU_DEP_2)
	v_mul_hi_u32 v29, v18, s40
	v_mul_lo_u32 v30, v27, s29
	v_add_nc_u32_e32 v31, 1, v27
	s_delay_alu instid0(VALU_DEP_3) | instskip(SKIP_1) | instid1(VALU_DEP_4)
	v_mul_lo_u32 v34, v29, s29
	v_add_nc_u32_e32 v35, 1, v29
	v_sub_nc_u32_e32 v13, v14, v30
	v_sub_nc_u32_e32 v14, v17, v32
	s_delay_alu instid0(VALU_DEP_4) | instskip(SKIP_1) | instid1(VALU_DEP_4)
	v_sub_nc_u32_e32 v17, v18, v34
	v_cndmask_b32_e32 v18, v25, v21, vcc_lo
	v_cmp_le_u32_e64 s0, s29, v13
	v_subrev_nc_u32_e32 v23, s29, v13
	v_cmp_le_u32_e64 s1, s29, v14
	v_cmp_le_u32_e64 s2, s29, v17
	v_add_nc_u32_e32 v19, 1, v18
	s_wait_alu 0xf1ff
	v_cndmask_b32_e64 v21, v27, v31, s0
	v_subrev_nc_u32_e32 v27, s29, v14
	v_cndmask_b32_e64 v13, v13, v23, s0
	v_cmp_le_u32_e32 vcc_lo, s29, v11
	v_cndmask_b32_e64 v25, v28, v33, s1
	v_cndmask_b32_e64 v28, v29, v35, s2
	v_subrev_nc_u32_e32 v29, s29, v17
	v_add_nc_u32_e32 v23, 1, v21
	v_cndmask_b32_e64 v14, v14, v27, s1
	s_wait_alu 0xfffd
	v_cndmask_b32_e32 v5, v18, v19, vcc_lo
	v_cmp_le_u32_e32 vcc_lo, s29, v13
	v_add_nc_u32_e32 v27, 1, v25
	v_cndmask_b32_e64 v17, v17, v29, s2
	v_add_nc_u32_e32 v29, 1, v28
	v_xor_b32_e32 v5, v5, v20
	s_wait_alu 0xfffd
	v_cndmask_b32_e32 v11, v21, v23, vcc_lo
	v_cmp_le_u32_e32 vcc_lo, s29, v14
	s_delay_alu instid0(VALU_DEP_3) | instskip(NEXT) | instid1(VALU_DEP_3)
	v_sub_nc_u32_e32 v18, v5, v20
	v_xor_b32_e32 v11, v11, v22
	s_wait_alu 0xfffd
	v_cndmask_b32_e32 v13, v25, v27, vcc_lo
	v_cmp_le_u32_e32 vcc_lo, s29, v17
	v_mul_lo_u32 v17, v8, s3
	v_sub_nc_u32_e32 v19, v11, v22
	s_delay_alu instid0(VALU_DEP_4) | instskip(SKIP_2) | instid1(VALU_DEP_3)
	v_xor_b32_e32 v13, v13, v24
	s_wait_alu 0xfffd
	v_cndmask_b32_e32 v14, v28, v29, vcc_lo
	v_mul_lo_u32 v11, v19, s3
	s_delay_alu instid0(VALU_DEP_3) | instskip(NEXT) | instid1(VALU_DEP_3)
	v_sub_nc_u32_e32 v13, v13, v24
	v_xor_b32_e32 v14, v14, v26
	v_sub_nc_u32_e32 v5, v9, v17
	v_mul_lo_u32 v9, v18, s3
	s_delay_alu instid0(VALU_DEP_3) | instskip(SKIP_1) | instid1(VALU_DEP_4)
	v_sub_nc_u32_e32 v20, v14, v26
	v_mul_lo_u32 v14, v13, s3
	v_add_nc_u32_e32 v5, v0, v5
	v_sub_nc_u32_e32 v7, v7, v11
	s_delay_alu instid0(VALU_DEP_4) | instskip(SKIP_1) | instid1(VALU_DEP_4)
	v_mul_lo_u32 v17, v20, s3
	v_sub_nc_u32_e32 v9, v12, v9
	v_mul_lo_u32 v5, v5, s25
	s_delay_alu instid0(VALU_DEP_4) | instskip(SKIP_1) | instid1(VALU_DEP_4)
	v_add_nc_u32_e32 v11, v0, v7
	v_sub_nc_u32_e32 v10, v10, v14
	v_add_nc_u32_e32 v9, v0, v9
	v_sub_nc_u32_e32 v6, v6, v17
	s_delay_alu instid0(VALU_DEP_3) | instskip(NEXT) | instid1(VALU_DEP_3)
	v_add_nc_u32_e32 v10, v0, v10
	v_mul_lo_u32 v7, v9, s25
	s_delay_alu instid0(VALU_DEP_3) | instskip(SKIP_3) | instid1(VALU_DEP_4)
	v_add_nc_u32_e32 v12, v0, v6
	v_mad_co_u64_u32 v[5:6], null, v8, s24, v[5:6]
	v_mul_lo_u32 v8, v11, s25
	v_mul_lo_u32 v9, v10, s25
	;; [unrolled: 1-line block ×3, first 2 shown]
	s_delay_alu instid0(VALU_DEP_4) | instskip(NEXT) | instid1(VALU_DEP_4)
	v_ashrrev_i32_e32 v6, 31, v5
	v_mad_co_u64_u32 v[11:12], null, v18, s24, v[7:8]
	s_delay_alu instid0(VALU_DEP_4) | instskip(NEXT) | instid1(VALU_DEP_4)
	v_mad_co_u64_u32 v[7:8], null, v19, s24, v[8:9]
	v_mad_co_u64_u32 v[13:14], null, v13, s24, v[9:10]
	s_delay_alu instid0(VALU_DEP_4) | instskip(NEXT) | instid1(VALU_DEP_4)
	v_lshlrev_b64_e32 v[5:6], 1, v[5:6]
	v_mad_co_u64_u32 v[9:10], null, v20, s24, v[10:11]
	s_delay_alu instid0(VALU_DEP_4) | instskip(SKIP_3) | instid1(VALU_DEP_4)
	v_ashrrev_i32_e32 v8, 31, v7
	v_ashrrev_i32_e32 v12, 31, v11
	;; [unrolled: 1-line block ×3, first 2 shown]
	v_add_co_u32 v5, vcc_lo, s22, v5
	v_lshlrev_b64_e32 v[7:8], 1, v[7:8]
	v_ashrrev_i32_e32 v10, 31, v9
	s_delay_alu instid0(VALU_DEP_4)
	v_lshlrev_b64_e32 v[13:14], 1, v[13:14]
	s_wait_alu 0xfffd
	v_add_co_ci_u32_e64 v6, null, s23, v6, vcc_lo
	v_lshlrev_b64_e32 v[11:12], 1, v[11:12]
	v_lshlrev_b64_e32 v[9:10], 1, v[9:10]
	v_add_co_u32 v7, vcc_lo, s22, v7
	s_wait_alu 0xfffd
	v_add_co_ci_u32_e64 v8, null, s23, v8, vcc_lo
	v_add_co_u32 v13, vcc_lo, s22, v13
	s_wait_alu 0xfffd
	v_add_co_ci_u32_e64 v14, null, s23, v14, vcc_lo
	;; [unrolled: 3-line block ×4, first 2 shown]
	s_clause 0x4
	global_load_u16 v18, v[9:10], off
	global_load_u16 v19, v[7:8], off
	;; [unrolled: 1-line block ×5, first 2 shown]
	v_mul_hi_u32 v5, v1, s48
	s_delay_alu instid0(VALU_DEP_1) | instskip(SKIP_1) | instid1(VALU_DEP_2)
	v_mul_lo_u32 v6, v5, s37
	v_add_nc_u32_e32 v7, 1, v5
	v_sub_nc_u32_e32 v1, v1, v6
	s_delay_alu instid0(VALU_DEP_1) | instskip(SKIP_3) | instid1(VALU_DEP_3)
	v_subrev_nc_u32_e32 v6, s37, v1
	v_cmp_le_u32_e32 vcc_lo, s37, v1
	s_wait_alu 0xfffd
	v_cndmask_b32_e32 v5, v5, v7, vcc_lo
	v_cndmask_b32_e32 v1, v1, v6, vcc_lo
	v_mul_lo_u32 v7, s50, v16
	s_delay_alu instid0(VALU_DEP_3) | instskip(NEXT) | instid1(VALU_DEP_3)
	v_add_nc_u32_e32 v6, 1, v5
	v_cmp_le_u32_e32 vcc_lo, s37, v1
	s_wait_alu 0xfffd
	s_delay_alu instid0(VALU_DEP_2) | instskip(SKIP_1) | instid1(VALU_DEP_2)
	v_cndmask_b32_e32 v1, v5, v6, vcc_lo
	v_lshlrev_b32_e32 v5, 1, v15
	v_xor_b32_e32 v1, v1, v2
	s_delay_alu instid0(VALU_DEP_2) | instskip(SKIP_1) | instid1(VALU_DEP_3)
	v_sub_nc_u32_e32 v3, v5, v3
	v_add_nc_u32_e32 v5, v0, v7
	v_sub_nc_u32_e32 v6, v1, v2
	s_delay_alu instid0(VALU_DEP_1) | instskip(NEXT) | instid1(VALU_DEP_4)
	v_mad_co_u64_u32 v[1:2], null, s52, v6, v[0:1]
	v_or_b32_e32 v2, 1, v3
	v_add_nc_u32_e32 v3, 2, v3
	s_delay_alu instid0(VALU_DEP_2) | instskip(NEXT) | instid1(VALU_DEP_4)
	v_mul_lo_u32 v8, s4, v2
	v_mul_lo_u32 v1, v1, s21
	s_delay_alu instid0(VALU_DEP_3) | instskip(SKIP_1) | instid1(VALU_DEP_4)
	v_mul_lo_u32 v9, s4, v3
	v_ashrrev_i32_e32 v3, 31, v5
	v_add_nc_u32_e32 v5, v0, v8
	s_delay_alu instid0(VALU_DEP_4) | instskip(NEXT) | instid1(VALU_DEP_3)
	v_mad_co_u64_u32 v[1:2], null, v6, s20, v[1:2]
	v_add3_u32 v2, v3, v7, v0
	v_xor_b32_e32 v6, s43, v3
	v_xor_b32_e32 v11, s45, v3
	v_ashrrev_i32_e32 v5, 31, v5
	v_add_nc_u32_e32 v10, v0, v9
	v_xor_b32_e32 v3, v2, v3
	v_ashrrev_i32_e32 v2, 31, v1
	s_delay_alu instid0(VALU_DEP_4) | instskip(SKIP_1) | instid1(VALU_DEP_4)
	v_add3_u32 v14, v5, v8, v0
	v_xor_b32_e32 v13, s43, v5
	v_mul_hi_u32 v12, v3, s44
	v_mul_hi_u32 v17, v3, s46
	v_xor_b32_e32 v23, s45, v5
	v_xor_b32_e32 v5, v14, v5
	v_ashrrev_i32_e32 v10, 31, v10
	v_lshlrev_b64_e32 v[1:2], 1, v[1:2]
	v_mul_lo_u32 v14, v12, s35
	v_mul_lo_u32 v25, v17, s36
	s_delay_alu instid0(VALU_DEP_4) | instskip(NEXT) | instid1(VALU_DEP_4)
	v_add3_u32 v16, v10, v9, v0
	v_add_co_u32 v1, vcc_lo, s18, v1
	v_mul_hi_u32 v27, v5, s44
	v_mul_hi_u32 v29, v5, s46
	v_xor_b32_e32 v15, s43, v10
	v_sub_nc_u32_e32 v14, v3, v14
	v_sub_nc_u32_e32 v3, v3, v25
	v_xor_b32_e32 v24, s45, v10
	v_xor_b32_e32 v10, v16, v10
	s_wait_alu 0xfffd
	v_add_co_ci_u32_e64 v2, null, s19, v2, vcc_lo
	v_add_nc_u32_e32 v16, 1, v12
	v_add_nc_u32_e32 v26, 1, v17
	v_cmp_le_u32_e32 vcc_lo, s35, v14
	v_cmp_le_u32_e64 s0, s36, v3
	v_mul_lo_u32 v25, v27, s35
	v_mul_lo_u32 v34, v29, s36
	v_mul_hi_u32 v28, v10, s44
	s_wait_alu 0xfffd
	v_cndmask_b32_e32 v12, v12, v16, vcc_lo
	s_wait_alu 0xf1ff
	v_cndmask_b32_e64 v16, v17, v26, s0
	v_subrev_nc_u32_e32 v17, s36, v3
	v_mul_hi_u32 v30, v10, s46
	v_add_nc_u32_e32 v35, 1, v29
	v_sub_nc_u32_e32 v25, v5, v25
	v_sub_nc_u32_e32 v5, v5, v34
	v_cndmask_b32_e64 v3, v3, v17, s0
	v_add_nc_u32_e32 v17, 1, v16
	v_subrev_nc_u32_e32 v38, s35, v14
	v_mul_lo_u32 v32, v28, s35
	v_mul_lo_u32 v36, v30, s36
	v_cmp_le_u32_e64 s1, s36, v3
	s_delay_alu instid0(VALU_DEP_4)
	v_dual_cndmask_b32 v14, v14, v38 :: v_dual_add_nc_u32 v31, 1, v27
	v_add_nc_u32_e32 v33, 1, v28
	v_add_nc_u32_e32 v37, 1, v30
	s_wait_alu 0xf1ff
	v_cndmask_b32_e64 v3, v16, v17, s1
	v_cmp_le_u32_e64 s1, s36, v5
	v_subrev_nc_u32_e32 v17, s36, v5
	v_sub_nc_u32_e32 v32, v10, v32
	v_sub_nc_u32_e32 v10, v10, v36
	v_cmp_le_u32_e32 vcc_lo, s35, v14
	s_wait_alu 0xf1ff
	v_cndmask_b32_e64 v16, v29, v35, s1
	v_cndmask_b32_e64 v5, v5, v17, s1
	v_cmp_le_u32_e64 s0, s35, v32
	v_cmp_le_u32_e64 s2, s36, v10
	v_xor_b32_e32 v3, v3, v11
	v_add_nc_u32_e32 v17, 1, v16
	v_add_nc_u32_e32 v26, 1, v12
	s_wait_alu 0xf1ff
	v_cndmask_b32_e64 v29, v30, v37, s2
	v_subrev_nc_u32_e32 v30, s36, v10
	v_sub_nc_u32_e32 v11, v3, v11
	s_wait_alu 0xfffd
	v_cndmask_b32_e32 v12, v12, v26, vcc_lo
	v_cmp_le_u32_e32 vcc_lo, s35, v25
	v_subrev_nc_u32_e32 v26, s35, v25
	v_cndmask_b32_e64 v10, v10, v30, s2
	v_add_nc_u32_e32 v30, 1, v29
	v_xor_b32_e32 v12, v12, v6
	s_wait_alu 0xfffd
	v_cndmask_b32_e32 v14, v27, v31, vcc_lo
	v_cndmask_b32_e64 v27, v28, v33, s0
	v_subrev_nc_u32_e32 v28, s35, v32
	v_cndmask_b32_e32 v25, v25, v26, vcc_lo
	v_sub_nc_u32_e32 v6, v12, v6
	v_add_nc_u32_e32 v26, 1, v14
	v_add_nc_u32_e32 v31, 1, v27
	v_cndmask_b32_e64 v28, v32, v28, s0
	v_cmp_le_u32_e32 vcc_lo, s35, v25
	s_wait_alu 0xfffd
	v_cndmask_b32_e32 v12, v14, v26, vcc_lo
	s_delay_alu instid0(VALU_DEP_3) | instskip(NEXT) | instid1(VALU_DEP_2)
	v_cmp_le_u32_e32 vcc_lo, s35, v28
	v_xor_b32_e32 v12, v12, v13
	s_wait_alu 0xfffd
	v_cndmask_b32_e32 v14, v27, v31, vcc_lo
	v_cmp_le_u32_e32 vcc_lo, s36, v5
	s_delay_alu instid0(VALU_DEP_3) | instskip(NEXT) | instid1(VALU_DEP_3)
	v_sub_nc_u32_e32 v12, v12, v13
	v_xor_b32_e32 v14, v14, v15
	s_wait_alu 0xfffd
	v_cndmask_b32_e32 v3, v16, v17, vcc_lo
	v_cmp_le_u32_e32 vcc_lo, s36, v10
	v_mul_lo_u32 v10, v6, s28
	v_mul_lo_u32 v16, v11, s27
	v_sub_nc_u32_e32 v14, v14, v15
	v_xor_b32_e32 v3, v3, v23
	s_wait_alu 0xfffd
	v_cndmask_b32_e32 v5, v29, v30, vcc_lo
	s_delay_alu instid0(VALU_DEP_2) | instskip(NEXT) | instid1(VALU_DEP_2)
	v_sub_nc_u32_e32 v17, v3, v23
	v_xor_b32_e32 v5, v5, v24
	v_sub_nc_u32_e32 v3, v7, v10
	v_mul_lo_u32 v10, v14, s28
	s_delay_alu instid0(VALU_DEP_4) | instskip(NEXT) | instid1(VALU_DEP_4)
	v_mul_lo_u32 v13, v17, s27
	v_sub_nc_u32_e32 v23, v5, v24
	v_sub_nc_u32_e32 v5, v7, v16
	v_mul_lo_u32 v7, v12, s28
	v_add_nc_u32_e32 v3, v0, v3
	s_delay_alu instid0(VALU_DEP_4) | instskip(NEXT) | instid1(VALU_DEP_4)
	v_mul_lo_u32 v15, v23, s27
	v_add_nc_u32_e32 v5, v0, v5
	v_sub_nc_u32_e32 v10, v9, v10
	s_delay_alu instid0(VALU_DEP_4) | instskip(SKIP_4) | instid1(VALU_DEP_4)
	v_mul_lo_u32 v3, v3, s13
	v_sub_nc_u32_e32 v7, v8, v7
	v_sub_nc_u32_e32 v8, v8, v13
	v_mul_lo_u32 v5, v5, s7
	v_sub_nc_u32_e32 v9, v9, v15
	v_add_nc_u32_e32 v13, v0, v7
	s_wait_loadcnt 0x5
	v_mad_co_u64_u32 v[6:7], null, v6, s12, v[3:4]
	v_add_nc_u32_e32 v15, v0, v8
	v_add_nc_u32_e32 v16, v0, v9
	v_mul_lo_u32 v3, v13, s13
	s_delay_alu instid0(VALU_DEP_4) | instskip(NEXT) | instid1(VALU_DEP_3)
	v_mad_co_u64_u32 v[8:9], null, v11, s6, v[5:6]
	v_mul_lo_u32 v11, v16, s7
	v_ashrrev_i32_e32 v7, 31, v6
	s_delay_alu instid0(VALU_DEP_4) | instskip(SKIP_2) | instid1(VALU_DEP_3)
	v_mad_co_u64_u32 v[12:13], null, v12, s12, v[3:4]
	v_lshlrev_b32_e32 v3, 16, v4
	v_ashrrev_i32_e32 v9, 31, v8
	v_ashrrev_i32_e32 v13, 31, v12
	s_wait_loadcnt 0x3
	v_lshlrev_b32_e32 v4, 16, v19
	s_wait_loadcnt 0x1
	v_lshlrev_b32_e32 v19, 16, v21
	v_add_nc_u32_e32 v10, v0, v10
	s_delay_alu instid0(VALU_DEP_2) | instskip(NEXT) | instid1(VALU_DEP_2)
	v_dual_sub_f32 v21, 1.0, v19 :: v_dual_add_nc_u32 v0, s38, v0
	v_mul_lo_u32 v5, v10, s13
	v_mul_lo_u32 v10, v15, s7
	s_delay_alu instid0(VALU_DEP_3) | instskip(SKIP_1) | instid1(VALU_DEP_3)
	v_cmp_le_i32_e32 vcc_lo, s5, v0
	s_or_b32 s31, vcc_lo, s31
	v_mad_co_u64_u32 v[14:15], null, v14, s12, v[5:6]
	s_delay_alu instid0(VALU_DEP_3)
	v_mad_co_u64_u32 v[16:17], null, v17, s6, v[10:11]
	v_mad_co_u64_u32 v[10:11], null, v23, s6, v[11:12]
	v_lshlrev_b64_e32 v[5:6], 1, v[6:7]
	v_lshlrev_b64_e32 v[7:8], 1, v[8:9]
	v_ashrrev_i32_e32 v15, 31, v14
	v_lshlrev_b64_e32 v[12:13], 1, v[12:13]
	v_ashrrev_i32_e32 v17, 31, v16
	v_ashrrev_i32_e32 v11, 31, v10
	v_add_co_u32 v5, vcc_lo, s10, v5
	v_lshlrev_b64_e32 v[14:15], 1, v[14:15]
	s_wait_alu 0xfffd
	v_add_co_ci_u32_e64 v6, null, s11, v6, vcc_lo
	v_add_co_u32 v7, vcc_lo, s14, v7
	v_lshlrev_b64_e32 v[16:17], 1, v[16:17]
	s_wait_alu 0xfffd
	v_add_co_ci_u32_e64 v8, null, s15, v8, vcc_lo
	v_lshlrev_b64_e32 v[9:10], 1, v[10:11]
	v_add_co_u32 v11, vcc_lo, s10, v12
	s_wait_alu 0xfffd
	v_add_co_ci_u32_e64 v12, null, s11, v13, vcc_lo
	v_add_co_u32 v13, vcc_lo, s10, v14
	s_wait_alu 0xfffd
	v_add_co_ci_u32_e64 v14, null, s11, v15, vcc_lo
	;; [unrolled: 3-line block ×3, first 2 shown]
	v_lshlrev_b32_e32 v17, 16, v20
	s_wait_loadcnt 0x0
	v_lshlrev_b32_e32 v20, 16, v22
	v_mul_f32_e32 v22, v19, v3
	v_add_co_u32 v9, vcc_lo, s14, v9
	s_wait_alu 0xfffd
	v_add_co_ci_u32_e64 v10, null, s15, v10, vcc_lo
	v_sub_f32_e32 v23, 1.0, v20
	v_sub_f32_e32 v17, v17, v4
	v_fma_f32 v4, -v4, v4, 1.0
	v_bfe_u32 v24, v22, 16, 1
	v_cmp_o_f32_e32 vcc_lo, v22, v22
	s_delay_alu instid0(VALU_DEP_4) | instskip(SKIP_1) | instid1(VALU_DEP_2)
	v_mul_f32_e32 v17, v17, v3
	v_dual_mul_f32 v3, v21, v3 :: v_dual_lshlrev_b32 v18, 16, v18
	v_mul_f32_e32 v17, v21, v17
	s_delay_alu instid0(VALU_DEP_2) | instskip(SKIP_1) | instid1(VALU_DEP_2)
	v_mul_f32_e32 v3, v4, v3
	v_add3_u32 v4, v22, v24, 0x7fff
	v_dual_mul_f32 v17, v17, v19 :: v_dual_mul_f32 v18, v3, v18
	v_mul_f32_e32 v19, v3, v20
	v_bfe_u32 v21, v3, 16, 1
	s_delay_alu instid0(VALU_DEP_4) | instskip(NEXT) | instid1(VALU_DEP_4)
	v_lshrrev_b32_e32 v4, 16, v4
	v_bfe_u32 v22, v17, 16, 1
	v_mul_f32_e32 v18, v23, v18
	v_bfe_u32 v23, v19, 16, 1
	v_add3_u32 v21, v3, v21, 0x7fff
	s_wait_alu 0xfffd
	v_cndmask_b32_e32 v4, 0x7fc0, v4, vcc_lo
	v_cmp_o_f32_e32 vcc_lo, v3, v3
	v_mul_f32_e32 v18, v18, v20
	v_add3_u32 v20, v17, v22, 0x7fff
	v_lshrrev_b32_e32 v21, 16, v21
	v_add3_u32 v3, v19, v23, 0x7fff
	v_cmp_o_f32_e64 s0, v17, v17
	v_bfe_u32 v22, v18, 16, 1
	v_lshrrev_b32_e32 v20, 16, v20
	s_wait_alu 0xfffd
	v_cndmask_b32_e32 v17, 0x7fc0, v21, vcc_lo
	v_lshrrev_b32_e32 v3, 16, v3
	v_cmp_o_f32_e32 vcc_lo, v19, v19
	v_add3_u32 v19, v18, v22, 0x7fff
	s_wait_alu 0xf1ff
	v_cndmask_b32_e64 v20, 0x7fc0, v20, s0
	s_wait_alu 0xfffd
	v_cndmask_b32_e32 v3, 0x7fc0, v3, vcc_lo
	v_lshrrev_b32_e32 v19, 16, v19
	v_cmp_o_f32_e32 vcc_lo, v18, v18
	s_wait_alu 0xfffd
	s_delay_alu instid0(VALU_DEP_2)
	v_cndmask_b32_e32 v18, 0x7fc0, v19, vcc_lo
	s_clause 0x2
	global_store_b16 v[5:6], v18, off
	global_store_b16 v[11:12], v20, off
	;; [unrolled: 1-line block ×3, first 2 shown]
	s_clause 0x2
	global_store_b16 v[7:8], v18, off
	global_store_b16 v[15:16], v20, off
	;; [unrolled: 1-line block ×4, first 2 shown]
	s_wait_alu 0xfffe
	s_and_not1_b32 exec_lo, exec_lo, s31
	s_cbranch_execnz .LBB61_2
.LBB61_3:
	s_endpgm
	.section	.rodata,"a",@progbits
	.p2align	6, 0x0
	.amdhsa_kernel _ZN2at6native12_GLOBAL__N_16kernel17gru_cell_backwardIN3c108BFloat16EfiLi2EEEvNS_4cuda6detail10TensorInfoIT_T1_EESB_SB_SB_SB_SA_SA_
		.amdhsa_group_segment_fixed_size 0
		.amdhsa_private_segment_fixed_size 0
		.amdhsa_kernarg_size 1344
		.amdhsa_user_sgpr_count 2
		.amdhsa_user_sgpr_dispatch_ptr 0
		.amdhsa_user_sgpr_queue_ptr 0
		.amdhsa_user_sgpr_kernarg_segment_ptr 1
		.amdhsa_user_sgpr_dispatch_id 0
		.amdhsa_user_sgpr_private_segment_size 0
		.amdhsa_wavefront_size32 1
		.amdhsa_uses_dynamic_stack 0
		.amdhsa_enable_private_segment 0
		.amdhsa_system_sgpr_workgroup_id_x 1
		.amdhsa_system_sgpr_workgroup_id_y 0
		.amdhsa_system_sgpr_workgroup_id_z 0
		.amdhsa_system_sgpr_workgroup_info 0
		.amdhsa_system_vgpr_workitem_id 0
		.amdhsa_next_free_vgpr 39
		.amdhsa_next_free_sgpr 53
		.amdhsa_reserve_vcc 1
		.amdhsa_float_round_mode_32 0
		.amdhsa_float_round_mode_16_64 0
		.amdhsa_float_denorm_mode_32 3
		.amdhsa_float_denorm_mode_16_64 3
		.amdhsa_fp16_overflow 0
		.amdhsa_workgroup_processor_mode 1
		.amdhsa_memory_ordered 1
		.amdhsa_forward_progress 1
		.amdhsa_inst_pref_size 28
		.amdhsa_round_robin_scheduling 0
		.amdhsa_exception_fp_ieee_invalid_op 0
		.amdhsa_exception_fp_denorm_src 0
		.amdhsa_exception_fp_ieee_div_zero 0
		.amdhsa_exception_fp_ieee_overflow 0
		.amdhsa_exception_fp_ieee_underflow 0
		.amdhsa_exception_fp_ieee_inexact 0
		.amdhsa_exception_int_div_zero 0
	.end_amdhsa_kernel
	.section	.text._ZN2at6native12_GLOBAL__N_16kernel17gru_cell_backwardIN3c108BFloat16EfiLi2EEEvNS_4cuda6detail10TensorInfoIT_T1_EESB_SB_SB_SB_SA_SA_,"axG",@progbits,_ZN2at6native12_GLOBAL__N_16kernel17gru_cell_backwardIN3c108BFloat16EfiLi2EEEvNS_4cuda6detail10TensorInfoIT_T1_EESB_SB_SB_SB_SA_SA_,comdat
.Lfunc_end61:
	.size	_ZN2at6native12_GLOBAL__N_16kernel17gru_cell_backwardIN3c108BFloat16EfiLi2EEEvNS_4cuda6detail10TensorInfoIT_T1_EESB_SB_SB_SB_SA_SA_, .Lfunc_end61-_ZN2at6native12_GLOBAL__N_16kernel17gru_cell_backwardIN3c108BFloat16EfiLi2EEEvNS_4cuda6detail10TensorInfoIT_T1_EESB_SB_SB_SB_SA_SA_
                                        ; -- End function
	.set _ZN2at6native12_GLOBAL__N_16kernel17gru_cell_backwardIN3c108BFloat16EfiLi2EEEvNS_4cuda6detail10TensorInfoIT_T1_EESB_SB_SB_SB_SA_SA_.num_vgpr, 39
	.set _ZN2at6native12_GLOBAL__N_16kernel17gru_cell_backwardIN3c108BFloat16EfiLi2EEEvNS_4cuda6detail10TensorInfoIT_T1_EESB_SB_SB_SB_SA_SA_.num_agpr, 0
	.set _ZN2at6native12_GLOBAL__N_16kernel17gru_cell_backwardIN3c108BFloat16EfiLi2EEEvNS_4cuda6detail10TensorInfoIT_T1_EESB_SB_SB_SB_SA_SA_.numbered_sgpr, 53
	.set _ZN2at6native12_GLOBAL__N_16kernel17gru_cell_backwardIN3c108BFloat16EfiLi2EEEvNS_4cuda6detail10TensorInfoIT_T1_EESB_SB_SB_SB_SA_SA_.num_named_barrier, 0
	.set _ZN2at6native12_GLOBAL__N_16kernel17gru_cell_backwardIN3c108BFloat16EfiLi2EEEvNS_4cuda6detail10TensorInfoIT_T1_EESB_SB_SB_SB_SA_SA_.private_seg_size, 0
	.set _ZN2at6native12_GLOBAL__N_16kernel17gru_cell_backwardIN3c108BFloat16EfiLi2EEEvNS_4cuda6detail10TensorInfoIT_T1_EESB_SB_SB_SB_SA_SA_.uses_vcc, 1
	.set _ZN2at6native12_GLOBAL__N_16kernel17gru_cell_backwardIN3c108BFloat16EfiLi2EEEvNS_4cuda6detail10TensorInfoIT_T1_EESB_SB_SB_SB_SA_SA_.uses_flat_scratch, 0
	.set _ZN2at6native12_GLOBAL__N_16kernel17gru_cell_backwardIN3c108BFloat16EfiLi2EEEvNS_4cuda6detail10TensorInfoIT_T1_EESB_SB_SB_SB_SA_SA_.has_dyn_sized_stack, 0
	.set _ZN2at6native12_GLOBAL__N_16kernel17gru_cell_backwardIN3c108BFloat16EfiLi2EEEvNS_4cuda6detail10TensorInfoIT_T1_EESB_SB_SB_SB_SA_SA_.has_recursion, 0
	.set _ZN2at6native12_GLOBAL__N_16kernel17gru_cell_backwardIN3c108BFloat16EfiLi2EEEvNS_4cuda6detail10TensorInfoIT_T1_EESB_SB_SB_SB_SA_SA_.has_indirect_call, 0
	.section	.AMDGPU.csdata,"",@progbits
; Kernel info:
; codeLenInByte = 3480
; TotalNumSgprs: 55
; NumVgprs: 39
; ScratchSize: 0
; MemoryBound: 0
; FloatMode: 240
; IeeeMode: 1
; LDSByteSize: 0 bytes/workgroup (compile time only)
; SGPRBlocks: 0
; VGPRBlocks: 4
; NumSGPRsForWavesPerEU: 55
; NumVGPRsForWavesPerEU: 39
; Occupancy: 16
; WaveLimiterHint : 1
; COMPUTE_PGM_RSRC2:SCRATCH_EN: 0
; COMPUTE_PGM_RSRC2:USER_SGPR: 2
; COMPUTE_PGM_RSRC2:TRAP_HANDLER: 0
; COMPUTE_PGM_RSRC2:TGID_X_EN: 1
; COMPUTE_PGM_RSRC2:TGID_Y_EN: 0
; COMPUTE_PGM_RSRC2:TGID_Z_EN: 0
; COMPUTE_PGM_RSRC2:TIDIG_COMP_CNT: 0
	.section	.text._ZN2at6native12_GLOBAL__N_16kernel17gru_cell_backwardIN3c108BFloat16EflLi1EEEvNS_4cuda6detail10TensorInfoIT_T1_EESB_SB_SB_SB_SA_SA_,"axG",@progbits,_ZN2at6native12_GLOBAL__N_16kernel17gru_cell_backwardIN3c108BFloat16EflLi1EEEvNS_4cuda6detail10TensorInfoIT_T1_EESB_SB_SB_SB_SA_SA_,comdat
	.globl	_ZN2at6native12_GLOBAL__N_16kernel17gru_cell_backwardIN3c108BFloat16EflLi1EEEvNS_4cuda6detail10TensorInfoIT_T1_EESB_SB_SB_SB_SA_SA_ ; -- Begin function _ZN2at6native12_GLOBAL__N_16kernel17gru_cell_backwardIN3c108BFloat16EflLi1EEEvNS_4cuda6detail10TensorInfoIT_T1_EESB_SB_SB_SB_SA_SA_
	.p2align	8
	.type	_ZN2at6native12_GLOBAL__N_16kernel17gru_cell_backwardIN3c108BFloat16EflLi1EEEvNS_4cuda6detail10TensorInfoIT_T1_EESB_SB_SB_SB_SA_SA_,@function
_ZN2at6native12_GLOBAL__N_16kernel17gru_cell_backwardIN3c108BFloat16EflLi1EEEvNS_4cuda6detail10TensorInfoIT_T1_EESB_SB_SB_SB_SA_SA_: ; @_ZN2at6native12_GLOBAL__N_16kernel17gru_cell_backwardIN3c108BFloat16EflLi1EEEvNS_4cuda6detail10TensorInfoIT_T1_EESB_SB_SB_SB_SA_SA_
; %bb.0:
	s_clause 0x1
	s_load_b32 s2, s[0:1], 0x83c
	s_load_b128 s[4:7], s[0:1], 0x820
	v_mov_b32_e32 v1, 0
	s_wait_kmcnt 0x0
	s_and_b32 s20, s2, 0xffff
	s_mov_b32 s2, exec_lo
	s_delay_alu instid0(VALU_DEP_1) | instskip(SKIP_1) | instid1(VALU_DEP_1)
	v_mad_co_u64_u32 v[3:4], null, ttmp9, s20, v[0:1]
	v_mov_b32_e32 v4, v1
	v_cmpx_gt_i64_e64 s[6:7], v[3:4]
	s_cbranch_execz .LBB62_7
; %bb.1:
	s_clause 0x1
	s_load_b64 s[24:25], s[0:1], 0x410
	s_load_b64 s[26:27], s[0:1], 0x5b0
	v_cvt_f32_u32_e32 v0, s4
	s_clause 0x1
	s_load_b64 s[28:29], s[0:1], 0x340
	s_load_b64 s[30:31], s[0:1], 0x4e0
	s_add_nc_u64 s[14:15], s[0:1], 0x830
	s_clause 0x3
	s_load_b64 s[2:3], s[0:1], 0x0
	s_load_b64 s[8:9], s[0:1], 0xd0
	;; [unrolled: 1-line block ×4, first 2 shown]
	s_load_b32 s22, s[14:15], 0x0
	s_clause 0x1
	s_load_b64 s[14:15], s[0:1], 0x680
	s_load_b64 s[16:17], s[0:1], 0x750
	s_sub_co_i32 s0, 0, s4
	v_rcp_iflag_f32_e32 v0, v0
	s_mov_b32 s1, 0
	s_lshl_b64 s[18:19], s[4:5], 2
	s_wait_alu 0xfffe
	s_mov_b32 s21, s1
	s_delay_alu instid0(TRANS32_DEP_1)
	v_mul_f32_e32 v0, 0x4f7ffffe, v0
	s_wait_kmcnt 0x0
	v_mul_lo_u32 v2, 0, s24
	v_mul_lo_u32 v9, v3, s25
	v_mad_co_u64_u32 v[5:6], null, v3, s24, 0
	v_mul_lo_u32 v10, 0, s26
	v_mul_lo_u32 v11, v3, s27
	v_mad_co_u64_u32 v[7:8], null, v3, s26, 0
	v_cvt_u32_f32_e32 v0, v0
	s_mul_i32 s20, s22, s20
	v_add3_u32 v6, v6, v9, v2
	s_wait_alu 0xfffe
	s_mul_u64 s[24:25], s[20:21], s[24:25]
	s_mul_u64 s[26:27], s[20:21], s[26:27]
	v_mul_lo_u32 v2, s0, v0
	v_add3_u32 v8, v8, v11, v10
	v_lshlrev_b64_e32 v[5:6], 1, v[5:6]
	s_lshl_b64 s[22:23], s[4:5], 1
	s_wait_alu 0xfffe
	s_lshl_b64 s[24:25], s[24:25], 1
	s_lshl_b64 s[26:27], s[26:27], 1
	v_lshlrev_b64_e32 v[7:8], 1, v[7:8]
	s_mov_b32 s21, 0
	v_mul_hi_u32 v2, v0, v2
	v_add_co_u32 v5, vcc_lo, s28, v5
	s_delay_alu instid0(VALU_DEP_1) | instskip(NEXT) | instid1(VALU_DEP_4)
	v_add_co_ci_u32_e64 v6, null, s29, v6, vcc_lo
	v_add_co_u32 v7, vcc_lo, s30, v7
	s_wait_alu 0xfffd
	v_add_co_ci_u32_e64 v8, null, s31, v8, vcc_lo
	v_add_nc_u32_e32 v0, v0, v2
	s_ashr_i32 s28, s5, 31
	s_branch .LBB62_3
.LBB62_2:                               ;   in Loop: Header=BB62_3 Depth=1
	s_wait_alu 0xfffe
	s_or_b32 exec_lo, exec_lo, s0
	s_delay_alu instid0(VALU_DEP_1) | instskip(SKIP_3) | instid1(VALU_DEP_4)
	v_lshlrev_b64_e32 v[11:12], 2, v[9:10]
	v_mad_co_u64_u32 v[13:14], null, s18, v9, v[3:4]
	v_mul_lo_u32 v2, s18, v10
	v_mul_lo_u32 v17, s19, v9
	v_or_b32_e32 v15, 1, v11
	v_mul_lo_u32 v22, s4, v12
	v_or_b32_e32 v18, 2, v11
	v_add_co_u32 v20, vcc_lo, v11, 4
	s_delay_alu instid0(VALU_DEP_4)
	v_mul_lo_u32 v19, s5, v15
	v_mad_co_u64_u32 v[15:16], null, s4, v15, v[3:4]
	v_add3_u32 v2, v17, v14, v2
	s_wait_alu 0xfffd
	v_add_co_ci_u32_e64 v21, null, 0, v12, vcc_lo
	v_mul_lo_u32 v24, s5, v18
	v_or_b32_e32 v11, 3, v11
	v_mul_lo_u32 v28, s5, v20
	v_add3_u32 v12, v19, v16, v22
	v_mad_co_u64_u32 v[16:17], null, s4, v18, v[3:4]
	v_mul_lo_u32 v27, s4, v21
	v_mad_co_u64_u32 v[18:19], null, s4, v20, v[3:4]
	v_mul_lo_u32 v23, v13, s17
	v_mul_lo_u32 v2, v2, s16
	;; [unrolled: 1-line block ×3, first 2 shown]
	v_mad_co_u64_u32 v[12:13], null, v13, s16, 0
	v_add3_u32 v17, v24, v17, v22
	v_mul_lo_u32 v24, s5, v11
	v_mad_co_u64_u32 v[20:21], null, s4, v11, v[3:4]
	v_mul_lo_u32 v25, v15, s17
	v_mad_co_u64_u32 v[14:15], null, v15, s16, 0
	v_add3_u32 v19, v28, v19, v27
	v_add3_u32 v13, v13, v23, v2
	v_mul_lo_u32 v11, v17, s16
	v_add3_u32 v2, v24, v21, v22
	v_mul_lo_u32 v23, v18, s17
	v_mul_lo_u32 v22, v19, s16
	v_add3_u32 v15, v15, v25, v26
	v_mul_lo_u32 v25, v16, s17
	v_mad_co_u64_u32 v[16:17], null, v16, s16, 0
	v_mad_co_u64_u32 v[18:19], null, v18, s16, 0
	v_mul_lo_u32 v2, v2, s16
	v_mul_lo_u32 v24, v20, s17
	v_mad_co_u64_u32 v[20:21], null, v20, s16, 0
	v_add3_u32 v17, v17, v25, v11
	v_lshlrev_b64_e32 v[14:15], 1, v[14:15]
	v_add3_u32 v19, v19, v23, v22
	v_lshlrev_b64_e32 v[11:12], 1, v[12:13]
	s_delay_alu instid0(VALU_DEP_4) | instskip(SKIP_1) | instid1(VALU_DEP_4)
	v_lshlrev_b64_e32 v[16:17], 1, v[16:17]
	v_add3_u32 v21, v21, v24, v2
	v_lshlrev_b64_e32 v[18:19], 1, v[18:19]
	v_add_co_u32 v13, vcc_lo, s14, v14
	s_wait_alu 0xfffd
	v_add_co_ci_u32_e64 v14, null, s15, v15, vcc_lo
	v_lshlrev_b64_e32 v[20:21], 1, v[20:21]
	v_add_co_u32 v15, vcc_lo, s14, v16
	s_wait_alu 0xfffd
	v_add_co_ci_u32_e64 v16, null, s15, v17, vcc_lo
	v_add_co_u32 v17, vcc_lo, s14, v18
	s_wait_alu 0xfffd
	v_add_co_ci_u32_e64 v18, null, s15, v19, vcc_lo
	global_load_u16 v2, v[13:14], off
	v_add_co_u32 v13, vcc_lo, s14, v20
	s_wait_alu 0xfffd
	v_add_co_ci_u32_e64 v14, null, s15, v21, vcc_lo
	global_load_u16 v21, v[5:6], off
	s_clause 0x2
	global_load_u16 v22, v[17:18], off
	global_load_u16 v23, v[15:16], off
	;; [unrolled: 1-line block ×3, first 2 shown]
	v_add_co_u32 v11, vcc_lo, s14, v11
	s_wait_alu 0xfffd
	v_add_co_ci_u32_e64 v12, null, s15, v12, vcc_lo
	v_lshlrev_b64_e32 v[13:14], 1, v[9:10]
	v_add_co_u32 v5, vcc_lo, v5, s24
	global_load_u16 v25, v[11:12], off
	v_mad_co_u64_u32 v[11:12], null, s22, v9, v[3:4]
	v_mul_lo_u32 v15, s22, v10
	v_mul_lo_u32 v9, s23, v9
	s_wait_alu 0xfffd
	v_add_co_ci_u32_e64 v6, null, s25, v6, vcc_lo
	v_add_co_u32 v18, vcc_lo, v13, 2
	v_or_b32_e32 v16, 1, v13
	s_wait_alu 0xfffd
	v_add_co_ci_u32_e64 v19, null, 0, v14, vcc_lo
	v_mul_lo_u32 v17, s4, v14
	v_add3_u32 v20, v9, v12, v15
	v_mul_lo_u32 v28, s5, v16
	v_mad_co_u64_u32 v[13:14], null, s4, v16, v[3:4]
	v_mad_co_u64_u32 v[15:16], null, s4, v18, v[3:4]
	v_mul_lo_u32 v19, s4, v19
	v_mul_lo_u32 v29, s5, v18
	;; [unrolled: 1-line block ×3, first 2 shown]
	v_mad_co_u64_u32 v[9:10], null, v11, s8, 0
	v_mul_lo_u32 v27, v11, s13
	v_mad_co_u64_u32 v[11:12], null, v11, s12, 0
	v_mul_lo_u32 v30, v20, s8
	v_mul_lo_u32 v31, v20, s12
	v_add3_u32 v28, v28, v14, v17
	v_add3_u32 v29, v29, v16, v19
	v_mul_lo_u32 v32, v13, s9
	v_mad_co_u64_u32 v[17:18], null, v13, s8, 0
	v_mul_lo_u32 v33, v15, s9
	v_mad_co_u64_u32 v[19:20], null, v15, s8, 0
	v_add3_u32 v10, v10, v26, v30
	v_add3_u32 v12, v12, v27, v31
	v_mul_lo_u32 v26, v28, s8
	v_mul_lo_u32 v27, v29, s8
	v_mul_lo_u32 v34, v13, s13
	v_mad_co_u64_u32 v[13:14], null, v13, s12, 0
	v_mul_lo_u32 v28, v28, s12
	v_mul_lo_u32 v35, v15, s13
	v_mad_co_u64_u32 v[15:16], null, v15, s12, 0
	v_add3_u32 v18, v18, v32, v26
	v_add3_u32 v20, v20, v33, v27
	v_mul_lo_u32 v29, v29, s12
	v_lshlrev_b64_e32 v[9:10], 1, v[9:10]
	v_add3_u32 v14, v14, v34, v28
	v_lshlrev_b64_e32 v[11:12], 1, v[11:12]
	v_lshlrev_b64_e32 v[17:18], 1, v[17:18]
	;; [unrolled: 1-line block ×3, first 2 shown]
	v_add_co_u32 v3, vcc_lo, v3, s20
	v_add3_u32 v16, v16, v35, v29
	v_add_co_u32 v9, s0, s2, v9
	s_wait_alu 0xf1ff
	v_add_co_ci_u32_e64 v10, null, s3, v10, s0
	v_add_co_u32 v11, s0, s10, v11
	v_lshlrev_b64_e32 v[13:14], 1, v[13:14]
	s_wait_alu 0xf1ff
	v_add_co_ci_u32_e64 v12, null, s11, v12, s0
	v_lshlrev_b64_e32 v[15:16], 1, v[15:16]
	v_add_co_u32 v17, s0, s2, v17
	s_wait_alu 0xf1ff
	v_add_co_ci_u32_e64 v18, null, s3, v18, s0
	v_add_co_u32 v19, s0, s2, v19
	s_wait_alu 0xf1ff
	v_add_co_ci_u32_e64 v20, null, s3, v20, s0
	;; [unrolled: 3-line block ×4, first 2 shown]
	s_wait_alu 0xfffd
	v_add_co_ci_u32_e64 v4, null, 0, v4, vcc_lo
	s_delay_alu instid0(VALU_DEP_1)
	v_cmp_le_i64_e32 vcc_lo, s[6:7], v[3:4]
	s_or_b32 s21, vcc_lo, s21
	s_wait_loadcnt 0x2
	v_lshlrev_b32_e32 v23, 16, v23
	s_wait_loadcnt 0x1
	v_lshlrev_b32_e32 v24, 16, v24
	v_lshlrev_b32_e32 v2, 16, v2
	s_delay_alu instid0(VALU_DEP_3) | instskip(NEXT) | instid1(VALU_DEP_3)
	v_fma_f32 v27, -v23, v23, 1.0
	v_sub_f32_e32 v23, v24, v23
	s_delay_alu instid0(VALU_DEP_3) | instskip(SKIP_1) | instid1(VALU_DEP_2)
	v_dual_sub_f32 v26, 1.0, v2 :: v_dual_lshlrev_b32 v21, 16, v21
	v_lshlrev_b32_e32 v22, 16, v22
	v_mul_f32_e32 v28, v26, v21
	s_wait_loadcnt 0x0
	s_delay_alu instid0(VALU_DEP_1) | instskip(SKIP_2) | instid1(VALU_DEP_3)
	v_dual_mul_f32 v24, v27, v28 :: v_dual_lshlrev_b32 v25, 16, v25
	v_mul_f32_e32 v27, v2, v21
	v_mul_f32_e32 v21, v23, v21
	v_sub_f32_e32 v28, 1.0, v25
	s_delay_alu instid0(VALU_DEP_4) | instskip(NEXT) | instid1(VALU_DEP_4)
	v_mul_f32_e32 v22, v24, v22
	v_bfe_u32 v23, v27, 16, 1
	s_delay_alu instid0(VALU_DEP_4) | instskip(SKIP_1) | instid1(VALU_DEP_4)
	v_mul_f32_e32 v21, v26, v21
	v_cmp_o_f32_e64 s0, v27, v27
	v_mul_f32_e32 v22, v28, v22
	s_delay_alu instid0(VALU_DEP_4) | instskip(NEXT) | instid1(VALU_DEP_4)
	v_add3_u32 v23, v27, v23, 0x7fff
	v_dual_mul_f32 v2, v21, v2 :: v_dual_mul_f32 v21, v24, v25
	s_delay_alu instid0(VALU_DEP_3) | instskip(NEXT) | instid1(VALU_DEP_3)
	v_mul_f32_e32 v22, v22, v25
	v_lshrrev_b32_e32 v23, 16, v23
	s_delay_alu instid0(VALU_DEP_3)
	v_bfe_u32 v26, v2, 16, 1
	v_bfe_u32 v25, v24, 16, 1
	;; [unrolled: 1-line block ×4, first 2 shown]
	s_wait_alu 0xf1ff
	v_cndmask_b32_e64 v23, 0x7fc0, v23, s0
	v_add3_u32 v26, v2, v26, 0x7fff
	v_cmp_o_f32_e64 s0, v2, v2
	v_add3_u32 v25, v24, v25, 0x7fff
	v_add3_u32 v29, v22, v29, 0x7fff
	;; [unrolled: 1-line block ×3, first 2 shown]
	v_lshrrev_b32_e32 v26, 16, v26
	s_delay_alu instid0(VALU_DEP_4) | instskip(NEXT) | instid1(VALU_DEP_4)
	v_lshrrev_b32_e32 v25, 16, v25
	v_lshrrev_b32_e32 v27, 16, v29
	s_delay_alu instid0(VALU_DEP_4) | instskip(SKIP_4) | instid1(VALU_DEP_1)
	v_lshrrev_b32_e32 v28, 16, v28
	s_wait_alu 0xf1ff
	v_cndmask_b32_e64 v2, 0x7fc0, v26, s0
	v_cmp_o_f32_e64 s0, v22, v22
	s_wait_alu 0xf1ff
	v_cndmask_b32_e64 v22, 0x7fc0, v27, s0
	v_cmp_o_f32_e64 s0, v24, v24
	s_wait_alu 0xf1ff
	s_delay_alu instid0(VALU_DEP_1) | instskip(SKIP_2) | instid1(VALU_DEP_1)
	v_cndmask_b32_e64 v24, 0x7fc0, v25, s0
	v_cmp_o_f32_e64 s0, v21, v21
	s_wait_alu 0xf1ff
	v_cndmask_b32_e64 v21, 0x7fc0, v28, s0
	s_clause 0x2
	global_store_b16 v[9:10], v22, off
	global_store_b16 v[17:18], v2, off
	global_store_b16 v[19:20], v24, off
	s_clause 0x2
	global_store_b16 v[11:12], v22, off
	global_store_b16 v[13:14], v2, off
	;; [unrolled: 1-line block ×4, first 2 shown]
	v_add_co_u32 v7, s0, v7, s26
	s_wait_alu 0xf1ff
	v_add_co_ci_u32_e64 v8, null, s27, v8, s0
	s_wait_alu 0xfffe
	s_and_not1_b32 exec_lo, exec_lo, s21
	s_cbranch_execz .LBB62_7
.LBB62_3:                               ; =>This Inner Loop Header: Depth=1
	v_or_b32_e32 v2, s5, v4
                                        ; implicit-def: $vgpr9_vgpr10
	s_mov_b32 s0, exec_lo
	s_delay_alu instid0(VALU_DEP_1)
	v_cmpx_ne_u64_e32 0, v[1:2]
	s_wait_alu 0xfffe
	s_xor_b32 s33, exec_lo, s0
	s_cbranch_execz .LBB62_5
; %bb.4:                                ;   in Loop: Header=BB62_3 Depth=1
	s_mov_b32 s29, s28
	v_ashrrev_i32_e32 v2, 31, v4
	s_wait_alu 0xfffe
	s_add_nc_u64 s[30:31], s[4:5], s[28:29]
	s_wait_alu 0xfffe
	s_xor_b64 s[30:31], s[30:31], s[28:29]
	v_add_co_u32 v9, vcc_lo, v3, v2
	s_wait_alu 0xfffe
	s_cvt_f32_u32 s0, s30
	s_cvt_f32_u32 s29, s31
	s_sub_nc_u64 s[36:37], 0, s[30:31]
	s_wait_alu 0xfffd
	v_add_co_ci_u32_e64 v10, null, v4, v2, vcc_lo
	s_wait_alu 0xfffe
	s_fmamk_f32 s0, s29, 0x4f800000, s0
	v_xor_b32_e32 v15, v9, v2
	s_delay_alu instid0(VALU_DEP_2) | instskip(SKIP_3) | instid1(TRANS32_DEP_1)
	v_xor_b32_e32 v16, v10, v2
	s_wait_alu 0xfffe
	v_s_rcp_f32 s0, s0
	v_xor_b32_e32 v2, s28, v2
	s_mul_f32 s0, s0, 0x5f7ffffc
	s_wait_alu 0xfffe
	s_delay_alu instid0(SALU_CYCLE_2) | instskip(SKIP_1) | instid1(SALU_CYCLE_2)
	s_mul_f32 s29, s0, 0x2f800000
	s_wait_alu 0xfffe
	s_trunc_f32 s29, s29
	s_wait_alu 0xfffe
	s_delay_alu instid0(SALU_CYCLE_2) | instskip(SKIP_2) | instid1(SALU_CYCLE_1)
	s_fmamk_f32 s0, s29, 0xcf800000, s0
	s_cvt_u32_f32 s35, s29
	s_wait_alu 0xfffe
	s_cvt_u32_f32 s34, s0
	s_delay_alu instid0(SALU_CYCLE_3) | instskip(NEXT) | instid1(SALU_CYCLE_1)
	s_mul_u64 s[38:39], s[36:37], s[34:35]
	s_mul_hi_u32 s41, s34, s39
	s_mul_i32 s40, s34, s39
	s_mul_hi_u32 s0, s34, s38
	s_mul_i32 s42, s35, s38
	s_wait_alu 0xfffe
	s_add_nc_u64 s[40:41], s[0:1], s[40:41]
	s_mul_hi_u32 s29, s35, s38
	s_mul_hi_u32 s43, s35, s39
	s_add_co_u32 s0, s40, s42
	s_wait_alu 0xfffe
	s_add_co_ci_u32 s0, s41, s29
	s_mul_i32 s38, s35, s39
	s_add_co_ci_u32 s39, s43, 0
	s_wait_alu 0xfffe
	s_add_nc_u64 s[38:39], s[0:1], s[38:39]
	s_delay_alu instid0(SALU_CYCLE_1) | instskip(SKIP_4) | instid1(SALU_CYCLE_1)
	s_add_co_u32 s34, s34, s38
	s_cselect_b32 s0, -1, 0
	s_wait_alu 0xfffe
	s_cmp_lg_u32 s0, 0
	s_add_co_ci_u32 s35, s35, s39
	s_mul_u64 s[36:37], s[36:37], s[34:35]
	s_delay_alu instid0(SALU_CYCLE_1)
	s_mul_hi_u32 s39, s34, s37
	s_mul_i32 s38, s34, s37
	s_mul_hi_u32 s0, s34, s36
	s_mul_i32 s40, s35, s36
	s_wait_alu 0xfffe
	s_add_nc_u64 s[38:39], s[0:1], s[38:39]
	s_mul_hi_u32 s29, s35, s36
	s_mul_hi_u32 s41, s35, s37
	s_add_co_u32 s0, s38, s40
	s_wait_alu 0xfffe
	s_add_co_ci_u32 s0, s39, s29
	s_mul_i32 s36, s35, s37
	s_add_co_ci_u32 s37, s41, 0
	s_wait_alu 0xfffe
	s_add_nc_u64 s[36:37], s[0:1], s[36:37]
	s_delay_alu instid0(SALU_CYCLE_1)
	s_add_co_u32 s0, s34, s36
	s_cselect_b32 s29, -1, 0
	s_wait_alu 0xfffe
	v_mul_hi_u32 v17, v15, s0
	s_cmp_lg_u32 s29, 0
	v_mad_co_u64_u32 v[11:12], null, v16, s0, 0
	s_add_co_ci_u32 s29, s35, s37
	s_wait_alu 0xfffe
	v_mad_co_u64_u32 v[9:10], null, v15, s29, 0
	v_mad_co_u64_u32 v[13:14], null, v16, s29, 0
	s_delay_alu instid0(VALU_DEP_2) | instskip(SKIP_1) | instid1(VALU_DEP_3)
	v_add_co_u32 v9, vcc_lo, v17, v9
	s_wait_alu 0xfffd
	v_add_co_ci_u32_e64 v10, null, 0, v10, vcc_lo
	s_delay_alu instid0(VALU_DEP_2) | instskip(SKIP_1) | instid1(VALU_DEP_2)
	v_add_co_u32 v9, vcc_lo, v9, v11
	s_wait_alu 0xfffd
	v_add_co_ci_u32_e32 v9, vcc_lo, v10, v12, vcc_lo
	s_wait_alu 0xfffd
	v_add_co_ci_u32_e32 v10, vcc_lo, 0, v14, vcc_lo
	s_delay_alu instid0(VALU_DEP_2) | instskip(SKIP_1) | instid1(VALU_DEP_2)
	v_add_co_u32 v11, vcc_lo, v9, v13
	s_wait_alu 0xfffd
	v_add_co_ci_u32_e64 v12, null, 0, v10, vcc_lo
	s_delay_alu instid0(VALU_DEP_2) | instskip(SKIP_1) | instid1(VALU_DEP_3)
	v_mul_lo_u32 v13, s31, v11
	v_mad_co_u64_u32 v[9:10], null, s30, v11, 0
	v_mul_lo_u32 v14, s30, v12
	s_delay_alu instid0(VALU_DEP_2) | instskip(NEXT) | instid1(VALU_DEP_2)
	v_sub_co_u32 v9, vcc_lo, v15, v9
	v_add3_u32 v10, v10, v14, v13
	v_add_co_u32 v14, s0, v11, 2
	s_wait_alu 0xf1ff
	v_add_co_ci_u32_e64 v15, null, 0, v12, s0
	s_delay_alu instid0(VALU_DEP_3) | instskip(SKIP_3) | instid1(VALU_DEP_3)
	v_sub_nc_u32_e32 v13, v16, v10
	v_sub_co_u32 v17, s0, v9, s30
	s_wait_alu 0xfffd
	v_sub_co_ci_u32_e64 v10, null, v16, v10, vcc_lo
	v_subrev_co_ci_u32_e64 v13, null, s31, v13, vcc_lo
	s_delay_alu instid0(VALU_DEP_3) | instskip(SKIP_1) | instid1(VALU_DEP_2)
	v_cmp_le_u32_e32 vcc_lo, s30, v17
	s_wait_alu 0xf1ff
	v_subrev_co_ci_u32_e64 v13, null, 0, v13, s0
	s_wait_alu 0xfffd
	v_cndmask_b32_e64 v16, 0, -1, vcc_lo
	s_delay_alu instid0(VALU_DEP_2)
	v_cmp_le_u32_e32 vcc_lo, s31, v13
	s_wait_alu 0xfffd
	v_cndmask_b32_e64 v17, 0, -1, vcc_lo
	v_cmp_le_u32_e32 vcc_lo, s30, v9
	s_wait_alu 0xfffd
	v_cndmask_b32_e64 v9, 0, -1, vcc_lo
	;; [unrolled: 3-line block ×3, first 2 shown]
	v_cmp_eq_u32_e32 vcc_lo, s31, v13
	s_wait_alu 0xfffd
	v_cndmask_b32_e32 v13, v17, v16, vcc_lo
	v_add_co_u32 v16, vcc_lo, v11, 1
	s_wait_alu 0xfffd
	v_add_co_ci_u32_e64 v17, null, 0, v12, vcc_lo
	v_cmp_eq_u32_e32 vcc_lo, s31, v10
	s_wait_alu 0xfffd
	v_cndmask_b32_e32 v9, v18, v9, vcc_lo
	v_cmp_ne_u32_e32 vcc_lo, 0, v13
	s_wait_alu 0xfffd
	v_cndmask_b32_e32 v10, v17, v15, vcc_lo
	s_delay_alu instid0(VALU_DEP_3) | instskip(SKIP_2) | instid1(VALU_DEP_2)
	v_cmp_ne_u32_e64 s0, 0, v9
	v_cndmask_b32_e32 v9, v16, v14, vcc_lo
	s_wait_alu 0xf1ff
	v_cndmask_b32_e64 v10, v12, v10, s0
	s_delay_alu instid0(VALU_DEP_2) | instskip(NEXT) | instid1(VALU_DEP_2)
	v_cndmask_b32_e64 v9, v11, v9, s0
	v_xor_b32_e32 v10, v10, v2
	s_delay_alu instid0(VALU_DEP_2) | instskip(NEXT) | instid1(VALU_DEP_1)
	v_xor_b32_e32 v9, v9, v2
	v_sub_co_u32 v9, vcc_lo, v9, v2
	s_wait_alu 0xfffd
	s_delay_alu instid0(VALU_DEP_3)
	v_sub_co_ci_u32_e64 v10, null, v10, v2, vcc_lo
.LBB62_5:                               ;   in Loop: Header=BB62_3 Depth=1
	s_and_not1_saveexec_b32 s0, s33
	s_cbranch_execz .LBB62_2
; %bb.6:                                ;   in Loop: Header=BB62_3 Depth=1
	v_mul_hi_u32 v2, v3, v0
	s_delay_alu instid0(VALU_DEP_1) | instskip(NEXT) | instid1(VALU_DEP_1)
	v_mul_lo_u32 v9, v2, s4
	v_sub_nc_u32_e32 v9, v3, v9
	s_delay_alu instid0(VALU_DEP_1) | instskip(SKIP_2) | instid1(VALU_DEP_2)
	v_subrev_nc_u32_e32 v11, s4, v9
	v_cmp_le_u32_e32 vcc_lo, s4, v9
	s_wait_alu 0xfffd
	v_dual_cndmask_b32 v9, v9, v11 :: v_dual_add_nc_u32 v10, 1, v2
	s_delay_alu instid0(VALU_DEP_1) | instskip(NEXT) | instid1(VALU_DEP_2)
	v_cndmask_b32_e32 v2, v2, v10, vcc_lo
	v_cmp_le_u32_e32 vcc_lo, s4, v9
	s_delay_alu instid0(VALU_DEP_2) | instskip(SKIP_1) | instid1(VALU_DEP_1)
	v_add_nc_u32_e32 v10, 1, v2
	s_wait_alu 0xfffd
	v_dual_cndmask_b32 v9, v2, v10 :: v_dual_mov_b32 v10, v1
	s_branch .LBB62_2
.LBB62_7:
	s_endpgm
	.section	.rodata,"a",@progbits
	.p2align	6, 0x0
	.amdhsa_kernel _ZN2at6native12_GLOBAL__N_16kernel17gru_cell_backwardIN3c108BFloat16EflLi1EEEvNS_4cuda6detail10TensorInfoIT_T1_EESB_SB_SB_SB_SA_SA_
		.amdhsa_group_segment_fixed_size 0
		.amdhsa_private_segment_fixed_size 0
		.amdhsa_kernarg_size 2352
		.amdhsa_user_sgpr_count 2
		.amdhsa_user_sgpr_dispatch_ptr 0
		.amdhsa_user_sgpr_queue_ptr 0
		.amdhsa_user_sgpr_kernarg_segment_ptr 1
		.amdhsa_user_sgpr_dispatch_id 0
		.amdhsa_user_sgpr_private_segment_size 0
		.amdhsa_wavefront_size32 1
		.amdhsa_uses_dynamic_stack 0
		.amdhsa_enable_private_segment 0
		.amdhsa_system_sgpr_workgroup_id_x 1
		.amdhsa_system_sgpr_workgroup_id_y 0
		.amdhsa_system_sgpr_workgroup_id_z 0
		.amdhsa_system_sgpr_workgroup_info 0
		.amdhsa_system_vgpr_workitem_id 0
		.amdhsa_next_free_vgpr 36
		.amdhsa_next_free_sgpr 44
		.amdhsa_reserve_vcc 1
		.amdhsa_float_round_mode_32 0
		.amdhsa_float_round_mode_16_64 0
		.amdhsa_float_denorm_mode_32 3
		.amdhsa_float_denorm_mode_16_64 3
		.amdhsa_fp16_overflow 0
		.amdhsa_workgroup_processor_mode 1
		.amdhsa_memory_ordered 1
		.amdhsa_forward_progress 1
		.amdhsa_inst_pref_size 23
		.amdhsa_round_robin_scheduling 0
		.amdhsa_exception_fp_ieee_invalid_op 0
		.amdhsa_exception_fp_denorm_src 0
		.amdhsa_exception_fp_ieee_div_zero 0
		.amdhsa_exception_fp_ieee_overflow 0
		.amdhsa_exception_fp_ieee_underflow 0
		.amdhsa_exception_fp_ieee_inexact 0
		.amdhsa_exception_int_div_zero 0
	.end_amdhsa_kernel
	.section	.text._ZN2at6native12_GLOBAL__N_16kernel17gru_cell_backwardIN3c108BFloat16EflLi1EEEvNS_4cuda6detail10TensorInfoIT_T1_EESB_SB_SB_SB_SA_SA_,"axG",@progbits,_ZN2at6native12_GLOBAL__N_16kernel17gru_cell_backwardIN3c108BFloat16EflLi1EEEvNS_4cuda6detail10TensorInfoIT_T1_EESB_SB_SB_SB_SA_SA_,comdat
.Lfunc_end62:
	.size	_ZN2at6native12_GLOBAL__N_16kernel17gru_cell_backwardIN3c108BFloat16EflLi1EEEvNS_4cuda6detail10TensorInfoIT_T1_EESB_SB_SB_SB_SA_SA_, .Lfunc_end62-_ZN2at6native12_GLOBAL__N_16kernel17gru_cell_backwardIN3c108BFloat16EflLi1EEEvNS_4cuda6detail10TensorInfoIT_T1_EESB_SB_SB_SB_SA_SA_
                                        ; -- End function
	.set _ZN2at6native12_GLOBAL__N_16kernel17gru_cell_backwardIN3c108BFloat16EflLi1EEEvNS_4cuda6detail10TensorInfoIT_T1_EESB_SB_SB_SB_SA_SA_.num_vgpr, 36
	.set _ZN2at6native12_GLOBAL__N_16kernel17gru_cell_backwardIN3c108BFloat16EflLi1EEEvNS_4cuda6detail10TensorInfoIT_T1_EESB_SB_SB_SB_SA_SA_.num_agpr, 0
	.set _ZN2at6native12_GLOBAL__N_16kernel17gru_cell_backwardIN3c108BFloat16EflLi1EEEvNS_4cuda6detail10TensorInfoIT_T1_EESB_SB_SB_SB_SA_SA_.numbered_sgpr, 44
	.set _ZN2at6native12_GLOBAL__N_16kernel17gru_cell_backwardIN3c108BFloat16EflLi1EEEvNS_4cuda6detail10TensorInfoIT_T1_EESB_SB_SB_SB_SA_SA_.num_named_barrier, 0
	.set _ZN2at6native12_GLOBAL__N_16kernel17gru_cell_backwardIN3c108BFloat16EflLi1EEEvNS_4cuda6detail10TensorInfoIT_T1_EESB_SB_SB_SB_SA_SA_.private_seg_size, 0
	.set _ZN2at6native12_GLOBAL__N_16kernel17gru_cell_backwardIN3c108BFloat16EflLi1EEEvNS_4cuda6detail10TensorInfoIT_T1_EESB_SB_SB_SB_SA_SA_.uses_vcc, 1
	.set _ZN2at6native12_GLOBAL__N_16kernel17gru_cell_backwardIN3c108BFloat16EflLi1EEEvNS_4cuda6detail10TensorInfoIT_T1_EESB_SB_SB_SB_SA_SA_.uses_flat_scratch, 0
	.set _ZN2at6native12_GLOBAL__N_16kernel17gru_cell_backwardIN3c108BFloat16EflLi1EEEvNS_4cuda6detail10TensorInfoIT_T1_EESB_SB_SB_SB_SA_SA_.has_dyn_sized_stack, 0
	.set _ZN2at6native12_GLOBAL__N_16kernel17gru_cell_backwardIN3c108BFloat16EflLi1EEEvNS_4cuda6detail10TensorInfoIT_T1_EESB_SB_SB_SB_SA_SA_.has_recursion, 0
	.set _ZN2at6native12_GLOBAL__N_16kernel17gru_cell_backwardIN3c108BFloat16EflLi1EEEvNS_4cuda6detail10TensorInfoIT_T1_EESB_SB_SB_SB_SA_SA_.has_indirect_call, 0
	.section	.AMDGPU.csdata,"",@progbits
; Kernel info:
; codeLenInByte = 2876
; TotalNumSgprs: 46
; NumVgprs: 36
; ScratchSize: 0
; MemoryBound: 0
; FloatMode: 240
; IeeeMode: 1
; LDSByteSize: 0 bytes/workgroup (compile time only)
; SGPRBlocks: 0
; VGPRBlocks: 4
; NumSGPRsForWavesPerEU: 46
; NumVGPRsForWavesPerEU: 36
; Occupancy: 16
; WaveLimiterHint : 1
; COMPUTE_PGM_RSRC2:SCRATCH_EN: 0
; COMPUTE_PGM_RSRC2:USER_SGPR: 2
; COMPUTE_PGM_RSRC2:TRAP_HANDLER: 0
; COMPUTE_PGM_RSRC2:TGID_X_EN: 1
; COMPUTE_PGM_RSRC2:TGID_Y_EN: 0
; COMPUTE_PGM_RSRC2:TGID_Z_EN: 0
; COMPUTE_PGM_RSRC2:TIDIG_COMP_CNT: 0
	.section	.text._ZN2at6native12_GLOBAL__N_16kernel17gru_cell_backwardIN3c108BFloat16EflLi2EEEvNS_4cuda6detail10TensorInfoIT_T1_EESB_SB_SB_SB_SA_SA_,"axG",@progbits,_ZN2at6native12_GLOBAL__N_16kernel17gru_cell_backwardIN3c108BFloat16EflLi2EEEvNS_4cuda6detail10TensorInfoIT_T1_EESB_SB_SB_SB_SA_SA_,comdat
	.globl	_ZN2at6native12_GLOBAL__N_16kernel17gru_cell_backwardIN3c108BFloat16EflLi2EEEvNS_4cuda6detail10TensorInfoIT_T1_EESB_SB_SB_SB_SA_SA_ ; -- Begin function _ZN2at6native12_GLOBAL__N_16kernel17gru_cell_backwardIN3c108BFloat16EflLi2EEEvNS_4cuda6detail10TensorInfoIT_T1_EESB_SB_SB_SB_SA_SA_
	.p2align	8
	.type	_ZN2at6native12_GLOBAL__N_16kernel17gru_cell_backwardIN3c108BFloat16EflLi2EEEvNS_4cuda6detail10TensorInfoIT_T1_EESB_SB_SB_SB_SA_SA_,@function
_ZN2at6native12_GLOBAL__N_16kernel17gru_cell_backwardIN3c108BFloat16EflLi2EEEvNS_4cuda6detail10TensorInfoIT_T1_EESB_SB_SB_SB_SA_SA_: ; @_ZN2at6native12_GLOBAL__N_16kernel17gru_cell_backwardIN3c108BFloat16EflLi2EEEvNS_4cuda6detail10TensorInfoIT_T1_EESB_SB_SB_SB_SA_SA_
; %bb.0:
	s_clause 0x1
	s_load_b32 s2, s[0:1], 0x83c
	s_load_b128 s[4:7], s[0:1], 0x820
	v_mov_b32_e32 v1, 0
	s_wait_kmcnt 0x0
	s_and_b32 s33, s2, 0xffff
	s_mov_b32 s2, exec_lo
	s_delay_alu instid0(VALU_DEP_1) | instskip(SKIP_1) | instid1(VALU_DEP_1)
	v_mad_co_u64_u32 v[3:4], null, ttmp9, s33, v[0:1]
	v_mov_b32_e32 v4, v1
	v_cmpx_gt_i64_e64 s[6:7], v[3:4]
	s_cbranch_execz .LBB63_59
; %bb.1:
	s_clause 0x1
	s_load_b64 s[2:3], s[0:1], 0x690
	s_load_b64 s[28:29], s[0:1], 0x680
	v_cvt_f32_u32_e32 v0, s4
	s_add_nc_u64 s[12:13], s[0:1], 0x830
	s_clause 0x3
	s_load_b64 s[30:31], s[0:1], 0x0
	s_load_b64 s[34:35], s[0:1], 0x10
	s_load_b128 s[8:11], s[0:1], 0xd0
	s_load_b64 s[36:37], s[0:1], 0x1a0
	s_load_b32 s48, s[12:13], 0x0
	s_clause 0x8
	s_load_b64 s[38:39], s[0:1], 0x1b0
	s_load_b128 s[12:15], s[0:1], 0x270
	s_load_b64 s[40:41], s[0:1], 0x340
	s_load_b64 s[42:43], s[0:1], 0x350
	s_load_b128 s[16:19], s[0:1], 0x410
	s_load_b64 s[44:45], s[0:1], 0x4e0
	s_load_b64 s[46:47], s[0:1], 0x4f0
	s_load_b128 s[20:23], s[0:1], 0x5b0
	s_load_b128 s[24:27], s[0:1], 0x750
	s_mov_b32 s1, 0
	v_rcp_iflag_f32_e32 v0, v0
	s_lshl_b64 s[50:51], s[4:5], 1
	s_ashr_i32 s56, s5, 31
	s_mov_b32 s62, 0
	s_delay_alu instid0(TRANS32_DEP_1)
	v_mul_f32_e32 v0, 0x4f7ffffe, v0
	s_wait_kmcnt 0x0
	s_mul_i32 s33, s48, s33
	s_lshl_b64 s[48:49], s[4:5], 2
	v_cvt_f32_u32_e32 v2, s2
	v_cvt_u32_f32_e32 v0, v0
	s_sub_nc_u64 s[52:53], 0, s[42:43]
	s_sub_nc_u64 s[54:55], 0, s[46:47]
	s_delay_alu instid0(VALU_DEP_2) | instskip(NEXT) | instid1(TRANS32_DEP_1)
	v_rcp_iflag_f32_e32 v2, v2
	v_mul_f32_e32 v2, 0x4f7ffffe, v2
	s_delay_alu instid0(VALU_DEP_1)
	v_cvt_u32_f32_e32 v13, v2
	s_branch .LBB63_3
.LBB63_2:                               ;   in Loop: Header=BB63_3 Depth=1
	s_wait_alu 0xfffe
	s_or_b32 exec_lo, exec_lo, s0
	s_delay_alu instid0(VALU_DEP_1)
	v_mad_co_u64_u32 v[7:8], null, s54, v5, v[3:4]
	v_mul_lo_u32 v2, s54, v6
	v_mul_lo_u32 v9, s55, v5
	v_mul_f32_e32 v10, v15, v16
	v_mul_lo_u32 v11, v6, s20
	v_mul_lo_u32 v12, v5, s21
	v_mad_co_u64_u32 v[5:6], null, v5, s20, 0
	v_mul_lo_u32 v14, v7, s23
	v_add_co_u32 v3, vcc_lo, v3, s33
	v_add3_u32 v2, v9, v8, v2
	v_bfe_u32 v9, v10, 16, 1
	v_mad_co_u64_u32 v[7:8], null, v7, s22, 0
	v_add3_u32 v6, v6, v12, v11
	s_delay_alu instid0(VALU_DEP_4) | instskip(NEXT) | instid1(VALU_DEP_4)
	v_mul_lo_u32 v2, v2, s22
	v_add3_u32 v9, v10, v9, 0x7fff
	s_wait_alu 0xfffd
	v_add_co_ci_u32_e64 v4, null, 0, v4, vcc_lo
	v_lshlrev_b64_e32 v[5:6], 1, v[5:6]
	v_cmp_o_f32_e32 vcc_lo, v10, v10
	v_lshrrev_b32_e32 v9, 16, v9
	v_add3_u32 v8, v8, v14, v2
	s_wait_alu 0xfffd
	s_delay_alu instid0(VALU_DEP_2) | instskip(SKIP_1) | instid1(VALU_DEP_3)
	v_cndmask_b32_e32 v2, 0x7fc0, v9, vcc_lo
	v_add_co_u32 v5, vcc_lo, s44, v5
	v_lshlrev_b64_e32 v[7:8], 1, v[7:8]
	s_wait_alu 0xfffd
	v_add_co_ci_u32_e64 v6, null, s45, v6, vcc_lo
	v_cmp_le_i64_e32 vcc_lo, s[6:7], v[3:4]
	s_delay_alu instid0(VALU_DEP_3) | instskip(SKIP_1) | instid1(VALU_DEP_3)
	v_add_co_u32 v5, s0, v5, v7
	s_wait_alu 0xf1ff
	v_add_co_ci_u32_e64 v6, null, v6, v8, s0
	s_or_b32 s62, vcc_lo, s62
	global_store_b16 v[5:6], v2, off
	s_and_not1_b32 exec_lo, exec_lo, s62
	s_cbranch_execz .LBB63_59
.LBB63_3:                               ; =>This Inner Loop Header: Depth=1
	v_or_b32_e32 v2, s5, v4
	v_ashrrev_i32_e32 v14, 31, v4
                                        ; implicit-def: $vgpr5_vgpr6
	s_mov_b32 s0, exec_lo
	s_delay_alu instid0(VALU_DEP_2)
	v_cmpx_ne_u64_e32 0, v[1:2]
	s_wait_alu 0xfffe
	s_xor_b32 s60, exec_lo, s0
	s_cbranch_execz .LBB63_5
; %bb.4:                                ;   in Loop: Header=BB63_3 Depth=1
	s_mov_b32 s57, s56
	v_add_co_u32 v2, vcc_lo, v3, v14
	s_wait_alu 0xfffe
	s_add_nc_u64 s[58:59], s[4:5], s[56:57]
	s_wait_alu 0xfffd
	v_add_co_ci_u32_e64 v5, null, v4, v14, vcc_lo
	s_wait_alu 0xfffe
	s_xor_b64 s[58:59], s[58:59], s[56:57]
	v_xor_b32_e32 v2, v2, v14
	s_wait_alu 0xfffe
	s_cvt_f32_u32 s0, s58
	s_cvt_f32_u32 s57, s59
	s_sub_nc_u64 s[66:67], 0, s[58:59]
	v_xor_b32_e32 v11, v5, v14
	s_wait_alu 0xfffe
	s_fmamk_f32 s0, s57, 0x4f800000, s0
	s_wait_alu 0xfffe
	s_delay_alu instid0(SALU_CYCLE_2) | instskip(NEXT) | instid1(TRANS32_DEP_1)
	v_s_rcp_f32 s0, s0
	s_mul_f32 s0, s0, 0x5f7ffffc
	s_wait_alu 0xfffe
	s_delay_alu instid0(SALU_CYCLE_2) | instskip(SKIP_1) | instid1(SALU_CYCLE_2)
	s_mul_f32 s57, s0, 0x2f800000
	s_wait_alu 0xfffe
	s_trunc_f32 s57, s57
	s_wait_alu 0xfffe
	s_delay_alu instid0(SALU_CYCLE_2) | instskip(SKIP_2) | instid1(SALU_CYCLE_1)
	s_fmamk_f32 s0, s57, 0xcf800000, s0
	s_cvt_u32_f32 s65, s57
	s_wait_alu 0xfffe
	s_cvt_u32_f32 s64, s0
	s_delay_alu instid0(SALU_CYCLE_3) | instskip(NEXT) | instid1(SALU_CYCLE_1)
	s_mul_u64 s[68:69], s[66:67], s[64:65]
	s_mul_hi_u32 s71, s64, s69
	s_mul_i32 s70, s64, s69
	s_mul_hi_u32 s0, s64, s68
	s_mul_i32 s61, s65, s68
	s_wait_alu 0xfffe
	s_add_nc_u64 s[70:71], s[0:1], s[70:71]
	s_mul_hi_u32 s57, s65, s68
	s_mul_hi_u32 s63, s65, s69
	s_add_co_u32 s0, s70, s61
	s_wait_alu 0xfffe
	s_add_co_ci_u32 s0, s71, s57
	s_mul_i32 s68, s65, s69
	s_add_co_ci_u32 s69, s63, 0
	s_wait_alu 0xfffe
	s_add_nc_u64 s[68:69], s[0:1], s[68:69]
	s_delay_alu instid0(SALU_CYCLE_1) | instskip(SKIP_4) | instid1(SALU_CYCLE_1)
	s_add_co_u32 s64, s64, s68
	s_cselect_b32 s0, -1, 0
	s_wait_alu 0xfffe
	s_cmp_lg_u32 s0, 0
	s_add_co_ci_u32 s65, s65, s69
	s_mul_u64 s[66:67], s[66:67], s[64:65]
	s_delay_alu instid0(SALU_CYCLE_1)
	s_mul_hi_u32 s69, s64, s67
	s_mul_i32 s68, s64, s67
	s_mul_hi_u32 s0, s64, s66
	s_mul_i32 s61, s65, s66
	s_wait_alu 0xfffe
	s_add_nc_u64 s[68:69], s[0:1], s[68:69]
	s_mul_hi_u32 s57, s65, s66
	s_mul_hi_u32 s63, s65, s67
	s_add_co_u32 s0, s68, s61
	s_wait_alu 0xfffe
	s_add_co_ci_u32 s0, s69, s57
	s_mul_i32 s66, s65, s67
	s_add_co_ci_u32 s67, s63, 0
	s_wait_alu 0xfffe
	s_add_nc_u64 s[66:67], s[0:1], s[66:67]
	s_delay_alu instid0(SALU_CYCLE_1)
	s_add_co_u32 s0, s64, s66
	s_cselect_b32 s57, -1, 0
	s_wait_alu 0xfffe
	v_mul_hi_u32 v12, v2, s0
	s_cmp_lg_u32 s57, 0
	v_mad_co_u64_u32 v[7:8], null, v11, s0, 0
	s_add_co_ci_u32 s57, s65, s67
	s_wait_alu 0xfffe
	v_mad_co_u64_u32 v[5:6], null, v2, s57, 0
	v_mad_co_u64_u32 v[9:10], null, v11, s57, 0
	s_delay_alu instid0(VALU_DEP_2) | instskip(SKIP_1) | instid1(VALU_DEP_3)
	v_add_co_u32 v5, vcc_lo, v12, v5
	s_wait_alu 0xfffd
	v_add_co_ci_u32_e64 v6, null, 0, v6, vcc_lo
	s_delay_alu instid0(VALU_DEP_2) | instskip(SKIP_1) | instid1(VALU_DEP_2)
	v_add_co_u32 v5, vcc_lo, v5, v7
	s_wait_alu 0xfffd
	v_add_co_ci_u32_e32 v5, vcc_lo, v6, v8, vcc_lo
	s_wait_alu 0xfffd
	v_add_co_ci_u32_e32 v6, vcc_lo, 0, v10, vcc_lo
	s_delay_alu instid0(VALU_DEP_2) | instskip(SKIP_1) | instid1(VALU_DEP_2)
	v_add_co_u32 v7, vcc_lo, v5, v9
	s_wait_alu 0xfffd
	v_add_co_ci_u32_e64 v8, null, 0, v6, vcc_lo
	s_delay_alu instid0(VALU_DEP_2) | instskip(SKIP_1) | instid1(VALU_DEP_3)
	v_mul_lo_u32 v9, s59, v7
	v_mad_co_u64_u32 v[5:6], null, s58, v7, 0
	v_mul_lo_u32 v10, s58, v8
	s_delay_alu instid0(VALU_DEP_2) | instskip(NEXT) | instid1(VALU_DEP_2)
	v_sub_co_u32 v2, vcc_lo, v2, v5
	v_add3_u32 v6, v6, v10, v9
	s_delay_alu instid0(VALU_DEP_1) | instskip(SKIP_2) | instid1(VALU_DEP_2)
	v_sub_nc_u32_e32 v9, v11, v6
	s_wait_alu 0xfffd
	v_sub_co_ci_u32_e64 v6, null, v11, v6, vcc_lo
	v_subrev_co_ci_u32_e64 v5, null, s59, v9, vcc_lo
	v_add_co_u32 v9, s0, v7, 2
	s_wait_alu 0xf1ff
	v_add_co_ci_u32_e64 v10, null, 0, v8, s0
	v_sub_co_u32 v12, s0, v2, s58
	s_wait_alu 0xf1ff
	v_subrev_co_ci_u32_e64 v5, null, 0, v5, s0
	s_delay_alu instid0(VALU_DEP_2) | instskip(SKIP_2) | instid1(VALU_DEP_3)
	v_cmp_le_u32_e32 vcc_lo, s58, v12
	s_wait_alu 0xfffd
	v_cndmask_b32_e64 v11, 0, -1, vcc_lo
	v_cmp_le_u32_e32 vcc_lo, s59, v5
	s_wait_alu 0xfffd
	v_cndmask_b32_e64 v12, 0, -1, vcc_lo
	;; [unrolled: 3-line block ×4, first 2 shown]
	v_cmp_eq_u32_e32 vcc_lo, s59, v5
	s_wait_alu 0xfffd
	v_cndmask_b32_e32 v5, v12, v11, vcc_lo
	v_add_co_u32 v11, vcc_lo, v7, 1
	s_wait_alu 0xfffd
	v_add_co_ci_u32_e64 v12, null, 0, v8, vcc_lo
	v_cmp_eq_u32_e32 vcc_lo, s59, v6
	v_xor_b32_e32 v6, s56, v14
	s_wait_alu 0xfffd
	v_cndmask_b32_e32 v2, v15, v2, vcc_lo
	v_cmp_ne_u32_e32 vcc_lo, 0, v5
	s_delay_alu instid0(VALU_DEP_2) | instskip(SKIP_3) | instid1(VALU_DEP_1)
	v_cmp_ne_u32_e64 s0, 0, v2
	s_wait_alu 0xfffd
	v_dual_cndmask_b32 v5, v12, v10 :: v_dual_cndmask_b32 v2, v11, v9
	s_wait_alu 0xf1ff
	v_cndmask_b32_e64 v5, v8, v5, s0
	s_delay_alu instid0(VALU_DEP_2) | instskip(NEXT) | instid1(VALU_DEP_2)
	v_cndmask_b32_e64 v2, v7, v2, s0
	v_xor_b32_e32 v7, v5, v6
	s_delay_alu instid0(VALU_DEP_2) | instskip(NEXT) | instid1(VALU_DEP_1)
	v_xor_b32_e32 v2, v2, v6
	v_sub_co_u32 v5, vcc_lo, v2, v6
	s_wait_alu 0xfffd
	s_delay_alu instid0(VALU_DEP_3)
	v_sub_co_ci_u32_e64 v6, null, v7, v6, vcc_lo
.LBB63_5:                               ;   in Loop: Header=BB63_3 Depth=1
	s_wait_alu 0xfffe
	s_and_not1_saveexec_b32 s0, s60
	s_cbranch_execz .LBB63_7
; %bb.6:                                ;   in Loop: Header=BB63_3 Depth=1
	s_sub_co_i32 s57, 0, s4
	s_wait_alu 0xfffe
	v_mul_lo_u32 v2, s57, v0
	s_delay_alu instid0(VALU_DEP_1) | instskip(NEXT) | instid1(VALU_DEP_1)
	v_mul_hi_u32 v2, v0, v2
	v_add_nc_u32_e32 v2, v0, v2
	s_delay_alu instid0(VALU_DEP_1) | instskip(NEXT) | instid1(VALU_DEP_1)
	v_mul_hi_u32 v2, v3, v2
	v_mul_lo_u32 v5, v2, s4
	v_add_nc_u32_e32 v6, 1, v2
	s_delay_alu instid0(VALU_DEP_2) | instskip(NEXT) | instid1(VALU_DEP_1)
	v_sub_nc_u32_e32 v5, v3, v5
	v_subrev_nc_u32_e32 v7, s4, v5
	v_cmp_le_u32_e32 vcc_lo, s4, v5
	s_wait_alu 0xfffd
	s_delay_alu instid0(VALU_DEP_2) | instskip(NEXT) | instid1(VALU_DEP_1)
	v_dual_cndmask_b32 v5, v5, v7 :: v_dual_cndmask_b32 v2, v2, v6
	v_cmp_le_u32_e32 vcc_lo, s4, v5
	s_delay_alu instid0(VALU_DEP_2) | instskip(SKIP_1) | instid1(VALU_DEP_1)
	v_add_nc_u32_e32 v6, 1, v2
	s_wait_alu 0xfffd
	v_dual_cndmask_b32 v5, v2, v6 :: v_dual_mov_b32 v6, v1
.LBB63_7:                               ;   in Loop: Header=BB63_3 Depth=1
	s_wait_alu 0xfffe
	s_or_b32 exec_lo, exec_lo, s0
	s_delay_alu instid0(VALU_DEP_1) | instskip(NEXT) | instid1(VALU_DEP_2)
	v_mul_lo_u32 v2, s49, v5
	v_mul_lo_u32 v9, s48, v6
	v_mad_co_u64_u32 v[7:8], null, s48, v5, 0
	s_mov_b32 s0, exec_lo
	v_add3_u32 v8, v8, v9, v2
	v_add_co_u32 v11, vcc_lo, v3, v7
                                        ; implicit-def: $vgpr9_vgpr10
	s_wait_alu 0xfffd
	s_delay_alu instid0(VALU_DEP_2) | instskip(NEXT) | instid1(VALU_DEP_1)
	v_add_co_ci_u32_e64 v12, null, v4, v8, vcc_lo
	v_or_b32_e32 v2, s3, v12
	s_delay_alu instid0(VALU_DEP_1)
	v_cmpx_ne_u64_e32 0, v[1:2]
	s_wait_alu 0xfffe
	s_xor_b32 s57, exec_lo, s0
	s_cbranch_execz .LBB63_9
; %bb.8:                                ;   in Loop: Header=BB63_3 Depth=1
	s_ashr_i32 s58, s3, 31
	v_ashrrev_i32_e32 v2, 31, v12
	s_wait_alu 0xfffe
	s_mov_b32 s59, s58
	s_wait_alu 0xfffe
	s_add_nc_u64 s[60:61], s[2:3], s[58:59]
	v_add_co_u32 v9, vcc_lo, v11, v2
	s_wait_alu 0xfffe
	s_xor_b64 s[60:61], s[60:61], s[58:59]
	s_wait_alu 0xfffd
	v_add_co_ci_u32_e64 v10, null, v12, v2, vcc_lo
	s_wait_alu 0xfffe
	s_cvt_f32_u32 s0, s60
	s_cvt_f32_u32 s59, s61
	s_sub_nc_u64 s[66:67], 0, s[60:61]
	v_xor_b32_e32 v17, v9, v2
	v_xor_b32_e32 v18, v10, v2
	s_wait_alu 0xfffe
	s_fmamk_f32 s0, s59, 0x4f800000, s0
	v_xor_b32_e32 v2, s58, v2
	s_wait_alu 0xfffe
	s_delay_alu instid0(SALU_CYCLE_1) | instskip(NEXT) | instid1(TRANS32_DEP_1)
	v_s_rcp_f32 s0, s0
	s_mul_f32 s0, s0, 0x5f7ffffc
	s_wait_alu 0xfffe
	s_delay_alu instid0(SALU_CYCLE_2) | instskip(SKIP_1) | instid1(SALU_CYCLE_2)
	s_mul_f32 s59, s0, 0x2f800000
	s_wait_alu 0xfffe
	s_trunc_f32 s59, s59
	s_wait_alu 0xfffe
	s_delay_alu instid0(SALU_CYCLE_2) | instskip(SKIP_2) | instid1(SALU_CYCLE_1)
	s_fmamk_f32 s0, s59, 0xcf800000, s0
	s_cvt_u32_f32 s65, s59
	s_wait_alu 0xfffe
	s_cvt_u32_f32 s64, s0
	s_delay_alu instid0(SALU_CYCLE_3) | instskip(NEXT) | instid1(SALU_CYCLE_1)
	s_mul_u64 s[68:69], s[66:67], s[64:65]
	s_mul_hi_u32 s71, s64, s69
	s_mul_i32 s70, s64, s69
	s_mul_hi_u32 s0, s64, s68
	s_mul_i32 s63, s65, s68
	s_wait_alu 0xfffe
	s_add_nc_u64 s[70:71], s[0:1], s[70:71]
	s_mul_hi_u32 s59, s65, s68
	s_mul_hi_u32 s72, s65, s69
	s_add_co_u32 s0, s70, s63
	s_wait_alu 0xfffe
	s_add_co_ci_u32 s0, s71, s59
	s_mul_i32 s68, s65, s69
	s_add_co_ci_u32 s69, s72, 0
	s_wait_alu 0xfffe
	s_add_nc_u64 s[68:69], s[0:1], s[68:69]
	s_delay_alu instid0(SALU_CYCLE_1) | instskip(SKIP_4) | instid1(SALU_CYCLE_1)
	s_add_co_u32 s64, s64, s68
	s_cselect_b32 s0, -1, 0
	s_wait_alu 0xfffe
	s_cmp_lg_u32 s0, 0
	s_add_co_ci_u32 s65, s65, s69
	s_mul_u64 s[66:67], s[66:67], s[64:65]
	s_delay_alu instid0(SALU_CYCLE_1)
	s_mul_hi_u32 s69, s64, s67
	s_mul_i32 s68, s64, s67
	s_mul_hi_u32 s0, s64, s66
	s_mul_i32 s63, s65, s66
	s_wait_alu 0xfffe
	s_add_nc_u64 s[68:69], s[0:1], s[68:69]
	s_mul_hi_u32 s59, s65, s66
	s_mul_hi_u32 s70, s65, s67
	s_add_co_u32 s0, s68, s63
	s_wait_alu 0xfffe
	s_add_co_ci_u32 s0, s69, s59
	s_mul_i32 s66, s65, s67
	s_add_co_ci_u32 s67, s70, 0
	s_wait_alu 0xfffe
	s_add_nc_u64 s[66:67], s[0:1], s[66:67]
	s_delay_alu instid0(SALU_CYCLE_1)
	s_add_co_u32 s0, s64, s66
	s_cselect_b32 s59, -1, 0
	s_wait_alu 0xfffe
	v_mul_hi_u32 v19, v17, s0
	s_cmp_lg_u32 s59, 0
	v_mad_co_u64_u32 v[11:12], null, v18, s0, 0
	s_add_co_ci_u32 s59, s65, s67
	s_wait_alu 0xfffe
	v_mad_co_u64_u32 v[9:10], null, v17, s59, 0
	v_mad_co_u64_u32 v[15:16], null, v18, s59, 0
	s_delay_alu instid0(VALU_DEP_2) | instskip(SKIP_1) | instid1(VALU_DEP_3)
	v_add_co_u32 v9, vcc_lo, v19, v9
	s_wait_alu 0xfffd
	v_add_co_ci_u32_e64 v10, null, 0, v10, vcc_lo
	s_delay_alu instid0(VALU_DEP_2) | instskip(SKIP_1) | instid1(VALU_DEP_2)
	v_add_co_u32 v9, vcc_lo, v9, v11
	s_wait_alu 0xfffd
	v_add_co_ci_u32_e32 v9, vcc_lo, v10, v12, vcc_lo
	s_wait_alu 0xfffd
	v_add_co_ci_u32_e32 v10, vcc_lo, 0, v16, vcc_lo
	s_delay_alu instid0(VALU_DEP_2) | instskip(SKIP_1) | instid1(VALU_DEP_2)
	v_add_co_u32 v11, vcc_lo, v9, v15
	s_wait_alu 0xfffd
	v_add_co_ci_u32_e64 v12, null, 0, v10, vcc_lo
	s_delay_alu instid0(VALU_DEP_2) | instskip(SKIP_1) | instid1(VALU_DEP_3)
	v_mul_lo_u32 v15, s61, v11
	v_mad_co_u64_u32 v[9:10], null, s60, v11, 0
	v_mul_lo_u32 v16, s60, v12
	s_delay_alu instid0(VALU_DEP_2) | instskip(NEXT) | instid1(VALU_DEP_2)
	v_sub_co_u32 v9, vcc_lo, v17, v9
	v_add3_u32 v10, v10, v16, v15
	v_add_co_u32 v16, s0, v11, 2
	s_wait_alu 0xf1ff
	v_add_co_ci_u32_e64 v17, null, 0, v12, s0
	s_delay_alu instid0(VALU_DEP_3) | instskip(SKIP_3) | instid1(VALU_DEP_3)
	v_sub_nc_u32_e32 v15, v18, v10
	v_sub_co_u32 v19, s0, v9, s60
	s_wait_alu 0xfffd
	v_sub_co_ci_u32_e64 v10, null, v18, v10, vcc_lo
	v_subrev_co_ci_u32_e64 v15, null, s61, v15, vcc_lo
	s_delay_alu instid0(VALU_DEP_3) | instskip(SKIP_1) | instid1(VALU_DEP_2)
	v_cmp_le_u32_e32 vcc_lo, s60, v19
	s_wait_alu 0xf1ff
	v_subrev_co_ci_u32_e64 v15, null, 0, v15, s0
	s_wait_alu 0xfffd
	v_cndmask_b32_e64 v18, 0, -1, vcc_lo
	s_delay_alu instid0(VALU_DEP_2)
	v_cmp_le_u32_e32 vcc_lo, s61, v15
	s_wait_alu 0xfffd
	v_cndmask_b32_e64 v19, 0, -1, vcc_lo
	v_cmp_le_u32_e32 vcc_lo, s60, v9
	s_wait_alu 0xfffd
	v_cndmask_b32_e64 v9, 0, -1, vcc_lo
	;; [unrolled: 3-line block ×3, first 2 shown]
	v_cmp_eq_u32_e32 vcc_lo, s61, v15
	s_wait_alu 0xfffd
	v_cndmask_b32_e32 v15, v19, v18, vcc_lo
	v_add_co_u32 v18, vcc_lo, v11, 1
	s_wait_alu 0xfffd
	v_add_co_ci_u32_e64 v19, null, 0, v12, vcc_lo
	v_cmp_eq_u32_e32 vcc_lo, s61, v10
	s_wait_alu 0xfffd
	v_cndmask_b32_e32 v9, v20, v9, vcc_lo
	v_cmp_ne_u32_e32 vcc_lo, 0, v15
	s_delay_alu instid0(VALU_DEP_2) | instskip(SKIP_3) | instid1(VALU_DEP_1)
	v_cmp_ne_u32_e64 s0, 0, v9
	s_wait_alu 0xfffd
	v_dual_cndmask_b32 v10, v19, v17 :: v_dual_cndmask_b32 v9, v18, v16
	s_wait_alu 0xf1ff
	v_cndmask_b32_e64 v10, v12, v10, s0
	s_delay_alu instid0(VALU_DEP_2) | instskip(NEXT) | instid1(VALU_DEP_2)
	v_cndmask_b32_e64 v9, v11, v9, s0
                                        ; implicit-def: $vgpr11
	v_xor_b32_e32 v10, v10, v2
	s_delay_alu instid0(VALU_DEP_2) | instskip(NEXT) | instid1(VALU_DEP_1)
	v_xor_b32_e32 v9, v9, v2
	v_sub_co_u32 v9, vcc_lo, v9, v2
	s_wait_alu 0xfffd
	s_delay_alu instid0(VALU_DEP_3)
	v_sub_co_ci_u32_e64 v10, null, v10, v2, vcc_lo
.LBB63_9:                               ;   in Loop: Header=BB63_3 Depth=1
	s_wait_alu 0xfffe
	s_and_not1_saveexec_b32 s0, s57
	s_cbranch_execz .LBB63_11
; %bb.10:                               ;   in Loop: Header=BB63_3 Depth=1
	s_sub_co_i32 s57, 0, s2
	s_wait_alu 0xfffe
	v_mul_lo_u32 v2, s57, v13
	s_delay_alu instid0(VALU_DEP_1) | instskip(NEXT) | instid1(VALU_DEP_1)
	v_mul_hi_u32 v2, v13, v2
	v_add_nc_u32_e32 v2, v13, v2
	s_delay_alu instid0(VALU_DEP_1) | instskip(NEXT) | instid1(VALU_DEP_1)
	v_mul_hi_u32 v2, v11, v2
	v_mul_lo_u32 v9, v2, s2
	s_delay_alu instid0(VALU_DEP_1) | instskip(NEXT) | instid1(VALU_DEP_1)
	v_sub_nc_u32_e32 v9, v11, v9
	v_subrev_nc_u32_e32 v11, s2, v9
	v_cmp_le_u32_e32 vcc_lo, s2, v9
	s_wait_alu 0xfffd
	s_delay_alu instid0(VALU_DEP_2) | instskip(NEXT) | instid1(VALU_DEP_1)
	v_dual_cndmask_b32 v9, v9, v11 :: v_dual_add_nc_u32 v10, 1, v2
	v_cndmask_b32_e32 v2, v2, v10, vcc_lo
	s_delay_alu instid0(VALU_DEP_2) | instskip(NEXT) | instid1(VALU_DEP_2)
	v_cmp_le_u32_e32 vcc_lo, s2, v9
	v_add_nc_u32_e32 v10, 1, v2
	s_wait_alu 0xfffd
	s_delay_alu instid0(VALU_DEP_1)
	v_dual_cndmask_b32 v9, v2, v10 :: v_dual_mov_b32 v10, v1
.LBB63_11:                              ;   in Loop: Header=BB63_3 Depth=1
	s_wait_alu 0xfffe
	s_or_b32 exec_lo, exec_lo, s0
	s_delay_alu instid0(VALU_DEP_1) | instskip(NEXT) | instid1(VALU_DEP_2)
	v_mul_lo_u32 v2, v10, s2
	v_mul_lo_u32 v15, v9, s3
	v_mad_co_u64_u32 v[11:12], null, v9, s2, 0
	s_mov_b32 s0, exec_lo
	v_add3_u32 v2, v12, v15, v2
	v_sub_co_u32 v7, vcc_lo, v7, v11
	v_mul_lo_u32 v12, v10, s24
	v_mul_lo_u32 v11, v9, s25
	s_wait_alu 0xfffd
	v_sub_co_ci_u32_e64 v2, null, v8, v2, vcc_lo
	v_add_co_u32 v10, vcc_lo, v3, v7
	v_mad_co_u64_u32 v[7:8], null, v9, s24, 0
	s_wait_alu 0xfffd
	s_delay_alu instid0(VALU_DEP_3) | instskip(NEXT) | instid1(VALU_DEP_3)
	v_add_co_ci_u32_e64 v2, null, v4, v2, vcc_lo
	v_mul_lo_u32 v15, v10, s27
	v_mad_co_u64_u32 v[9:10], null, v10, s26, 0
	s_delay_alu instid0(VALU_DEP_3) | instskip(SKIP_1) | instid1(VALU_DEP_1)
	v_mul_lo_u32 v2, v2, s26
	v_add3_u32 v8, v8, v11, v12
	v_lshlrev_b64_e32 v[7:8], 1, v[7:8]
	s_delay_alu instid0(VALU_DEP_3) | instskip(NEXT) | instid1(VALU_DEP_2)
	v_add3_u32 v10, v10, v15, v2
	v_add_co_u32 v2, vcc_lo, s28, v7
	s_delay_alu instid0(VALU_DEP_2) | instskip(SKIP_1) | instid1(VALU_DEP_4)
	v_lshlrev_b64_e32 v[9:10], 1, v[9:10]
	s_wait_alu 0xfffd
	v_add_co_ci_u32_e64 v8, null, s29, v8, vcc_lo
	s_delay_alu instid0(VALU_DEP_2) | instskip(SKIP_1) | instid1(VALU_DEP_2)
	v_add_co_u32 v7, vcc_lo, v2, v9
	s_wait_alu 0xfffd
	v_add_co_ci_u32_e64 v8, null, v8, v10, vcc_lo
	v_alignbit_b32 v2, v6, v5, 30
	global_load_u16 v17, v[7:8], off
	v_lshlrev_b64_e32 v[7:8], 2, v[5:6]
	v_mul_lo_u32 v2, s4, v2
	s_delay_alu instid0(VALU_DEP_2) | instskip(SKIP_1) | instid1(VALU_DEP_1)
	v_mul_lo_u32 v11, s5, v7
	v_mad_co_u64_u32 v[9:10], null, s4, v7, s[4:5]
	v_add3_u32 v10, v11, v10, v2
	s_delay_alu instid0(VALU_DEP_2) | instskip(SKIP_1) | instid1(VALU_DEP_2)
	v_add_co_u32 v15, vcc_lo, v3, v9
                                        ; implicit-def: $vgpr11_vgpr12
	s_wait_alu 0xfffd
	v_add_co_ci_u32_e64 v16, null, v4, v10, vcc_lo
	s_delay_alu instid0(VALU_DEP_1) | instskip(NEXT) | instid1(VALU_DEP_1)
	v_or_b32_e32 v2, s3, v16
	v_cmpx_ne_u64_e32 0, v[1:2]
	s_wait_alu 0xfffe
	s_xor_b32 s57, exec_lo, s0
	s_cbranch_execz .LBB63_13
; %bb.12:                               ;   in Loop: Header=BB63_3 Depth=1
	s_ashr_i32 s58, s3, 31
	v_ashrrev_i32_e32 v2, 31, v16
	s_wait_alu 0xfffe
	s_mov_b32 s59, s58
	s_wait_alu 0xfffe
	s_add_nc_u64 s[60:61], s[2:3], s[58:59]
	v_add_co_u32 v11, vcc_lo, v15, v2
	s_wait_alu 0xfffe
	s_xor_b64 s[60:61], s[60:61], s[58:59]
	s_wait_alu 0xfffd
	v_add_co_ci_u32_e64 v12, null, v16, v2, vcc_lo
	s_wait_alu 0xfffe
	s_cvt_f32_u32 s0, s60
	s_cvt_f32_u32 s59, s61
	s_sub_nc_u64 s[66:67], 0, s[60:61]
	v_xor_b32_e32 v20, v11, v2
	v_xor_b32_e32 v21, v12, v2
	s_wait_alu 0xfffe
	s_fmamk_f32 s0, s59, 0x4f800000, s0
	v_xor_b32_e32 v2, s58, v2
	s_wait_alu 0xfffe
	s_delay_alu instid0(SALU_CYCLE_1) | instskip(NEXT) | instid1(TRANS32_DEP_1)
	v_s_rcp_f32 s0, s0
	s_mul_f32 s0, s0, 0x5f7ffffc
	s_wait_alu 0xfffe
	s_delay_alu instid0(SALU_CYCLE_2) | instskip(SKIP_1) | instid1(SALU_CYCLE_2)
	s_mul_f32 s59, s0, 0x2f800000
	s_wait_alu 0xfffe
	s_trunc_f32 s59, s59
	s_wait_alu 0xfffe
	s_delay_alu instid0(SALU_CYCLE_2) | instskip(SKIP_2) | instid1(SALU_CYCLE_1)
	s_fmamk_f32 s0, s59, 0xcf800000, s0
	s_cvt_u32_f32 s65, s59
	s_wait_alu 0xfffe
	s_cvt_u32_f32 s64, s0
	s_delay_alu instid0(SALU_CYCLE_3) | instskip(NEXT) | instid1(SALU_CYCLE_1)
	s_mul_u64 s[68:69], s[66:67], s[64:65]
	s_mul_hi_u32 s71, s64, s69
	s_mul_i32 s70, s64, s69
	s_mul_hi_u32 s0, s64, s68
	s_mul_i32 s63, s65, s68
	s_wait_alu 0xfffe
	s_add_nc_u64 s[70:71], s[0:1], s[70:71]
	s_mul_hi_u32 s59, s65, s68
	s_mul_hi_u32 s72, s65, s69
	s_add_co_u32 s0, s70, s63
	s_wait_alu 0xfffe
	s_add_co_ci_u32 s0, s71, s59
	s_mul_i32 s68, s65, s69
	s_add_co_ci_u32 s69, s72, 0
	s_wait_alu 0xfffe
	s_add_nc_u64 s[68:69], s[0:1], s[68:69]
	s_delay_alu instid0(SALU_CYCLE_1) | instskip(SKIP_4) | instid1(SALU_CYCLE_1)
	s_add_co_u32 s64, s64, s68
	s_cselect_b32 s0, -1, 0
	s_wait_alu 0xfffe
	s_cmp_lg_u32 s0, 0
	s_add_co_ci_u32 s65, s65, s69
	s_mul_u64 s[66:67], s[66:67], s[64:65]
	s_delay_alu instid0(SALU_CYCLE_1)
	s_mul_hi_u32 s69, s64, s67
	s_mul_i32 s68, s64, s67
	s_mul_hi_u32 s0, s64, s66
	s_mul_i32 s63, s65, s66
	s_wait_alu 0xfffe
	s_add_nc_u64 s[68:69], s[0:1], s[68:69]
	s_mul_hi_u32 s59, s65, s66
	s_mul_hi_u32 s70, s65, s67
	s_add_co_u32 s0, s68, s63
	s_wait_alu 0xfffe
	s_add_co_ci_u32 s0, s69, s59
	s_mul_i32 s66, s65, s67
	s_add_co_ci_u32 s67, s70, 0
	s_wait_alu 0xfffe
	s_add_nc_u64 s[66:67], s[0:1], s[66:67]
	s_delay_alu instid0(SALU_CYCLE_1)
	s_add_co_u32 s0, s64, s66
	s_cselect_b32 s59, -1, 0
	s_wait_alu 0xfffe
	v_mul_hi_u32 v22, v20, s0
	s_cmp_lg_u32 s59, 0
	v_mad_co_u64_u32 v[15:16], null, v21, s0, 0
	s_add_co_ci_u32 s59, s65, s67
	s_wait_alu 0xfffe
	v_mad_co_u64_u32 v[11:12], null, v20, s59, 0
	v_mad_co_u64_u32 v[18:19], null, v21, s59, 0
	s_delay_alu instid0(VALU_DEP_2) | instskip(SKIP_1) | instid1(VALU_DEP_3)
	v_add_co_u32 v11, vcc_lo, v22, v11
	s_wait_alu 0xfffd
	v_add_co_ci_u32_e64 v12, null, 0, v12, vcc_lo
	s_delay_alu instid0(VALU_DEP_2) | instskip(SKIP_1) | instid1(VALU_DEP_2)
	v_add_co_u32 v11, vcc_lo, v11, v15
	s_wait_alu 0xfffd
	v_add_co_ci_u32_e32 v11, vcc_lo, v12, v16, vcc_lo
	s_wait_alu 0xfffd
	v_add_co_ci_u32_e32 v12, vcc_lo, 0, v19, vcc_lo
	s_delay_alu instid0(VALU_DEP_2) | instskip(SKIP_1) | instid1(VALU_DEP_2)
	v_add_co_u32 v15, vcc_lo, v11, v18
	s_wait_alu 0xfffd
	v_add_co_ci_u32_e64 v16, null, 0, v12, vcc_lo
	s_delay_alu instid0(VALU_DEP_2) | instskip(SKIP_1) | instid1(VALU_DEP_3)
	v_mul_lo_u32 v18, s61, v15
	v_mad_co_u64_u32 v[11:12], null, s60, v15, 0
	v_mul_lo_u32 v19, s60, v16
	s_delay_alu instid0(VALU_DEP_2) | instskip(NEXT) | instid1(VALU_DEP_2)
	v_sub_co_u32 v11, vcc_lo, v20, v11
	v_add3_u32 v12, v12, v19, v18
	v_add_co_u32 v19, s0, v15, 2
	s_wait_alu 0xf1ff
	v_add_co_ci_u32_e64 v20, null, 0, v16, s0
	s_delay_alu instid0(VALU_DEP_3) | instskip(SKIP_3) | instid1(VALU_DEP_3)
	v_sub_nc_u32_e32 v18, v21, v12
	v_sub_co_u32 v22, s0, v11, s60
	s_wait_alu 0xfffd
	v_sub_co_ci_u32_e64 v12, null, v21, v12, vcc_lo
	v_subrev_co_ci_u32_e64 v18, null, s61, v18, vcc_lo
	s_delay_alu instid0(VALU_DEP_3) | instskip(SKIP_1) | instid1(VALU_DEP_2)
	v_cmp_le_u32_e32 vcc_lo, s60, v22
	s_wait_alu 0xf1ff
	v_subrev_co_ci_u32_e64 v18, null, 0, v18, s0
	s_wait_alu 0xfffd
	v_cndmask_b32_e64 v21, 0, -1, vcc_lo
	s_delay_alu instid0(VALU_DEP_2)
	v_cmp_le_u32_e32 vcc_lo, s61, v18
	s_wait_alu 0xfffd
	v_cndmask_b32_e64 v22, 0, -1, vcc_lo
	v_cmp_le_u32_e32 vcc_lo, s60, v11
	s_wait_alu 0xfffd
	v_cndmask_b32_e64 v11, 0, -1, vcc_lo
	;; [unrolled: 3-line block ×3, first 2 shown]
	v_cmp_eq_u32_e32 vcc_lo, s61, v18
	s_wait_alu 0xfffd
	v_cndmask_b32_e32 v18, v22, v21, vcc_lo
	v_add_co_u32 v21, vcc_lo, v15, 1
	s_wait_alu 0xfffd
	v_add_co_ci_u32_e64 v22, null, 0, v16, vcc_lo
	v_cmp_eq_u32_e32 vcc_lo, s61, v12
	s_wait_alu 0xfffd
	v_cndmask_b32_e32 v11, v23, v11, vcc_lo
	v_cmp_ne_u32_e32 vcc_lo, 0, v18
	s_delay_alu instid0(VALU_DEP_2) | instskip(SKIP_3) | instid1(VALU_DEP_1)
	v_cmp_ne_u32_e64 s0, 0, v11
	s_wait_alu 0xfffd
	v_dual_cndmask_b32 v12, v22, v20 :: v_dual_cndmask_b32 v11, v21, v19
	s_wait_alu 0xf1ff
	v_cndmask_b32_e64 v12, v16, v12, s0
	s_delay_alu instid0(VALU_DEP_2) | instskip(NEXT) | instid1(VALU_DEP_2)
	v_cndmask_b32_e64 v11, v15, v11, s0
                                        ; implicit-def: $vgpr15
	v_xor_b32_e32 v12, v12, v2
	s_delay_alu instid0(VALU_DEP_2) | instskip(NEXT) | instid1(VALU_DEP_1)
	v_xor_b32_e32 v11, v11, v2
	v_sub_co_u32 v11, vcc_lo, v11, v2
	s_wait_alu 0xfffd
	s_delay_alu instid0(VALU_DEP_3)
	v_sub_co_ci_u32_e64 v12, null, v12, v2, vcc_lo
.LBB63_13:                              ;   in Loop: Header=BB63_3 Depth=1
	s_wait_alu 0xfffe
	s_and_not1_saveexec_b32 s0, s57
	s_cbranch_execz .LBB63_15
; %bb.14:                               ;   in Loop: Header=BB63_3 Depth=1
	s_sub_co_i32 s57, 0, s2
	s_wait_alu 0xfffe
	v_mul_lo_u32 v2, s57, v13
	s_delay_alu instid0(VALU_DEP_1) | instskip(NEXT) | instid1(VALU_DEP_1)
	v_mul_hi_u32 v2, v13, v2
	v_add_nc_u32_e32 v2, v13, v2
	s_delay_alu instid0(VALU_DEP_1) | instskip(NEXT) | instid1(VALU_DEP_1)
	v_mul_hi_u32 v2, v15, v2
	v_mul_lo_u32 v11, v2, s2
	v_add_nc_u32_e32 v12, 1, v2
	s_delay_alu instid0(VALU_DEP_2) | instskip(NEXT) | instid1(VALU_DEP_1)
	v_sub_nc_u32_e32 v11, v15, v11
	v_subrev_nc_u32_e32 v15, s2, v11
	v_cmp_le_u32_e32 vcc_lo, s2, v11
	s_wait_alu 0xfffd
	s_delay_alu instid0(VALU_DEP_2) | instskip(NEXT) | instid1(VALU_DEP_1)
	v_dual_cndmask_b32 v11, v11, v15 :: v_dual_cndmask_b32 v2, v2, v12
	v_cmp_le_u32_e32 vcc_lo, s2, v11
	s_delay_alu instid0(VALU_DEP_2) | instskip(SKIP_1) | instid1(VALU_DEP_1)
	v_add_nc_u32_e32 v12, 1, v2
	s_wait_alu 0xfffd
	v_dual_cndmask_b32 v11, v2, v12 :: v_dual_mov_b32 v12, v1
.LBB63_15:                              ;   in Loop: Header=BB63_3 Depth=1
	s_wait_alu 0xfffe
	s_or_b32 exec_lo, exec_lo, s0
	s_delay_alu instid0(VALU_DEP_1) | instskip(NEXT) | instid1(VALU_DEP_2)
	v_mul_lo_u32 v2, v12, s2
	v_mul_lo_u32 v18, v11, s3
	v_mad_co_u64_u32 v[15:16], null, v11, s2, 0
	s_mov_b32 s0, exec_lo
	v_add3_u32 v2, v16, v18, v2
	v_sub_co_u32 v9, vcc_lo, v9, v15
	v_mul_lo_u32 v16, v12, s24
	v_mul_lo_u32 v15, v11, s25
	s_wait_alu 0xfffd
	v_sub_co_ci_u32_e64 v2, null, v10, v2, vcc_lo
	v_add_co_u32 v12, vcc_lo, v3, v9
	v_mad_co_u64_u32 v[9:10], null, v11, s24, 0
	s_wait_alu 0xfffd
	s_delay_alu instid0(VALU_DEP_3) | instskip(NEXT) | instid1(VALU_DEP_3)
	v_add_co_ci_u32_e64 v2, null, v4, v2, vcc_lo
	v_mul_lo_u32 v18, v12, s27
	v_mad_co_u64_u32 v[11:12], null, v12, s26, 0
	s_delay_alu instid0(VALU_DEP_3) | instskip(SKIP_1) | instid1(VALU_DEP_1)
	v_mul_lo_u32 v2, v2, s26
	v_add3_u32 v10, v10, v15, v16
	v_lshlrev_b64_e32 v[9:10], 1, v[9:10]
	s_delay_alu instid0(VALU_DEP_3) | instskip(NEXT) | instid1(VALU_DEP_2)
	v_add3_u32 v12, v12, v18, v2
	v_add_co_u32 v2, vcc_lo, s28, v9
	s_delay_alu instid0(VALU_DEP_2) | instskip(SKIP_1) | instid1(VALU_DEP_4)
	v_lshlrev_b64_e32 v[11:12], 1, v[11:12]
	s_wait_alu 0xfffd
	v_add_co_ci_u32_e64 v10, null, s29, v10, vcc_lo
	s_delay_alu instid0(VALU_DEP_2) | instskip(SKIP_1) | instid1(VALU_DEP_2)
	v_add_co_u32 v9, vcc_lo, v2, v11
	s_wait_alu 0xfffd
	v_add_co_ci_u32_e64 v10, null, v10, v12, vcc_lo
	v_add_co_u32 v2, vcc_lo, v7, 2
	global_load_u16 v15, v[9:10], off
	s_wait_alu 0xfffd
	v_add_co_ci_u32_e64 v9, null, 0, v8, vcc_lo
	v_mul_lo_u32 v11, s5, v2
	s_delay_alu instid0(VALU_DEP_2) | instskip(SKIP_1) | instid1(VALU_DEP_1)
	v_mul_lo_u32 v12, s4, v9
	v_mad_co_u64_u32 v[9:10], null, s4, v2, 0
	v_add3_u32 v10, v10, v12, v11
	s_delay_alu instid0(VALU_DEP_2) | instskip(SKIP_1) | instid1(VALU_DEP_2)
	v_add_co_u32 v16, vcc_lo, v3, v9
                                        ; implicit-def: $vgpr11_vgpr12
	s_wait_alu 0xfffd
	v_add_co_ci_u32_e64 v18, null, v4, v10, vcc_lo
	s_delay_alu instid0(VALU_DEP_1) | instskip(NEXT) | instid1(VALU_DEP_1)
	v_or_b32_e32 v2, s3, v18
	v_cmpx_ne_u64_e32 0, v[1:2]
	s_wait_alu 0xfffe
	s_xor_b32 s57, exec_lo, s0
	s_cbranch_execz .LBB63_17
; %bb.16:                               ;   in Loop: Header=BB63_3 Depth=1
	s_ashr_i32 s58, s3, 31
	v_ashrrev_i32_e32 v2, 31, v18
	s_wait_alu 0xfffe
	s_mov_b32 s59, s58
	s_wait_alu 0xfffe
	s_add_nc_u64 s[60:61], s[2:3], s[58:59]
	v_add_co_u32 v11, vcc_lo, v16, v2
	s_wait_alu 0xfffe
	s_xor_b64 s[60:61], s[60:61], s[58:59]
	s_wait_alu 0xfffd
	v_add_co_ci_u32_e64 v12, null, v18, v2, vcc_lo
	s_wait_alu 0xfffe
	s_cvt_f32_u32 s0, s60
	s_cvt_f32_u32 s59, s61
	s_sub_nc_u64 s[66:67], 0, s[60:61]
	v_xor_b32_e32 v16, v11, v2
	v_xor_b32_e32 v22, v12, v2
	s_wait_alu 0xfffe
	s_fmamk_f32 s0, s59, 0x4f800000, s0
	v_xor_b32_e32 v2, s58, v2
	s_wait_alu 0xfffe
	s_delay_alu instid0(SALU_CYCLE_1) | instskip(NEXT) | instid1(TRANS32_DEP_1)
	v_s_rcp_f32 s0, s0
	s_mul_f32 s0, s0, 0x5f7ffffc
	s_wait_alu 0xfffe
	s_delay_alu instid0(SALU_CYCLE_2) | instskip(SKIP_1) | instid1(SALU_CYCLE_2)
	s_mul_f32 s59, s0, 0x2f800000
	s_wait_alu 0xfffe
	s_trunc_f32 s59, s59
	s_wait_alu 0xfffe
	s_delay_alu instid0(SALU_CYCLE_2) | instskip(SKIP_2) | instid1(SALU_CYCLE_1)
	s_fmamk_f32 s0, s59, 0xcf800000, s0
	s_cvt_u32_f32 s65, s59
	s_wait_alu 0xfffe
	s_cvt_u32_f32 s64, s0
	s_delay_alu instid0(SALU_CYCLE_3) | instskip(NEXT) | instid1(SALU_CYCLE_1)
	s_mul_u64 s[68:69], s[66:67], s[64:65]
	s_mul_hi_u32 s71, s64, s69
	s_mul_i32 s70, s64, s69
	s_mul_hi_u32 s0, s64, s68
	s_mul_i32 s63, s65, s68
	s_wait_alu 0xfffe
	s_add_nc_u64 s[70:71], s[0:1], s[70:71]
	s_mul_hi_u32 s59, s65, s68
	s_mul_hi_u32 s72, s65, s69
	s_add_co_u32 s0, s70, s63
	s_wait_alu 0xfffe
	s_add_co_ci_u32 s0, s71, s59
	s_mul_i32 s68, s65, s69
	s_add_co_ci_u32 s69, s72, 0
	s_wait_alu 0xfffe
	s_add_nc_u64 s[68:69], s[0:1], s[68:69]
	s_delay_alu instid0(SALU_CYCLE_1) | instskip(SKIP_4) | instid1(SALU_CYCLE_1)
	s_add_co_u32 s64, s64, s68
	s_cselect_b32 s0, -1, 0
	s_wait_alu 0xfffe
	s_cmp_lg_u32 s0, 0
	s_add_co_ci_u32 s65, s65, s69
	s_mul_u64 s[66:67], s[66:67], s[64:65]
	s_delay_alu instid0(SALU_CYCLE_1)
	s_mul_hi_u32 s69, s64, s67
	s_mul_i32 s68, s64, s67
	s_mul_hi_u32 s0, s64, s66
	s_mul_i32 s63, s65, s66
	s_wait_alu 0xfffe
	s_add_nc_u64 s[68:69], s[0:1], s[68:69]
	s_mul_hi_u32 s59, s65, s66
	s_mul_hi_u32 s70, s65, s67
	s_add_co_u32 s0, s68, s63
	s_wait_alu 0xfffe
	s_add_co_ci_u32 s0, s69, s59
	s_mul_i32 s66, s65, s67
	s_add_co_ci_u32 s67, s70, 0
	s_wait_alu 0xfffe
	s_add_nc_u64 s[66:67], s[0:1], s[66:67]
	s_delay_alu instid0(SALU_CYCLE_1)
	s_add_co_u32 s0, s64, s66
	s_cselect_b32 s59, -1, 0
	s_wait_alu 0xfffe
	v_mul_hi_u32 v23, v16, s0
	s_cmp_lg_u32 s59, 0
	v_mad_co_u64_u32 v[18:19], null, v22, s0, 0
	s_add_co_ci_u32 s59, s65, s67
	s_wait_alu 0xfffe
	v_mad_co_u64_u32 v[11:12], null, v16, s59, 0
	v_mad_co_u64_u32 v[20:21], null, v22, s59, 0
	s_delay_alu instid0(VALU_DEP_2) | instskip(SKIP_1) | instid1(VALU_DEP_3)
	v_add_co_u32 v11, vcc_lo, v23, v11
	s_wait_alu 0xfffd
	v_add_co_ci_u32_e64 v12, null, 0, v12, vcc_lo
	s_delay_alu instid0(VALU_DEP_2) | instskip(SKIP_1) | instid1(VALU_DEP_2)
	v_add_co_u32 v11, vcc_lo, v11, v18
	s_wait_alu 0xfffd
	v_add_co_ci_u32_e32 v11, vcc_lo, v12, v19, vcc_lo
	s_wait_alu 0xfffd
	v_add_co_ci_u32_e32 v12, vcc_lo, 0, v21, vcc_lo
	s_delay_alu instid0(VALU_DEP_2) | instskip(SKIP_1) | instid1(VALU_DEP_2)
	v_add_co_u32 v18, vcc_lo, v11, v20
	s_wait_alu 0xfffd
	v_add_co_ci_u32_e64 v19, null, 0, v12, vcc_lo
	s_delay_alu instid0(VALU_DEP_2) | instskip(SKIP_1) | instid1(VALU_DEP_3)
	v_mul_lo_u32 v20, s61, v18
	v_mad_co_u64_u32 v[11:12], null, s60, v18, 0
	v_mul_lo_u32 v21, s60, v19
	s_delay_alu instid0(VALU_DEP_2) | instskip(NEXT) | instid1(VALU_DEP_2)
	v_sub_co_u32 v11, vcc_lo, v16, v11
	v_add3_u32 v12, v12, v21, v20
	s_delay_alu instid0(VALU_DEP_1) | instskip(SKIP_2) | instid1(VALU_DEP_2)
	v_sub_nc_u32_e32 v20, v22, v12
	s_wait_alu 0xfffd
	v_sub_co_ci_u32_e64 v12, null, v22, v12, vcc_lo
	v_subrev_co_ci_u32_e64 v16, null, s61, v20, vcc_lo
	v_add_co_u32 v20, s0, v18, 2
	s_wait_alu 0xf1ff
	v_add_co_ci_u32_e64 v21, null, 0, v19, s0
	v_sub_co_u32 v23, s0, v11, s60
	s_wait_alu 0xf1ff
	v_subrev_co_ci_u32_e64 v16, null, 0, v16, s0
	s_delay_alu instid0(VALU_DEP_2) | instskip(SKIP_2) | instid1(VALU_DEP_3)
	v_cmp_le_u32_e32 vcc_lo, s60, v23
	s_wait_alu 0xfffd
	v_cndmask_b32_e64 v22, 0, -1, vcc_lo
	v_cmp_le_u32_e32 vcc_lo, s61, v16
	s_wait_alu 0xfffd
	v_cndmask_b32_e64 v23, 0, -1, vcc_lo
	;; [unrolled: 3-line block ×4, first 2 shown]
	v_cmp_eq_u32_e32 vcc_lo, s61, v16
	s_wait_alu 0xfffd
	v_cndmask_b32_e32 v16, v23, v22, vcc_lo
	v_add_co_u32 v22, vcc_lo, v18, 1
	s_wait_alu 0xfffd
	v_add_co_ci_u32_e64 v23, null, 0, v19, vcc_lo
	v_cmp_eq_u32_e32 vcc_lo, s61, v12
	s_wait_alu 0xfffd
	v_cndmask_b32_e32 v11, v24, v11, vcc_lo
	v_cmp_ne_u32_e32 vcc_lo, 0, v16
                                        ; implicit-def: $vgpr16
	s_delay_alu instid0(VALU_DEP_2) | instskip(SKIP_3) | instid1(VALU_DEP_1)
	v_cmp_ne_u32_e64 s0, 0, v11
	s_wait_alu 0xfffd
	v_dual_cndmask_b32 v12, v23, v21 :: v_dual_cndmask_b32 v11, v22, v20
	s_wait_alu 0xf1ff
	v_cndmask_b32_e64 v12, v19, v12, s0
	s_delay_alu instid0(VALU_DEP_2) | instskip(NEXT) | instid1(VALU_DEP_2)
	v_cndmask_b32_e64 v11, v18, v11, s0
	v_xor_b32_e32 v12, v12, v2
	s_delay_alu instid0(VALU_DEP_2) | instskip(NEXT) | instid1(VALU_DEP_1)
	v_xor_b32_e32 v11, v11, v2
	v_sub_co_u32 v11, vcc_lo, v11, v2
	s_wait_alu 0xfffd
	s_delay_alu instid0(VALU_DEP_3)
	v_sub_co_ci_u32_e64 v12, null, v12, v2, vcc_lo
.LBB63_17:                              ;   in Loop: Header=BB63_3 Depth=1
	s_wait_alu 0xfffe
	s_and_not1_saveexec_b32 s0, s57
	s_cbranch_execz .LBB63_19
; %bb.18:                               ;   in Loop: Header=BB63_3 Depth=1
	s_sub_co_i32 s57, 0, s2
	s_wait_alu 0xfffe
	v_mul_lo_u32 v2, s57, v13
	s_delay_alu instid0(VALU_DEP_1) | instskip(NEXT) | instid1(VALU_DEP_1)
	v_mul_hi_u32 v2, v13, v2
	v_add_nc_u32_e32 v2, v13, v2
	s_delay_alu instid0(VALU_DEP_1) | instskip(NEXT) | instid1(VALU_DEP_1)
	v_mul_hi_u32 v2, v16, v2
	v_mul_lo_u32 v11, v2, s2
	v_add_nc_u32_e32 v12, 1, v2
	s_delay_alu instid0(VALU_DEP_2) | instskip(NEXT) | instid1(VALU_DEP_1)
	v_sub_nc_u32_e32 v11, v16, v11
	v_subrev_nc_u32_e32 v16, s2, v11
	v_cmp_le_u32_e32 vcc_lo, s2, v11
	s_wait_alu 0xfffd
	s_delay_alu instid0(VALU_DEP_2) | instskip(SKIP_1) | instid1(VALU_DEP_2)
	v_cndmask_b32_e32 v11, v11, v16, vcc_lo
	v_cndmask_b32_e32 v2, v2, v12, vcc_lo
	v_cmp_le_u32_e32 vcc_lo, s2, v11
	s_delay_alu instid0(VALU_DEP_2) | instskip(SKIP_1) | instid1(VALU_DEP_1)
	v_add_nc_u32_e32 v12, 1, v2
	s_wait_alu 0xfffd
	v_dual_cndmask_b32 v11, v2, v12 :: v_dual_mov_b32 v12, v1
.LBB63_19:                              ;   in Loop: Header=BB63_3 Depth=1
	s_wait_alu 0xfffe
	s_or_b32 exec_lo, exec_lo, s0
	s_delay_alu instid0(VALU_DEP_1) | instskip(NEXT) | instid1(VALU_DEP_2)
	v_mul_lo_u32 v2, v12, s2
	v_mul_lo_u32 v16, v11, s3
	v_mad_co_u64_u32 v[18:19], null, v11, s2, 0
	s_mov_b32 s0, exec_lo
	v_add3_u32 v2, v19, v16, v2
	v_sub_co_u32 v9, vcc_lo, v9, v18
	v_mul_lo_u32 v16, v12, s24
	v_mul_lo_u32 v18, v11, s25
	s_wait_alu 0xfffd
	v_sub_co_ci_u32_e64 v2, null, v10, v2, vcc_lo
	v_add_co_u32 v12, vcc_lo, v3, v9
	v_mad_co_u64_u32 v[9:10], null, v11, s24, 0
	s_wait_alu 0xfffd
	s_delay_alu instid0(VALU_DEP_3) | instskip(NEXT) | instid1(VALU_DEP_3)
	v_add_co_ci_u32_e64 v2, null, v4, v2, vcc_lo
	v_mul_lo_u32 v19, v12, s27
	v_mad_co_u64_u32 v[11:12], null, v12, s26, 0
	s_delay_alu instid0(VALU_DEP_3) | instskip(SKIP_1) | instid1(VALU_DEP_1)
	v_mul_lo_u32 v2, v2, s26
	v_add3_u32 v10, v10, v18, v16
	v_lshlrev_b64_e32 v[9:10], 1, v[9:10]
	s_delay_alu instid0(VALU_DEP_3) | instskip(NEXT) | instid1(VALU_DEP_2)
	v_add3_u32 v12, v12, v19, v2
	v_add_co_u32 v2, vcc_lo, s28, v9
	s_delay_alu instid0(VALU_DEP_2) | instskip(SKIP_1) | instid1(VALU_DEP_4)
	v_lshlrev_b64_e32 v[11:12], 1, v[11:12]
	s_wait_alu 0xfffd
	v_add_co_ci_u32_e64 v10, null, s29, v10, vcc_lo
	s_delay_alu instid0(VALU_DEP_2) | instskip(SKIP_1) | instid1(VALU_DEP_2)
	v_add_co_u32 v9, vcc_lo, v2, v11
	s_wait_alu 0xfffd
	v_add_co_ci_u32_e64 v10, null, v10, v12, vcc_lo
	v_add_co_u32 v2, vcc_lo, v7, 3
	global_load_u16 v16, v[9:10], off
	s_wait_alu 0xfffd
	v_add_co_ci_u32_e64 v9, null, 0, v8, vcc_lo
	v_mul_lo_u32 v11, s5, v2
	s_delay_alu instid0(VALU_DEP_2) | instskip(SKIP_1) | instid1(VALU_DEP_1)
	v_mul_lo_u32 v12, s4, v9
	v_mad_co_u64_u32 v[9:10], null, s4, v2, 0
	v_add3_u32 v10, v10, v12, v11
	s_delay_alu instid0(VALU_DEP_2) | instskip(SKIP_1) | instid1(VALU_DEP_2)
	v_add_co_u32 v18, vcc_lo, v3, v9
                                        ; implicit-def: $vgpr11_vgpr12
	s_wait_alu 0xfffd
	v_add_co_ci_u32_e64 v19, null, v4, v10, vcc_lo
	s_delay_alu instid0(VALU_DEP_1) | instskip(NEXT) | instid1(VALU_DEP_1)
	v_or_b32_e32 v2, s3, v19
	v_cmpx_ne_u64_e32 0, v[1:2]
	s_wait_alu 0xfffe
	s_xor_b32 s57, exec_lo, s0
	s_cbranch_execz .LBB63_21
; %bb.20:                               ;   in Loop: Header=BB63_3 Depth=1
	s_ashr_i32 s58, s3, 31
	v_ashrrev_i32_e32 v2, 31, v19
	s_wait_alu 0xfffe
	s_mov_b32 s59, s58
	s_wait_alu 0xfffe
	s_add_nc_u64 s[60:61], s[2:3], s[58:59]
	v_add_co_u32 v11, vcc_lo, v18, v2
	s_wait_alu 0xfffe
	s_xor_b64 s[60:61], s[60:61], s[58:59]
	s_wait_alu 0xfffd
	v_add_co_ci_u32_e64 v12, null, v19, v2, vcc_lo
	s_wait_alu 0xfffe
	s_cvt_f32_u32 s0, s60
	s_cvt_f32_u32 s59, s61
	s_sub_nc_u64 s[66:67], 0, s[60:61]
	v_xor_b32_e32 v22, v11, v2
	v_xor_b32_e32 v23, v12, v2
	s_wait_alu 0xfffe
	s_fmamk_f32 s0, s59, 0x4f800000, s0
	v_xor_b32_e32 v2, s58, v2
	s_wait_alu 0xfffe
	s_delay_alu instid0(SALU_CYCLE_1) | instskip(NEXT) | instid1(TRANS32_DEP_1)
	v_s_rcp_f32 s0, s0
	s_mul_f32 s0, s0, 0x5f7ffffc
	s_wait_alu 0xfffe
	s_delay_alu instid0(SALU_CYCLE_2) | instskip(SKIP_1) | instid1(SALU_CYCLE_2)
	s_mul_f32 s59, s0, 0x2f800000
	s_wait_alu 0xfffe
	s_trunc_f32 s59, s59
	s_wait_alu 0xfffe
	s_delay_alu instid0(SALU_CYCLE_2) | instskip(SKIP_2) | instid1(SALU_CYCLE_1)
	s_fmamk_f32 s0, s59, 0xcf800000, s0
	s_cvt_u32_f32 s65, s59
	s_wait_alu 0xfffe
	s_cvt_u32_f32 s64, s0
	s_delay_alu instid0(SALU_CYCLE_3) | instskip(NEXT) | instid1(SALU_CYCLE_1)
	s_mul_u64 s[68:69], s[66:67], s[64:65]
	s_mul_hi_u32 s71, s64, s69
	s_mul_i32 s70, s64, s69
	s_mul_hi_u32 s0, s64, s68
	s_mul_i32 s63, s65, s68
	s_wait_alu 0xfffe
	s_add_nc_u64 s[70:71], s[0:1], s[70:71]
	s_mul_hi_u32 s59, s65, s68
	s_mul_hi_u32 s72, s65, s69
	s_add_co_u32 s0, s70, s63
	s_wait_alu 0xfffe
	s_add_co_ci_u32 s0, s71, s59
	s_mul_i32 s68, s65, s69
	s_add_co_ci_u32 s69, s72, 0
	s_wait_alu 0xfffe
	s_add_nc_u64 s[68:69], s[0:1], s[68:69]
	s_delay_alu instid0(SALU_CYCLE_1) | instskip(SKIP_4) | instid1(SALU_CYCLE_1)
	s_add_co_u32 s64, s64, s68
	s_cselect_b32 s0, -1, 0
	s_wait_alu 0xfffe
	s_cmp_lg_u32 s0, 0
	s_add_co_ci_u32 s65, s65, s69
	s_mul_u64 s[66:67], s[66:67], s[64:65]
	s_delay_alu instid0(SALU_CYCLE_1)
	s_mul_hi_u32 s69, s64, s67
	s_mul_i32 s68, s64, s67
	s_mul_hi_u32 s0, s64, s66
	s_mul_i32 s63, s65, s66
	s_wait_alu 0xfffe
	s_add_nc_u64 s[68:69], s[0:1], s[68:69]
	s_mul_hi_u32 s59, s65, s66
	s_mul_hi_u32 s70, s65, s67
	s_add_co_u32 s0, s68, s63
	s_wait_alu 0xfffe
	s_add_co_ci_u32 s0, s69, s59
	s_mul_i32 s66, s65, s67
	s_add_co_ci_u32 s67, s70, 0
	s_wait_alu 0xfffe
	s_add_nc_u64 s[66:67], s[0:1], s[66:67]
	s_delay_alu instid0(SALU_CYCLE_1)
	s_add_co_u32 s0, s64, s66
	s_cselect_b32 s59, -1, 0
	s_wait_alu 0xfffe
	v_mul_hi_u32 v24, v22, s0
	s_cmp_lg_u32 s59, 0
	v_mad_co_u64_u32 v[18:19], null, v23, s0, 0
	s_add_co_ci_u32 s59, s65, s67
	s_wait_alu 0xfffe
	v_mad_co_u64_u32 v[11:12], null, v22, s59, 0
	v_mad_co_u64_u32 v[20:21], null, v23, s59, 0
	s_delay_alu instid0(VALU_DEP_2) | instskip(SKIP_1) | instid1(VALU_DEP_3)
	v_add_co_u32 v11, vcc_lo, v24, v11
	s_wait_alu 0xfffd
	v_add_co_ci_u32_e64 v12, null, 0, v12, vcc_lo
	s_delay_alu instid0(VALU_DEP_2) | instskip(SKIP_1) | instid1(VALU_DEP_2)
	v_add_co_u32 v11, vcc_lo, v11, v18
	s_wait_alu 0xfffd
	v_add_co_ci_u32_e32 v11, vcc_lo, v12, v19, vcc_lo
	s_wait_alu 0xfffd
	v_add_co_ci_u32_e32 v12, vcc_lo, 0, v21, vcc_lo
	s_delay_alu instid0(VALU_DEP_2) | instskip(SKIP_1) | instid1(VALU_DEP_2)
	v_add_co_u32 v18, vcc_lo, v11, v20
	s_wait_alu 0xfffd
	v_add_co_ci_u32_e64 v19, null, 0, v12, vcc_lo
	s_delay_alu instid0(VALU_DEP_2) | instskip(SKIP_1) | instid1(VALU_DEP_3)
	v_mul_lo_u32 v20, s61, v18
	v_mad_co_u64_u32 v[11:12], null, s60, v18, 0
	v_mul_lo_u32 v21, s60, v19
	s_delay_alu instid0(VALU_DEP_2) | instskip(NEXT) | instid1(VALU_DEP_2)
	v_sub_co_u32 v11, vcc_lo, v22, v11
	v_add3_u32 v12, v12, v21, v20
	v_add_co_u32 v21, s0, v18, 2
	s_wait_alu 0xf1ff
	v_add_co_ci_u32_e64 v22, null, 0, v19, s0
	s_delay_alu instid0(VALU_DEP_3) | instskip(SKIP_3) | instid1(VALU_DEP_3)
	v_sub_nc_u32_e32 v20, v23, v12
	v_sub_co_u32 v24, s0, v11, s60
	s_wait_alu 0xfffd
	v_sub_co_ci_u32_e64 v12, null, v23, v12, vcc_lo
	v_subrev_co_ci_u32_e64 v20, null, s61, v20, vcc_lo
	s_delay_alu instid0(VALU_DEP_3) | instskip(SKIP_1) | instid1(VALU_DEP_2)
	v_cmp_le_u32_e32 vcc_lo, s60, v24
	s_wait_alu 0xf1ff
	v_subrev_co_ci_u32_e64 v20, null, 0, v20, s0
	s_wait_alu 0xfffd
	v_cndmask_b32_e64 v23, 0, -1, vcc_lo
	s_delay_alu instid0(VALU_DEP_2)
	v_cmp_le_u32_e32 vcc_lo, s61, v20
	s_wait_alu 0xfffd
	v_cndmask_b32_e64 v24, 0, -1, vcc_lo
	v_cmp_le_u32_e32 vcc_lo, s60, v11
	s_wait_alu 0xfffd
	v_cndmask_b32_e64 v11, 0, -1, vcc_lo
	;; [unrolled: 3-line block ×3, first 2 shown]
	v_cmp_eq_u32_e32 vcc_lo, s61, v20
	s_wait_alu 0xfffd
	v_cndmask_b32_e32 v20, v24, v23, vcc_lo
	v_add_co_u32 v23, vcc_lo, v18, 1
	s_wait_alu 0xfffd
	v_add_co_ci_u32_e64 v24, null, 0, v19, vcc_lo
	v_cmp_eq_u32_e32 vcc_lo, s61, v12
	s_wait_alu 0xfffd
	v_cndmask_b32_e32 v11, v25, v11, vcc_lo
	v_cmp_ne_u32_e32 vcc_lo, 0, v20
	s_wait_alu 0xfffd
	v_cndmask_b32_e32 v12, v24, v22, vcc_lo
	s_delay_alu instid0(VALU_DEP_3) | instskip(SKIP_2) | instid1(VALU_DEP_2)
	v_cmp_ne_u32_e64 s0, 0, v11
	v_cndmask_b32_e32 v11, v23, v21, vcc_lo
	s_wait_alu 0xf1ff
	v_cndmask_b32_e64 v12, v19, v12, s0
	s_delay_alu instid0(VALU_DEP_2) | instskip(NEXT) | instid1(VALU_DEP_2)
	v_cndmask_b32_e64 v11, v18, v11, s0
                                        ; implicit-def: $vgpr18
	v_xor_b32_e32 v12, v12, v2
	s_delay_alu instid0(VALU_DEP_2) | instskip(NEXT) | instid1(VALU_DEP_1)
	v_xor_b32_e32 v11, v11, v2
	v_sub_co_u32 v11, vcc_lo, v11, v2
	s_wait_alu 0xfffd
	s_delay_alu instid0(VALU_DEP_3)
	v_sub_co_ci_u32_e64 v12, null, v12, v2, vcc_lo
.LBB63_21:                              ;   in Loop: Header=BB63_3 Depth=1
	s_wait_alu 0xfffe
	s_and_not1_saveexec_b32 s0, s57
	s_cbranch_execz .LBB63_23
; %bb.22:                               ;   in Loop: Header=BB63_3 Depth=1
	s_sub_co_i32 s57, 0, s2
	s_wait_alu 0xfffe
	v_mul_lo_u32 v2, s57, v13
	s_delay_alu instid0(VALU_DEP_1) | instskip(NEXT) | instid1(VALU_DEP_1)
	v_mul_hi_u32 v2, v13, v2
	v_add_nc_u32_e32 v2, v13, v2
	s_delay_alu instid0(VALU_DEP_1) | instskip(NEXT) | instid1(VALU_DEP_1)
	v_mul_hi_u32 v2, v18, v2
	v_mul_lo_u32 v11, v2, s2
	v_add_nc_u32_e32 v12, 1, v2
	s_delay_alu instid0(VALU_DEP_2) | instskip(NEXT) | instid1(VALU_DEP_1)
	v_sub_nc_u32_e32 v11, v18, v11
	v_subrev_nc_u32_e32 v18, s2, v11
	v_cmp_le_u32_e32 vcc_lo, s2, v11
	s_wait_alu 0xfffd
	s_delay_alu instid0(VALU_DEP_2) | instskip(NEXT) | instid1(VALU_DEP_1)
	v_dual_cndmask_b32 v11, v11, v18 :: v_dual_cndmask_b32 v2, v2, v12
	v_cmp_le_u32_e32 vcc_lo, s2, v11
	s_delay_alu instid0(VALU_DEP_2) | instskip(SKIP_1) | instid1(VALU_DEP_1)
	v_add_nc_u32_e32 v12, 1, v2
	s_wait_alu 0xfffd
	v_dual_cndmask_b32 v11, v2, v12 :: v_dual_mov_b32 v12, v1
.LBB63_23:                              ;   in Loop: Header=BB63_3 Depth=1
	s_wait_alu 0xfffe
	s_or_b32 exec_lo, exec_lo, s0
	s_delay_alu instid0(VALU_DEP_1) | instskip(NEXT) | instid1(VALU_DEP_2)
	v_mul_lo_u32 v2, v12, s2
	v_mul_lo_u32 v20, v11, s3
	v_mad_co_u64_u32 v[18:19], null, v11, s2, 0
	s_mov_b32 s0, exec_lo
	v_add3_u32 v2, v19, v20, v2
	v_sub_co_u32 v9, vcc_lo, v9, v18
	v_mul_lo_u32 v19, v12, s24
	v_mul_lo_u32 v18, v11, s25
	s_wait_alu 0xfffd
	v_sub_co_ci_u32_e64 v2, null, v10, v2, vcc_lo
	v_add_co_u32 v12, vcc_lo, v3, v9
	v_mad_co_u64_u32 v[9:10], null, v11, s24, 0
	s_wait_alu 0xfffd
	s_delay_alu instid0(VALU_DEP_3) | instskip(NEXT) | instid1(VALU_DEP_3)
	v_add_co_ci_u32_e64 v2, null, v4, v2, vcc_lo
	v_mul_lo_u32 v20, v12, s27
	v_mad_co_u64_u32 v[11:12], null, v12, s26, 0
	s_delay_alu instid0(VALU_DEP_3) | instskip(SKIP_1) | instid1(VALU_DEP_1)
	v_mul_lo_u32 v2, v2, s26
	v_add3_u32 v10, v10, v18, v19
	v_lshlrev_b64_e32 v[9:10], 1, v[9:10]
	s_delay_alu instid0(VALU_DEP_3) | instskip(NEXT) | instid1(VALU_DEP_2)
	v_add3_u32 v12, v12, v20, v2
	v_add_co_u32 v2, vcc_lo, s28, v9
	s_delay_alu instid0(VALU_DEP_2) | instskip(SKIP_1) | instid1(VALU_DEP_4)
	v_lshlrev_b64_e32 v[11:12], 1, v[11:12]
	s_wait_alu 0xfffd
	v_add_co_ci_u32_e64 v10, null, s29, v10, vcc_lo
	s_delay_alu instid0(VALU_DEP_2) | instskip(SKIP_1) | instid1(VALU_DEP_2)
	v_add_co_u32 v9, vcc_lo, v2, v11
	s_wait_alu 0xfffd
	v_add_co_ci_u32_e64 v10, null, v10, v12, vcc_lo
	v_add_co_u32 v2, vcc_lo, v7, 4
	s_wait_alu 0xfffd
	v_add_co_ci_u32_e64 v7, null, 0, v8, vcc_lo
	global_load_u16 v19, v[9:10], off
	v_mul_lo_u32 v9, s5, v2
	v_mul_lo_u32 v10, s4, v7
	v_mad_co_u64_u32 v[7:8], null, s4, v2, 0
	s_delay_alu instid0(VALU_DEP_1) | instskip(NEXT) | instid1(VALU_DEP_2)
	v_add3_u32 v8, v8, v10, v9
	v_add_co_u32 v11, vcc_lo, v3, v7
                                        ; implicit-def: $vgpr9_vgpr10
	s_wait_alu 0xfffd
	s_delay_alu instid0(VALU_DEP_2) | instskip(NEXT) | instid1(VALU_DEP_1)
	v_add_co_ci_u32_e64 v12, null, v4, v8, vcc_lo
	v_or_b32_e32 v2, s3, v12
	s_delay_alu instid0(VALU_DEP_1)
	v_cmpx_ne_u64_e32 0, v[1:2]
	s_wait_alu 0xfffe
	s_xor_b32 s57, exec_lo, s0
	s_cbranch_execz .LBB63_25
; %bb.24:                               ;   in Loop: Header=BB63_3 Depth=1
	s_ashr_i32 s58, s3, 31
	v_ashrrev_i32_e32 v2, 31, v12
	s_wait_alu 0xfffe
	s_mov_b32 s59, s58
	s_wait_alu 0xfffe
	s_add_nc_u64 s[60:61], s[2:3], s[58:59]
	v_add_co_u32 v9, vcc_lo, v11, v2
	s_wait_alu 0xfffe
	s_xor_b64 s[60:61], s[60:61], s[58:59]
	s_wait_alu 0xfffd
	v_add_co_ci_u32_e64 v10, null, v12, v2, vcc_lo
	s_wait_alu 0xfffe
	s_cvt_f32_u32 s0, s60
	s_cvt_f32_u32 s59, s61
	s_sub_nc_u64 s[66:67], 0, s[60:61]
	v_xor_b32_e32 v18, v9, v2
	v_xor_b32_e32 v22, v10, v2
	s_wait_alu 0xfffe
	s_fmamk_f32 s0, s59, 0x4f800000, s0
	v_xor_b32_e32 v2, s58, v2
	s_wait_alu 0xfffe
	s_delay_alu instid0(SALU_CYCLE_1) | instskip(NEXT) | instid1(TRANS32_DEP_1)
	v_s_rcp_f32 s0, s0
	s_mul_f32 s0, s0, 0x5f7ffffc
	s_wait_alu 0xfffe
	s_delay_alu instid0(SALU_CYCLE_2) | instskip(SKIP_1) | instid1(SALU_CYCLE_2)
	s_mul_f32 s59, s0, 0x2f800000
	s_wait_alu 0xfffe
	s_trunc_f32 s59, s59
	s_wait_alu 0xfffe
	s_delay_alu instid0(SALU_CYCLE_2) | instskip(SKIP_2) | instid1(SALU_CYCLE_1)
	s_fmamk_f32 s0, s59, 0xcf800000, s0
	s_cvt_u32_f32 s65, s59
	s_wait_alu 0xfffe
	s_cvt_u32_f32 s64, s0
	s_delay_alu instid0(SALU_CYCLE_3) | instskip(NEXT) | instid1(SALU_CYCLE_1)
	s_mul_u64 s[68:69], s[66:67], s[64:65]
	s_mul_hi_u32 s71, s64, s69
	s_mul_i32 s70, s64, s69
	s_mul_hi_u32 s0, s64, s68
	s_mul_i32 s63, s65, s68
	s_wait_alu 0xfffe
	s_add_nc_u64 s[70:71], s[0:1], s[70:71]
	s_mul_hi_u32 s59, s65, s68
	s_mul_hi_u32 s72, s65, s69
	s_add_co_u32 s0, s70, s63
	s_wait_alu 0xfffe
	s_add_co_ci_u32 s0, s71, s59
	s_mul_i32 s68, s65, s69
	s_add_co_ci_u32 s69, s72, 0
	s_wait_alu 0xfffe
	s_add_nc_u64 s[68:69], s[0:1], s[68:69]
	s_delay_alu instid0(SALU_CYCLE_1) | instskip(SKIP_4) | instid1(SALU_CYCLE_1)
	s_add_co_u32 s64, s64, s68
	s_cselect_b32 s0, -1, 0
	s_wait_alu 0xfffe
	s_cmp_lg_u32 s0, 0
	s_add_co_ci_u32 s65, s65, s69
	s_mul_u64 s[66:67], s[66:67], s[64:65]
	s_delay_alu instid0(SALU_CYCLE_1)
	s_mul_hi_u32 s69, s64, s67
	s_mul_i32 s68, s64, s67
	s_mul_hi_u32 s0, s64, s66
	s_mul_i32 s63, s65, s66
	s_wait_alu 0xfffe
	s_add_nc_u64 s[68:69], s[0:1], s[68:69]
	s_mul_hi_u32 s59, s65, s66
	s_mul_hi_u32 s70, s65, s67
	s_add_co_u32 s0, s68, s63
	s_wait_alu 0xfffe
	s_add_co_ci_u32 s0, s69, s59
	s_mul_i32 s66, s65, s67
	s_add_co_ci_u32 s67, s70, 0
	s_wait_alu 0xfffe
	s_add_nc_u64 s[66:67], s[0:1], s[66:67]
	s_delay_alu instid0(SALU_CYCLE_1)
	s_add_co_u32 s0, s64, s66
	s_cselect_b32 s59, -1, 0
	s_wait_alu 0xfffe
	v_mul_hi_u32 v23, v18, s0
	s_cmp_lg_u32 s59, 0
	v_mad_co_u64_u32 v[11:12], null, v22, s0, 0
	s_add_co_ci_u32 s59, s65, s67
	s_wait_alu 0xfffe
	v_mad_co_u64_u32 v[9:10], null, v18, s59, 0
	v_mad_co_u64_u32 v[20:21], null, v22, s59, 0
	s_delay_alu instid0(VALU_DEP_2) | instskip(SKIP_1) | instid1(VALU_DEP_3)
	v_add_co_u32 v9, vcc_lo, v23, v9
	s_wait_alu 0xfffd
	v_add_co_ci_u32_e64 v10, null, 0, v10, vcc_lo
	s_delay_alu instid0(VALU_DEP_2) | instskip(SKIP_1) | instid1(VALU_DEP_2)
	v_add_co_u32 v9, vcc_lo, v9, v11
	s_wait_alu 0xfffd
	v_add_co_ci_u32_e32 v9, vcc_lo, v10, v12, vcc_lo
	s_wait_alu 0xfffd
	v_add_co_ci_u32_e32 v10, vcc_lo, 0, v21, vcc_lo
	s_delay_alu instid0(VALU_DEP_2) | instskip(SKIP_1) | instid1(VALU_DEP_2)
	v_add_co_u32 v11, vcc_lo, v9, v20
	s_wait_alu 0xfffd
	v_add_co_ci_u32_e64 v12, null, 0, v10, vcc_lo
	s_delay_alu instid0(VALU_DEP_2) | instskip(SKIP_1) | instid1(VALU_DEP_3)
	v_mul_lo_u32 v20, s61, v11
	v_mad_co_u64_u32 v[9:10], null, s60, v11, 0
	v_mul_lo_u32 v21, s60, v12
	s_delay_alu instid0(VALU_DEP_2) | instskip(NEXT) | instid1(VALU_DEP_2)
	v_sub_co_u32 v9, vcc_lo, v18, v9
	v_add3_u32 v10, v10, v21, v20
	s_delay_alu instid0(VALU_DEP_1) | instskip(SKIP_2) | instid1(VALU_DEP_2)
	v_sub_nc_u32_e32 v20, v22, v10
	s_wait_alu 0xfffd
	v_sub_co_ci_u32_e64 v10, null, v22, v10, vcc_lo
	v_subrev_co_ci_u32_e64 v18, null, s61, v20, vcc_lo
	v_add_co_u32 v20, s0, v11, 2
	s_wait_alu 0xf1ff
	v_add_co_ci_u32_e64 v21, null, 0, v12, s0
	v_sub_co_u32 v23, s0, v9, s60
	s_wait_alu 0xf1ff
	v_subrev_co_ci_u32_e64 v18, null, 0, v18, s0
	s_delay_alu instid0(VALU_DEP_2) | instskip(SKIP_2) | instid1(VALU_DEP_3)
	v_cmp_le_u32_e32 vcc_lo, s60, v23
	s_wait_alu 0xfffd
	v_cndmask_b32_e64 v22, 0, -1, vcc_lo
	v_cmp_le_u32_e32 vcc_lo, s61, v18
	s_wait_alu 0xfffd
	v_cndmask_b32_e64 v23, 0, -1, vcc_lo
	;; [unrolled: 3-line block ×4, first 2 shown]
	v_cmp_eq_u32_e32 vcc_lo, s61, v18
	s_wait_alu 0xfffd
	v_cndmask_b32_e32 v18, v23, v22, vcc_lo
	v_add_co_u32 v22, vcc_lo, v11, 1
	s_wait_alu 0xfffd
	v_add_co_ci_u32_e64 v23, null, 0, v12, vcc_lo
	v_cmp_eq_u32_e32 vcc_lo, s61, v10
	s_wait_alu 0xfffd
	v_cndmask_b32_e32 v9, v24, v9, vcc_lo
	v_cmp_ne_u32_e32 vcc_lo, 0, v18
	s_delay_alu instid0(VALU_DEP_2) | instskip(SKIP_3) | instid1(VALU_DEP_1)
	v_cmp_ne_u32_e64 s0, 0, v9
	s_wait_alu 0xfffd
	v_dual_cndmask_b32 v10, v23, v21 :: v_dual_cndmask_b32 v9, v22, v20
	s_wait_alu 0xf1ff
	v_cndmask_b32_e64 v10, v12, v10, s0
	s_delay_alu instid0(VALU_DEP_2) | instskip(NEXT) | instid1(VALU_DEP_2)
	v_cndmask_b32_e64 v9, v11, v9, s0
                                        ; implicit-def: $vgpr11
	v_xor_b32_e32 v10, v10, v2
	s_delay_alu instid0(VALU_DEP_2) | instskip(NEXT) | instid1(VALU_DEP_1)
	v_xor_b32_e32 v9, v9, v2
	v_sub_co_u32 v9, vcc_lo, v9, v2
	s_wait_alu 0xfffd
	s_delay_alu instid0(VALU_DEP_3)
	v_sub_co_ci_u32_e64 v10, null, v10, v2, vcc_lo
.LBB63_25:                              ;   in Loop: Header=BB63_3 Depth=1
	s_wait_alu 0xfffe
	s_and_not1_saveexec_b32 s0, s57
	s_cbranch_execz .LBB63_27
; %bb.26:                               ;   in Loop: Header=BB63_3 Depth=1
	s_sub_co_i32 s57, 0, s2
	s_wait_alu 0xfffe
	v_mul_lo_u32 v2, s57, v13
	s_delay_alu instid0(VALU_DEP_1) | instskip(NEXT) | instid1(VALU_DEP_1)
	v_mul_hi_u32 v2, v13, v2
	v_add_nc_u32_e32 v2, v13, v2
	s_delay_alu instid0(VALU_DEP_1) | instskip(NEXT) | instid1(VALU_DEP_1)
	v_mul_hi_u32 v2, v11, v2
	v_mul_lo_u32 v9, v2, s2
	s_delay_alu instid0(VALU_DEP_1) | instskip(NEXT) | instid1(VALU_DEP_1)
	v_sub_nc_u32_e32 v9, v11, v9
	v_subrev_nc_u32_e32 v11, s2, v9
	v_cmp_le_u32_e32 vcc_lo, s2, v9
	s_wait_alu 0xfffd
	s_delay_alu instid0(VALU_DEP_2) | instskip(NEXT) | instid1(VALU_DEP_1)
	v_dual_cndmask_b32 v9, v9, v11 :: v_dual_add_nc_u32 v10, 1, v2
	v_cndmask_b32_e32 v2, v2, v10, vcc_lo
	s_delay_alu instid0(VALU_DEP_2) | instskip(NEXT) | instid1(VALU_DEP_2)
	v_cmp_le_u32_e32 vcc_lo, s2, v9
	v_add_nc_u32_e32 v10, 1, v2
	s_wait_alu 0xfffd
	s_delay_alu instid0(VALU_DEP_1)
	v_dual_cndmask_b32 v9, v2, v10 :: v_dual_mov_b32 v10, v1
.LBB63_27:                              ;   in Loop: Header=BB63_3 Depth=1
	s_wait_alu 0xfffe
	s_or_b32 exec_lo, exec_lo, s0
	s_delay_alu instid0(VALU_DEP_1) | instskip(NEXT) | instid1(VALU_DEP_2)
	v_mul_lo_u32 v2, v10, s2
	v_mul_lo_u32 v18, v9, s3
	v_mad_co_u64_u32 v[11:12], null, v9, s2, 0
	s_mov_b32 s0, exec_lo
	v_add3_u32 v2, v12, v18, v2
	v_sub_co_u32 v7, vcc_lo, v7, v11
	v_mul_lo_u32 v12, v10, s24
	v_mul_lo_u32 v11, v9, s25
	s_wait_alu 0xfffd
	v_sub_co_ci_u32_e64 v2, null, v8, v2, vcc_lo
	v_add_co_u32 v10, vcc_lo, v3, v7
	v_mad_co_u64_u32 v[7:8], null, v9, s24, 0
	s_wait_alu 0xfffd
	s_delay_alu instid0(VALU_DEP_3) | instskip(NEXT) | instid1(VALU_DEP_3)
	v_add_co_ci_u32_e64 v2, null, v4, v2, vcc_lo
	v_mul_lo_u32 v18, v10, s27
	v_mad_co_u64_u32 v[9:10], null, v10, s26, 0
	s_delay_alu instid0(VALU_DEP_3) | instskip(SKIP_1) | instid1(VALU_DEP_1)
	v_mul_lo_u32 v2, v2, s26
	v_add3_u32 v8, v8, v11, v12
	v_lshlrev_b64_e32 v[7:8], 1, v[7:8]
	s_delay_alu instid0(VALU_DEP_3) | instskip(NEXT) | instid1(VALU_DEP_2)
	v_add3_u32 v10, v10, v18, v2
	v_add_co_u32 v2, vcc_lo, s28, v7
	s_delay_alu instid0(VALU_DEP_2) | instskip(SKIP_1) | instid1(VALU_DEP_4)
	v_lshlrev_b64_e32 v[9:10], 1, v[9:10]
	s_wait_alu 0xfffd
	v_add_co_ci_u32_e64 v8, null, s29, v8, vcc_lo
	s_delay_alu instid0(VALU_DEP_2) | instskip(SKIP_1) | instid1(VALU_DEP_2)
	v_add_co_u32 v7, vcc_lo, v2, v9
	s_wait_alu 0xfffd
	v_add_co_ci_u32_e64 v8, null, v8, v10, vcc_lo
	v_or_b32_e32 v2, s43, v4
	global_load_u16 v11, v[7:8], off
                                        ; implicit-def: $vgpr7_vgpr8
	v_cmpx_ne_u64_e32 0, v[1:2]
	s_wait_alu 0xfffe
	s_xor_b32 s57, exec_lo, s0
	s_cbranch_execz .LBB63_29
; %bb.28:                               ;   in Loop: Header=BB63_3 Depth=1
	s_ashr_i32 s58, s43, 31
	v_add_co_u32 v2, vcc_lo, v3, v14
	s_wait_alu 0xfffe
	s_mov_b32 s59, s58
	s_wait_alu 0xfffd
	v_add_co_ci_u32_e64 v7, null, v4, v14, vcc_lo
	s_wait_alu 0xfffe
	s_add_nc_u64 s[60:61], s[42:43], s[58:59]
	v_xor_b32_e32 v2, v2, v14
	s_wait_alu 0xfffe
	s_xor_b64 s[60:61], s[60:61], s[58:59]
	v_xor_b32_e32 v12, v7, v14
	s_wait_alu 0xfffe
	s_cvt_f32_u32 s0, s60
	s_cvt_f32_u32 s59, s61
	s_sub_nc_u64 s[66:67], 0, s[60:61]
	s_wait_alu 0xfffe
	s_delay_alu instid0(SALU_CYCLE_1) | instskip(SKIP_1) | instid1(SALU_CYCLE_2)
	s_fmamk_f32 s0, s59, 0x4f800000, s0
	s_wait_alu 0xfffe
	v_s_rcp_f32 s0, s0
	s_delay_alu instid0(TRANS32_DEP_1) | instskip(SKIP_1) | instid1(SALU_CYCLE_2)
	s_mul_f32 s0, s0, 0x5f7ffffc
	s_wait_alu 0xfffe
	s_mul_f32 s59, s0, 0x2f800000
	s_wait_alu 0xfffe
	s_delay_alu instid0(SALU_CYCLE_2) | instskip(SKIP_1) | instid1(SALU_CYCLE_2)
	s_trunc_f32 s59, s59
	s_wait_alu 0xfffe
	s_fmamk_f32 s0, s59, 0xcf800000, s0
	s_cvt_u32_f32 s65, s59
	s_wait_alu 0xfffe
	s_delay_alu instid0(SALU_CYCLE_1) | instskip(NEXT) | instid1(SALU_CYCLE_3)
	s_cvt_u32_f32 s64, s0
	s_mul_u64 s[68:69], s[66:67], s[64:65]
	s_delay_alu instid0(SALU_CYCLE_1)
	s_mul_hi_u32 s71, s64, s69
	s_mul_i32 s70, s64, s69
	s_mul_hi_u32 s0, s64, s68
	s_mul_i32 s63, s65, s68
	s_wait_alu 0xfffe
	s_add_nc_u64 s[70:71], s[0:1], s[70:71]
	s_mul_hi_u32 s59, s65, s68
	s_mul_hi_u32 s72, s65, s69
	s_add_co_u32 s0, s70, s63
	s_wait_alu 0xfffe
	s_add_co_ci_u32 s0, s71, s59
	s_mul_i32 s68, s65, s69
	s_add_co_ci_u32 s69, s72, 0
	s_wait_alu 0xfffe
	s_add_nc_u64 s[68:69], s[0:1], s[68:69]
	s_delay_alu instid0(SALU_CYCLE_1) | instskip(SKIP_4) | instid1(SALU_CYCLE_1)
	s_add_co_u32 s64, s64, s68
	s_cselect_b32 s0, -1, 0
	s_wait_alu 0xfffe
	s_cmp_lg_u32 s0, 0
	s_add_co_ci_u32 s65, s65, s69
	s_mul_u64 s[66:67], s[66:67], s[64:65]
	s_delay_alu instid0(SALU_CYCLE_1)
	s_mul_hi_u32 s69, s64, s67
	s_mul_i32 s68, s64, s67
	s_mul_hi_u32 s0, s64, s66
	s_mul_i32 s63, s65, s66
	s_wait_alu 0xfffe
	s_add_nc_u64 s[68:69], s[0:1], s[68:69]
	s_mul_hi_u32 s59, s65, s66
	s_mul_hi_u32 s70, s65, s67
	s_add_co_u32 s0, s68, s63
	s_wait_alu 0xfffe
	s_add_co_ci_u32 s0, s69, s59
	s_mul_i32 s66, s65, s67
	s_add_co_ci_u32 s67, s70, 0
	s_wait_alu 0xfffe
	s_add_nc_u64 s[66:67], s[0:1], s[66:67]
	s_delay_alu instid0(SALU_CYCLE_1)
	s_add_co_u32 s0, s64, s66
	s_cselect_b32 s59, -1, 0
	s_wait_alu 0xfffe
	v_mul_hi_u32 v18, v2, s0
	s_cmp_lg_u32 s59, 0
	v_mad_co_u64_u32 v[9:10], null, v12, s0, 0
	s_add_co_ci_u32 s59, s65, s67
	s_wait_alu 0xfffe
	v_mad_co_u64_u32 v[7:8], null, v2, s59, 0
	v_mad_co_u64_u32 v[20:21], null, v12, s59, 0
	s_delay_alu instid0(VALU_DEP_2) | instskip(SKIP_1) | instid1(VALU_DEP_3)
	v_add_co_u32 v7, vcc_lo, v18, v7
	s_wait_alu 0xfffd
	v_add_co_ci_u32_e64 v8, null, 0, v8, vcc_lo
	s_delay_alu instid0(VALU_DEP_2) | instskip(SKIP_1) | instid1(VALU_DEP_2)
	v_add_co_u32 v7, vcc_lo, v7, v9
	s_wait_alu 0xfffd
	v_add_co_ci_u32_e32 v7, vcc_lo, v8, v10, vcc_lo
	s_wait_alu 0xfffd
	v_add_co_ci_u32_e32 v8, vcc_lo, 0, v21, vcc_lo
	s_delay_alu instid0(VALU_DEP_2) | instskip(SKIP_1) | instid1(VALU_DEP_2)
	v_add_co_u32 v9, vcc_lo, v7, v20
	s_wait_alu 0xfffd
	v_add_co_ci_u32_e64 v10, null, 0, v8, vcc_lo
	s_delay_alu instid0(VALU_DEP_2) | instskip(SKIP_1) | instid1(VALU_DEP_3)
	v_mul_lo_u32 v18, s61, v9
	v_mad_co_u64_u32 v[7:8], null, s60, v9, 0
	v_mul_lo_u32 v20, s60, v10
	s_delay_alu instid0(VALU_DEP_2) | instskip(NEXT) | instid1(VALU_DEP_2)
	v_sub_co_u32 v2, vcc_lo, v2, v7
	v_add3_u32 v8, v8, v20, v18
	s_delay_alu instid0(VALU_DEP_1) | instskip(SKIP_2) | instid1(VALU_DEP_2)
	v_sub_nc_u32_e32 v18, v12, v8
	s_wait_alu 0xfffd
	v_sub_co_ci_u32_e64 v8, null, v12, v8, vcc_lo
	v_subrev_co_ci_u32_e64 v7, null, s61, v18, vcc_lo
	v_add_co_u32 v18, s0, v9, 2
	s_wait_alu 0xf1ff
	v_add_co_ci_u32_e64 v20, null, 0, v10, s0
	v_sub_co_u32 v21, s0, v2, s60
	s_wait_alu 0xf1ff
	v_subrev_co_ci_u32_e64 v7, null, 0, v7, s0
	s_delay_alu instid0(VALU_DEP_2) | instskip(SKIP_2) | instid1(VALU_DEP_3)
	v_cmp_le_u32_e32 vcc_lo, s60, v21
	s_wait_alu 0xfffd
	v_cndmask_b32_e64 v12, 0, -1, vcc_lo
	v_cmp_le_u32_e32 vcc_lo, s61, v7
	s_wait_alu 0xfffd
	v_cndmask_b32_e64 v21, 0, -1, vcc_lo
	;; [unrolled: 3-line block ×4, first 2 shown]
	v_cmp_eq_u32_e32 vcc_lo, s61, v7
	s_wait_alu 0xfffd
	v_cndmask_b32_e32 v7, v21, v12, vcc_lo
	v_add_co_u32 v12, vcc_lo, v9, 1
	s_wait_alu 0xfffd
	v_add_co_ci_u32_e64 v21, null, 0, v10, vcc_lo
	v_cmp_eq_u32_e32 vcc_lo, s61, v8
	v_xor_b32_e32 v8, s58, v14
	s_wait_alu 0xfffd
	v_cndmask_b32_e32 v2, v22, v2, vcc_lo
	v_cmp_ne_u32_e32 vcc_lo, 0, v7
	s_delay_alu instid0(VALU_DEP_2) | instskip(SKIP_3) | instid1(VALU_DEP_1)
	v_cmp_ne_u32_e64 s0, 0, v2
	s_wait_alu 0xfffd
	v_dual_cndmask_b32 v7, v21, v20 :: v_dual_cndmask_b32 v2, v12, v18
	s_wait_alu 0xf1ff
	v_cndmask_b32_e64 v7, v10, v7, s0
	s_delay_alu instid0(VALU_DEP_2) | instskip(NEXT) | instid1(VALU_DEP_2)
	v_cndmask_b32_e64 v2, v9, v2, s0
	v_xor_b32_e32 v9, v7, v8
	s_delay_alu instid0(VALU_DEP_2) | instskip(NEXT) | instid1(VALU_DEP_1)
	v_xor_b32_e32 v2, v2, v8
	v_sub_co_u32 v7, vcc_lo, v2, v8
	s_wait_alu 0xfffd
	s_delay_alu instid0(VALU_DEP_3)
	v_sub_co_ci_u32_e64 v8, null, v9, v8, vcc_lo
.LBB63_29:                              ;   in Loop: Header=BB63_3 Depth=1
	s_wait_alu 0xfffe
	s_and_not1_saveexec_b32 s0, s57
	s_cbranch_execz .LBB63_31
; %bb.30:                               ;   in Loop: Header=BB63_3 Depth=1
	v_cvt_f32_u32_e32 v2, s42
	s_sub_co_i32 s57, 0, s42
	s_delay_alu instid0(VALU_DEP_1) | instskip(NEXT) | instid1(TRANS32_DEP_1)
	v_rcp_iflag_f32_e32 v2, v2
	v_mul_f32_e32 v2, 0x4f7ffffe, v2
	s_delay_alu instid0(VALU_DEP_1) | instskip(SKIP_1) | instid1(VALU_DEP_1)
	v_cvt_u32_f32_e32 v2, v2
	s_wait_alu 0xfffe
	v_mul_lo_u32 v7, s57, v2
	s_delay_alu instid0(VALU_DEP_1) | instskip(NEXT) | instid1(VALU_DEP_1)
	v_mul_hi_u32 v7, v2, v7
	v_add_nc_u32_e32 v2, v2, v7
	s_delay_alu instid0(VALU_DEP_1) | instskip(NEXT) | instid1(VALU_DEP_1)
	v_mul_hi_u32 v2, v3, v2
	v_mul_lo_u32 v7, v2, s42
	v_add_nc_u32_e32 v8, 1, v2
	s_delay_alu instid0(VALU_DEP_2) | instskip(NEXT) | instid1(VALU_DEP_1)
	v_sub_nc_u32_e32 v7, v3, v7
	v_subrev_nc_u32_e32 v9, s42, v7
	v_cmp_le_u32_e32 vcc_lo, s42, v7
	s_wait_alu 0xfffd
	s_delay_alu instid0(VALU_DEP_2) | instskip(NEXT) | instid1(VALU_DEP_1)
	v_dual_cndmask_b32 v7, v7, v9 :: v_dual_cndmask_b32 v2, v2, v8
	v_cmp_le_u32_e32 vcc_lo, s42, v7
	s_delay_alu instid0(VALU_DEP_2) | instskip(SKIP_1) | instid1(VALU_DEP_1)
	v_add_nc_u32_e32 v8, 1, v2
	s_wait_alu 0xfffd
	v_dual_cndmask_b32 v7, v2, v8 :: v_dual_mov_b32 v8, v1
.LBB63_31:                              ;   in Loop: Header=BB63_3 Depth=1
	s_wait_alu 0xfffe
	s_or_b32 exec_lo, exec_lo, s0
	s_delay_alu instid0(VALU_DEP_1) | instskip(NEXT) | instid1(VALU_DEP_2)
	v_mad_co_u64_u32 v[9:10], null, s52, v7, v[3:4]
	v_mul_lo_u32 v2, s52, v8
	v_mul_lo_u32 v12, s53, v7
	;; [unrolled: 1-line block ×4, first 2 shown]
	v_mad_co_u64_u32 v[7:8], null, v7, s16, 0
	s_mov_b32 s0, exec_lo
	v_add3_u32 v2, v12, v10, v2
	v_mul_lo_u32 v12, v9, s19
	v_mad_co_u64_u32 v[9:10], null, v9, s18, 0
	v_add3_u32 v8, v8, v20, v18
	s_delay_alu instid0(VALU_DEP_4) | instskip(NEXT) | instid1(VALU_DEP_2)
	v_mul_lo_u32 v2, v2, s18
	v_lshlrev_b64_e32 v[7:8], 1, v[7:8]
	s_delay_alu instid0(VALU_DEP_2) | instskip(NEXT) | instid1(VALU_DEP_2)
	v_add3_u32 v10, v10, v12, v2
	v_add_co_u32 v2, vcc_lo, s40, v7
	s_wait_alu 0xfffd
	s_delay_alu instid0(VALU_DEP_3) | instskip(NEXT) | instid1(VALU_DEP_3)
	v_add_co_ci_u32_e64 v8, null, s41, v8, vcc_lo
	v_lshlrev_b64_e32 v[9:10], 1, v[9:10]
	s_delay_alu instid0(VALU_DEP_1) | instskip(SKIP_1) | instid1(VALU_DEP_2)
	v_add_co_u32 v7, vcc_lo, v2, v9
	s_wait_alu 0xfffd
	v_add_co_ci_u32_e64 v8, null, v8, v10, vcc_lo
	v_mul_lo_u32 v2, s51, v5
	v_mul_lo_u32 v9, s50, v6
	global_load_u16 v12, v[7:8], off
	v_mad_co_u64_u32 v[7:8], null, s50, v5, 0
	s_delay_alu instid0(VALU_DEP_1) | instskip(NEXT) | instid1(VALU_DEP_2)
	v_add3_u32 v8, v8, v9, v2
	v_add_co_u32 v22, vcc_lo, v3, v7
                                        ; implicit-def: $vgpr9_vgpr10
	s_wait_alu 0xfffd
	s_delay_alu instid0(VALU_DEP_2) | instskip(NEXT) | instid1(VALU_DEP_1)
	v_add_co_ci_u32_e64 v23, null, v4, v8, vcc_lo
	v_or_b32_e32 v2, s35, v23
	v_ashrrev_i32_e32 v20, 31, v23
	s_delay_alu instid0(VALU_DEP_2)
	v_cmpx_ne_u64_e32 0, v[1:2]
	s_wait_alu 0xfffe
	s_xor_b32 s57, exec_lo, s0
	s_cbranch_execz .LBB63_33
; %bb.32:                               ;   in Loop: Header=BB63_3 Depth=1
	s_ashr_i32 s58, s35, 31
	v_add_co_u32 v2, vcc_lo, v22, v20
	s_wait_alu 0xfffe
	s_mov_b32 s59, s58
	s_wait_alu 0xfffd
	v_add_co_ci_u32_e64 v9, null, v23, v20, vcc_lo
	s_wait_alu 0xfffe
	s_add_nc_u64 s[60:61], s[34:35], s[58:59]
	v_xor_b32_e32 v2, v2, v20
	s_wait_alu 0xfffe
	s_xor_b64 s[60:61], s[60:61], s[58:59]
	v_xor_b32_e32 v18, v9, v20
	s_wait_alu 0xfffe
	s_cvt_f32_u32 s0, s60
	s_cvt_f32_u32 s59, s61
	s_sub_nc_u64 s[66:67], 0, s[60:61]
	s_wait_alu 0xfffe
	s_delay_alu instid0(SALU_CYCLE_1) | instskip(SKIP_1) | instid1(SALU_CYCLE_2)
	s_fmamk_f32 s0, s59, 0x4f800000, s0
	s_wait_alu 0xfffe
	v_s_rcp_f32 s0, s0
	s_delay_alu instid0(TRANS32_DEP_1) | instskip(SKIP_1) | instid1(SALU_CYCLE_2)
	s_mul_f32 s0, s0, 0x5f7ffffc
	s_wait_alu 0xfffe
	s_mul_f32 s59, s0, 0x2f800000
	s_wait_alu 0xfffe
	s_delay_alu instid0(SALU_CYCLE_2) | instskip(SKIP_1) | instid1(SALU_CYCLE_2)
	s_trunc_f32 s59, s59
	s_wait_alu 0xfffe
	s_fmamk_f32 s0, s59, 0xcf800000, s0
	s_cvt_u32_f32 s65, s59
	s_wait_alu 0xfffe
	s_delay_alu instid0(SALU_CYCLE_1) | instskip(NEXT) | instid1(SALU_CYCLE_3)
	s_cvt_u32_f32 s64, s0
	s_mul_u64 s[68:69], s[66:67], s[64:65]
	s_delay_alu instid0(SALU_CYCLE_1)
	s_mul_hi_u32 s71, s64, s69
	s_mul_i32 s70, s64, s69
	s_mul_hi_u32 s0, s64, s68
	s_mul_i32 s63, s65, s68
	s_wait_alu 0xfffe
	s_add_nc_u64 s[70:71], s[0:1], s[70:71]
	s_mul_hi_u32 s59, s65, s68
	s_mul_hi_u32 s72, s65, s69
	s_add_co_u32 s0, s70, s63
	s_wait_alu 0xfffe
	s_add_co_ci_u32 s0, s71, s59
	s_mul_i32 s68, s65, s69
	s_add_co_ci_u32 s69, s72, 0
	s_wait_alu 0xfffe
	s_add_nc_u64 s[68:69], s[0:1], s[68:69]
	s_delay_alu instid0(SALU_CYCLE_1) | instskip(SKIP_4) | instid1(SALU_CYCLE_1)
	s_add_co_u32 s64, s64, s68
	s_cselect_b32 s0, -1, 0
	s_wait_alu 0xfffe
	s_cmp_lg_u32 s0, 0
	s_add_co_ci_u32 s65, s65, s69
	s_mul_u64 s[66:67], s[66:67], s[64:65]
	s_delay_alu instid0(SALU_CYCLE_1)
	s_mul_hi_u32 s69, s64, s67
	s_mul_i32 s68, s64, s67
	s_mul_hi_u32 s0, s64, s66
	s_mul_i32 s63, s65, s66
	s_wait_alu 0xfffe
	s_add_nc_u64 s[68:69], s[0:1], s[68:69]
	s_mul_hi_u32 s59, s65, s66
	s_mul_hi_u32 s70, s65, s67
	s_add_co_u32 s0, s68, s63
	s_wait_alu 0xfffe
	s_add_co_ci_u32 s0, s69, s59
	s_mul_i32 s66, s65, s67
	s_add_co_ci_u32 s67, s70, 0
	s_wait_alu 0xfffe
	s_add_nc_u64 s[66:67], s[0:1], s[66:67]
	s_delay_alu instid0(SALU_CYCLE_1)
	s_add_co_u32 s0, s64, s66
	s_cselect_b32 s59, -1, 0
	s_wait_alu 0xfffe
	v_mul_hi_u32 v21, v2, s0
	s_cmp_lg_u32 s59, 0
	v_mad_co_u64_u32 v[24:25], null, v18, s0, 0
	s_add_co_ci_u32 s59, s65, s67
	s_wait_alu 0xfffe
	v_mad_co_u64_u32 v[9:10], null, v2, s59, 0
	v_mad_co_u64_u32 v[26:27], null, v18, s59, 0
	s_delay_alu instid0(VALU_DEP_2) | instskip(SKIP_1) | instid1(VALU_DEP_3)
	v_add_co_u32 v9, vcc_lo, v21, v9
	s_wait_alu 0xfffd
	v_add_co_ci_u32_e64 v10, null, 0, v10, vcc_lo
	s_delay_alu instid0(VALU_DEP_2) | instskip(SKIP_1) | instid1(VALU_DEP_2)
	v_add_co_u32 v9, vcc_lo, v9, v24
	s_wait_alu 0xfffd
	v_add_co_ci_u32_e32 v9, vcc_lo, v10, v25, vcc_lo
	s_wait_alu 0xfffd
	v_add_co_ci_u32_e32 v10, vcc_lo, 0, v27, vcc_lo
	s_delay_alu instid0(VALU_DEP_2) | instskip(SKIP_1) | instid1(VALU_DEP_2)
	v_add_co_u32 v21, vcc_lo, v9, v26
	s_wait_alu 0xfffd
	v_add_co_ci_u32_e64 v24, null, 0, v10, vcc_lo
	s_delay_alu instid0(VALU_DEP_2) | instskip(SKIP_1) | instid1(VALU_DEP_3)
	v_mul_lo_u32 v25, s61, v21
	v_mad_co_u64_u32 v[9:10], null, s60, v21, 0
	v_mul_lo_u32 v26, s60, v24
	s_delay_alu instid0(VALU_DEP_2) | instskip(NEXT) | instid1(VALU_DEP_2)
	v_sub_co_u32 v2, vcc_lo, v2, v9
	v_add3_u32 v10, v10, v26, v25
	s_delay_alu instid0(VALU_DEP_1) | instskip(SKIP_2) | instid1(VALU_DEP_2)
	v_sub_nc_u32_e32 v25, v18, v10
	s_wait_alu 0xfffd
	v_sub_co_ci_u32_e64 v10, null, v18, v10, vcc_lo
	v_subrev_co_ci_u32_e64 v9, null, s61, v25, vcc_lo
	v_add_co_u32 v25, s0, v21, 2
	s_wait_alu 0xf1ff
	v_add_co_ci_u32_e64 v26, null, 0, v24, s0
	v_sub_co_u32 v27, s0, v2, s60
	s_wait_alu 0xf1ff
	v_subrev_co_ci_u32_e64 v9, null, 0, v9, s0
	s_delay_alu instid0(VALU_DEP_2) | instskip(SKIP_2) | instid1(VALU_DEP_3)
	v_cmp_le_u32_e32 vcc_lo, s60, v27
	s_wait_alu 0xfffd
	v_cndmask_b32_e64 v18, 0, -1, vcc_lo
	v_cmp_le_u32_e32 vcc_lo, s61, v9
	s_wait_alu 0xfffd
	v_cndmask_b32_e64 v27, 0, -1, vcc_lo
	;; [unrolled: 3-line block ×4, first 2 shown]
	v_cmp_eq_u32_e32 vcc_lo, s61, v9
	s_wait_alu 0xfffd
	v_cndmask_b32_e32 v9, v27, v18, vcc_lo
	v_add_co_u32 v18, vcc_lo, v21, 1
	s_wait_alu 0xfffd
	v_add_co_ci_u32_e64 v27, null, 0, v24, vcc_lo
	v_cmp_eq_u32_e32 vcc_lo, s61, v10
	v_xor_b32_e32 v10, s58, v20
	s_wait_alu 0xfffd
	v_cndmask_b32_e32 v2, v28, v2, vcc_lo
	v_cmp_ne_u32_e32 vcc_lo, 0, v9
	s_delay_alu instid0(VALU_DEP_2) | instskip(SKIP_3) | instid1(VALU_DEP_1)
	v_cmp_ne_u32_e64 s0, 0, v2
	s_wait_alu 0xfffd
	v_dual_cndmask_b32 v2, v18, v25 :: v_dual_cndmask_b32 v9, v27, v26
	s_wait_alu 0xf1ff
	v_cndmask_b32_e64 v2, v21, v2, s0
	s_delay_alu instid0(VALU_DEP_2) | instskip(NEXT) | instid1(VALU_DEP_2)
	v_cndmask_b32_e64 v9, v24, v9, s0
	v_xor_b32_e32 v2, v2, v10
	s_delay_alu instid0(VALU_DEP_2) | instskip(NEXT) | instid1(VALU_DEP_2)
	v_xor_b32_e32 v18, v9, v10
	v_sub_co_u32 v9, vcc_lo, v2, v10
	s_wait_alu 0xfffd
	s_delay_alu instid0(VALU_DEP_2)
	v_sub_co_ci_u32_e64 v10, null, v18, v10, vcc_lo
.LBB63_33:                              ;   in Loop: Header=BB63_3 Depth=1
	s_wait_alu 0xfffe
	s_or_saveexec_b32 s0, s57
	v_cvt_f32_u32_e32 v30, s34
	s_wait_alu 0xfffe
	s_xor_b32 exec_lo, exec_lo, s0
	s_cbranch_execz .LBB63_35
; %bb.34:                               ;   in Loop: Header=BB63_3 Depth=1
	s_delay_alu instid0(VALU_DEP_1) | instskip(SKIP_1) | instid1(TRANS32_DEP_1)
	v_rcp_iflag_f32_e32 v2, v30
	s_sub_co_i32 s57, 0, s34
	v_mul_f32_e32 v2, 0x4f7ffffe, v2
	s_delay_alu instid0(VALU_DEP_1) | instskip(SKIP_1) | instid1(VALU_DEP_1)
	v_cvt_u32_f32_e32 v2, v2
	s_wait_alu 0xfffe
	v_mul_lo_u32 v9, s57, v2
	s_delay_alu instid0(VALU_DEP_1) | instskip(NEXT) | instid1(VALU_DEP_1)
	v_mul_hi_u32 v9, v2, v9
	v_add_nc_u32_e32 v2, v2, v9
	s_delay_alu instid0(VALU_DEP_1) | instskip(NEXT) | instid1(VALU_DEP_1)
	v_mul_hi_u32 v2, v22, v2
	v_mul_lo_u32 v9, v2, s34
	v_add_nc_u32_e32 v10, 1, v2
	s_delay_alu instid0(VALU_DEP_2) | instskip(NEXT) | instid1(VALU_DEP_1)
	v_sub_nc_u32_e32 v9, v22, v9
	v_subrev_nc_u32_e32 v18, s34, v9
	v_cmp_le_u32_e32 vcc_lo, s34, v9
	s_wait_alu 0xfffd
	s_delay_alu instid0(VALU_DEP_2) | instskip(SKIP_1) | instid1(VALU_DEP_2)
	v_cndmask_b32_e32 v9, v9, v18, vcc_lo
	v_cndmask_b32_e32 v2, v2, v10, vcc_lo
	v_cmp_le_u32_e32 vcc_lo, s34, v9
	s_delay_alu instid0(VALU_DEP_2) | instskip(SKIP_1) | instid1(VALU_DEP_1)
	v_add_nc_u32_e32 v10, 1, v2
	s_wait_alu 0xfffd
	v_dual_cndmask_b32 v9, v2, v10 :: v_dual_mov_b32 v10, v1
.LBB63_35:                              ;   in Loop: Header=BB63_3 Depth=1
	s_or_b32 exec_lo, exec_lo, s0
	s_wait_loadcnt 0x3
	v_lshlrev_b32_e32 v27, 16, v16
	v_lshlrev_b32_e32 v17, 16, v17
	s_wait_loadcnt 0x0
	v_lshlrev_b32_e32 v16, 16, v12
	v_lshlrev_b32_e32 v15, 16, v15
	v_mul_lo_u32 v2, v10, s34
	v_mul_lo_u32 v21, v9, s35
	v_mad_co_u64_u32 v[24:25], null, v9, s34, 0
	s_delay_alu instid0(VALU_DEP_4)
	v_sub_f32_e32 v26, 1.0, v15
	v_fma_f32 v12, -v27, v27, 1.0
	v_lshlrev_b32_e32 v28, 16, v11
	v_mul_lo_u32 v29, v10, s8
	v_mul_lo_u32 v31, v9, s9
	v_mul_f32_e32 v18, v26, v16
	v_add3_u32 v2, v25, v21, v2
	v_sub_co_u32 v21, vcc_lo, v7, v24
	s_mov_b32 s0, exec_lo
	v_mul_f32_e32 v18, v12, v18
	v_mad_co_u64_u32 v[11:12], null, v9, s8, 0
	v_sub_f32_e32 v9, 1.0, v17
	s_wait_alu 0xfffd
	v_sub_co_ci_u32_e64 v2, null, v8, v2, vcc_lo
	v_mul_f32_e32 v10, v18, v28
	v_add_co_u32 v21, vcc_lo, v3, v21
	s_wait_alu 0xfffd
	s_delay_alu instid0(VALU_DEP_3) | instskip(NEXT) | instid1(VALU_DEP_3)
	v_add_co_ci_u32_e64 v2, null, v4, v2, vcc_lo
	v_mul_f32_e32 v9, v9, v10
	s_delay_alu instid0(VALU_DEP_3) | instskip(SKIP_1) | instid1(VALU_DEP_4)
	v_mul_lo_u32 v32, v21, s11
	v_mad_co_u64_u32 v[24:25], null, v21, s10, 0
	v_mul_lo_u32 v2, v2, s10
	s_delay_alu instid0(VALU_DEP_4) | instskip(SKIP_3) | instid1(VALU_DEP_4)
	v_mul_f32_e32 v28, v9, v17
	v_lshlrev_b64_e32 v[9:10], 1, v[5:6]
	v_alignbit_b32 v5, v6, v5, 31
	v_add3_u32 v12, v12, v31, v29
	v_bfe_u32 v33, v28, 16, 1
	v_cmp_o_f32_e32 vcc_lo, v28, v28
	s_delay_alu instid0(VALU_DEP_4)
	v_mul_lo_u32 v21, s4, v5
	v_mul_lo_u32 v34, s5, v9
	v_mad_co_u64_u32 v[5:6], null, s4, v9, s[4:5]
	v_add3_u32 v33, v28, v33, 0x7fff
	v_add3_u32 v25, v25, v32, v2
	v_lshlrev_b64_e32 v[11:12], 1, v[11:12]
	s_delay_alu instid0(VALU_DEP_3) | instskip(SKIP_1) | instid1(VALU_DEP_4)
	v_lshrrev_b32_e32 v2, 16, v33
	v_add3_u32 v6, v34, v6, v21
	v_lshlrev_b64_e32 v[31:32], 1, v[24:25]
	s_wait_alu 0xfffd
	s_delay_alu instid0(VALU_DEP_3)
	v_cndmask_b32_e32 v28, 0x7fc0, v2, vcc_lo
	v_add_co_u32 v24, vcc_lo, v3, v5
	s_wait_alu 0xfffd
	v_add_co_ci_u32_e64 v25, null, v4, v6, vcc_lo
	v_add_co_u32 v11, vcc_lo, s30, v11
	s_wait_alu 0xfffd
	v_add_co_ci_u32_e64 v12, null, s31, v12, vcc_lo
	s_delay_alu instid0(VALU_DEP_3) | instskip(NEXT) | instid1(VALU_DEP_3)
	v_or_b32_e32 v2, s35, v25
	v_add_co_u32 v11, vcc_lo, v11, v31
	s_wait_alu 0xfffd
	s_delay_alu instid0(VALU_DEP_3)
	v_add_co_ci_u32_e64 v12, null, v12, v32, vcc_lo
	v_ashrrev_i32_e32 v21, 31, v25
	global_store_b16 v[11:12], v28, off
                                        ; implicit-def: $vgpr11_vgpr12
	v_cmpx_ne_u64_e32 0, v[1:2]
	s_wait_alu 0xfffe
	s_xor_b32 s57, exec_lo, s0
	s_cbranch_execz .LBB63_37
; %bb.36:                               ;   in Loop: Header=BB63_3 Depth=1
	s_ashr_i32 s58, s35, 31
	v_add_co_u32 v2, vcc_lo, v24, v21
	s_wait_alu 0xfffe
	s_mov_b32 s59, s58
	s_wait_alu 0xfffd
	v_add_co_ci_u32_e64 v11, null, v25, v21, vcc_lo
	s_wait_alu 0xfffe
	s_add_nc_u64 s[60:61], s[34:35], s[58:59]
	v_xor_b32_e32 v2, v2, v21
	s_wait_alu 0xfffe
	s_xor_b64 s[60:61], s[60:61], s[58:59]
	v_xor_b32_e32 v29, v11, v21
	s_wait_alu 0xfffe
	s_cvt_f32_u32 s0, s60
	s_cvt_f32_u32 s59, s61
	s_sub_nc_u64 s[66:67], 0, s[60:61]
	s_wait_alu 0xfffe
	s_delay_alu instid0(SALU_CYCLE_1) | instskip(SKIP_1) | instid1(SALU_CYCLE_2)
	s_fmamk_f32 s0, s59, 0x4f800000, s0
	s_wait_alu 0xfffe
	v_s_rcp_f32 s0, s0
	s_delay_alu instid0(TRANS32_DEP_1) | instskip(SKIP_1) | instid1(SALU_CYCLE_2)
	s_mul_f32 s0, s0, 0x5f7ffffc
	s_wait_alu 0xfffe
	s_mul_f32 s59, s0, 0x2f800000
	s_wait_alu 0xfffe
	s_delay_alu instid0(SALU_CYCLE_2) | instskip(SKIP_1) | instid1(SALU_CYCLE_2)
	s_trunc_f32 s59, s59
	s_wait_alu 0xfffe
	s_fmamk_f32 s0, s59, 0xcf800000, s0
	s_cvt_u32_f32 s65, s59
	s_wait_alu 0xfffe
	s_delay_alu instid0(SALU_CYCLE_1) | instskip(NEXT) | instid1(SALU_CYCLE_3)
	s_cvt_u32_f32 s64, s0
	s_mul_u64 s[68:69], s[66:67], s[64:65]
	s_delay_alu instid0(SALU_CYCLE_1)
	s_mul_hi_u32 s71, s64, s69
	s_mul_i32 s70, s64, s69
	s_mul_hi_u32 s0, s64, s68
	s_mul_i32 s63, s65, s68
	s_wait_alu 0xfffe
	s_add_nc_u64 s[70:71], s[0:1], s[70:71]
	s_mul_hi_u32 s59, s65, s68
	s_mul_hi_u32 s72, s65, s69
	s_add_co_u32 s0, s70, s63
	s_wait_alu 0xfffe
	s_add_co_ci_u32 s0, s71, s59
	s_mul_i32 s68, s65, s69
	s_add_co_ci_u32 s69, s72, 0
	s_wait_alu 0xfffe
	s_add_nc_u64 s[68:69], s[0:1], s[68:69]
	s_delay_alu instid0(SALU_CYCLE_1) | instskip(SKIP_4) | instid1(SALU_CYCLE_1)
	s_add_co_u32 s64, s64, s68
	s_cselect_b32 s0, -1, 0
	s_wait_alu 0xfffe
	s_cmp_lg_u32 s0, 0
	s_add_co_ci_u32 s65, s65, s69
	s_mul_u64 s[66:67], s[66:67], s[64:65]
	s_delay_alu instid0(SALU_CYCLE_1)
	s_mul_hi_u32 s69, s64, s67
	s_mul_i32 s68, s64, s67
	s_mul_hi_u32 s0, s64, s66
	s_mul_i32 s63, s65, s66
	s_wait_alu 0xfffe
	s_add_nc_u64 s[68:69], s[0:1], s[68:69]
	s_mul_hi_u32 s59, s65, s66
	s_mul_hi_u32 s70, s65, s67
	s_add_co_u32 s0, s68, s63
	s_wait_alu 0xfffe
	s_add_co_ci_u32 s0, s69, s59
	s_mul_i32 s66, s65, s67
	s_add_co_ci_u32 s67, s70, 0
	s_wait_alu 0xfffe
	s_add_nc_u64 s[66:67], s[0:1], s[66:67]
	s_delay_alu instid0(SALU_CYCLE_1)
	s_add_co_u32 s0, s64, s66
	s_cselect_b32 s59, -1, 0
	s_wait_alu 0xfffe
	v_mul_hi_u32 v35, v2, s0
	s_cmp_lg_u32 s59, 0
	v_mad_co_u64_u32 v[31:32], null, v29, s0, 0
	s_add_co_ci_u32 s59, s65, s67
	s_wait_alu 0xfffe
	v_mad_co_u64_u32 v[11:12], null, v2, s59, 0
	v_mad_co_u64_u32 v[33:34], null, v29, s59, 0
	s_delay_alu instid0(VALU_DEP_2) | instskip(SKIP_1) | instid1(VALU_DEP_3)
	v_add_co_u32 v11, vcc_lo, v35, v11
	s_wait_alu 0xfffd
	v_add_co_ci_u32_e64 v12, null, 0, v12, vcc_lo
	s_delay_alu instid0(VALU_DEP_2) | instskip(SKIP_1) | instid1(VALU_DEP_2)
	v_add_co_u32 v11, vcc_lo, v11, v31
	s_wait_alu 0xfffd
	v_add_co_ci_u32_e32 v11, vcc_lo, v12, v32, vcc_lo
	s_wait_alu 0xfffd
	v_add_co_ci_u32_e32 v12, vcc_lo, 0, v34, vcc_lo
	s_delay_alu instid0(VALU_DEP_2) | instskip(SKIP_1) | instid1(VALU_DEP_2)
	v_add_co_u32 v31, vcc_lo, v11, v33
	s_wait_alu 0xfffd
	v_add_co_ci_u32_e64 v32, null, 0, v12, vcc_lo
	s_delay_alu instid0(VALU_DEP_2) | instskip(SKIP_1) | instid1(VALU_DEP_3)
	v_mul_lo_u32 v33, s61, v31
	v_mad_co_u64_u32 v[11:12], null, s60, v31, 0
	v_mul_lo_u32 v34, s60, v32
	s_delay_alu instid0(VALU_DEP_2) | instskip(NEXT) | instid1(VALU_DEP_2)
	v_sub_co_u32 v2, vcc_lo, v2, v11
	v_add3_u32 v12, v12, v34, v33
	s_delay_alu instid0(VALU_DEP_1) | instskip(SKIP_2) | instid1(VALU_DEP_2)
	v_sub_nc_u32_e32 v33, v29, v12
	s_wait_alu 0xfffd
	v_sub_co_ci_u32_e64 v12, null, v29, v12, vcc_lo
	v_subrev_co_ci_u32_e64 v11, null, s61, v33, vcc_lo
	v_add_co_u32 v33, s0, v31, 2
	s_wait_alu 0xf1ff
	v_add_co_ci_u32_e64 v34, null, 0, v32, s0
	v_sub_co_u32 v35, s0, v2, s60
	s_wait_alu 0xf1ff
	v_subrev_co_ci_u32_e64 v11, null, 0, v11, s0
	s_delay_alu instid0(VALU_DEP_2) | instskip(SKIP_2) | instid1(VALU_DEP_3)
	v_cmp_le_u32_e32 vcc_lo, s60, v35
	s_wait_alu 0xfffd
	v_cndmask_b32_e64 v29, 0, -1, vcc_lo
	v_cmp_le_u32_e32 vcc_lo, s61, v11
	s_wait_alu 0xfffd
	v_cndmask_b32_e64 v35, 0, -1, vcc_lo
	;; [unrolled: 3-line block ×4, first 2 shown]
	v_cmp_eq_u32_e32 vcc_lo, s61, v11
	s_wait_alu 0xfffd
	v_cndmask_b32_e32 v11, v35, v29, vcc_lo
	v_add_co_u32 v29, vcc_lo, v31, 1
	s_wait_alu 0xfffd
	v_add_co_ci_u32_e64 v35, null, 0, v32, vcc_lo
	v_cmp_eq_u32_e32 vcc_lo, s61, v12
	v_xor_b32_e32 v12, s58, v21
	s_wait_alu 0xfffd
	v_cndmask_b32_e32 v2, v36, v2, vcc_lo
	v_cmp_ne_u32_e32 vcc_lo, 0, v11
	s_delay_alu instid0(VALU_DEP_2) | instskip(SKIP_3) | instid1(VALU_DEP_1)
	v_cmp_ne_u32_e64 s0, 0, v2
	s_wait_alu 0xfffd
	v_dual_cndmask_b32 v11, v35, v34 :: v_dual_cndmask_b32 v2, v29, v33
	s_wait_alu 0xf1ff
	v_cndmask_b32_e64 v11, v32, v11, s0
	s_delay_alu instid0(VALU_DEP_2) | instskip(NEXT) | instid1(VALU_DEP_2)
	v_cndmask_b32_e64 v2, v31, v2, s0
	v_xor_b32_e32 v29, v11, v12
	s_delay_alu instid0(VALU_DEP_2) | instskip(NEXT) | instid1(VALU_DEP_1)
	v_xor_b32_e32 v2, v2, v12
	v_sub_co_u32 v11, vcc_lo, v2, v12
	s_wait_alu 0xfffd
	s_delay_alu instid0(VALU_DEP_3)
	v_sub_co_ci_u32_e64 v12, null, v29, v12, vcc_lo
.LBB63_37:                              ;   in Loop: Header=BB63_3 Depth=1
	s_wait_alu 0xfffe
	s_and_not1_saveexec_b32 s0, s57
	s_cbranch_execz .LBB63_39
; %bb.38:                               ;   in Loop: Header=BB63_3 Depth=1
	v_rcp_iflag_f32_e32 v2, v30
	s_sub_co_i32 s57, 0, s34
	s_delay_alu instid0(TRANS32_DEP_1) | instskip(NEXT) | instid1(VALU_DEP_1)
	v_mul_f32_e32 v2, 0x4f7ffffe, v2
	v_cvt_u32_f32_e32 v2, v2
	s_wait_alu 0xfffe
	s_delay_alu instid0(VALU_DEP_1) | instskip(NEXT) | instid1(VALU_DEP_1)
	v_mul_lo_u32 v11, s57, v2
	v_mul_hi_u32 v11, v2, v11
	s_delay_alu instid0(VALU_DEP_1) | instskip(NEXT) | instid1(VALU_DEP_1)
	v_add_nc_u32_e32 v2, v2, v11
	v_mul_hi_u32 v2, v24, v2
	s_delay_alu instid0(VALU_DEP_1) | instskip(SKIP_1) | instid1(VALU_DEP_2)
	v_mul_lo_u32 v11, v2, s34
	v_add_nc_u32_e32 v12, 1, v2
	v_sub_nc_u32_e32 v11, v24, v11
	s_delay_alu instid0(VALU_DEP_1) | instskip(SKIP_2) | instid1(VALU_DEP_2)
	v_subrev_nc_u32_e32 v29, s34, v11
	v_cmp_le_u32_e32 vcc_lo, s34, v11
	s_wait_alu 0xfffd
	v_dual_cndmask_b32 v11, v11, v29 :: v_dual_cndmask_b32 v2, v2, v12
	s_delay_alu instid0(VALU_DEP_1) | instskip(NEXT) | instid1(VALU_DEP_2)
	v_cmp_le_u32_e32 vcc_lo, s34, v11
	v_add_nc_u32_e32 v12, 1, v2
	s_wait_alu 0xfffd
	s_delay_alu instid0(VALU_DEP_1)
	v_dual_cndmask_b32 v11, v2, v12 :: v_dual_mov_b32 v12, v1
.LBB63_39:                              ;   in Loop: Header=BB63_3 Depth=1
	s_wait_alu 0xfffe
	s_or_b32 exec_lo, exec_lo, s0
	v_lshlrev_b32_e32 v2, 16, v19
	s_delay_alu instid0(VALU_DEP_2) | instskip(SKIP_2) | instid1(VALU_DEP_4)
	v_mul_lo_u32 v19, v12, s34
	v_mul_lo_u32 v29, v11, s35
	v_mad_co_u64_u32 v[31:32], null, v11, s34, 0
	v_sub_f32_e32 v2, v2, v27
	v_mul_lo_u32 v33, v12, s8
	v_mul_lo_u32 v34, v11, s9
	v_mad_co_u64_u32 v[11:12], null, v11, s8, 0
	s_delay_alu instid0(VALU_DEP_4) | instskip(SKIP_2) | instid1(VALU_DEP_2)
	v_mul_f32_e32 v2, v2, v16
	v_add3_u32 v19, v32, v29, v19
	s_mov_b32 s0, exec_lo
	v_mul_f32_e32 v2, v26, v2
	v_sub_co_u32 v26, vcc_lo, v5, v31
	s_wait_alu 0xfffd
	v_sub_co_ci_u32_e64 v19, null, v6, v19, vcc_lo
	s_delay_alu instid0(VALU_DEP_3) | instskip(NEXT) | instid1(VALU_DEP_3)
	v_mul_f32_e32 v2, v2, v15
	v_add_co_u32 v26, vcc_lo, v3, v26
	s_wait_alu 0xfffd
	s_delay_alu instid0(VALU_DEP_3) | instskip(NEXT) | instid1(VALU_DEP_3)
	v_add_co_ci_u32_e64 v19, null, v4, v19, vcc_lo
	v_bfe_u32 v27, v2, 16, 1
	v_add_co_u32 v9, vcc_lo, v9, 2
	s_wait_alu 0xfffd
	v_add_co_ci_u32_e64 v10, null, 0, v10, vcc_lo
	v_mul_lo_u32 v29, v26, s11
	v_mul_lo_u32 v19, v19, s10
	v_add3_u32 v31, v2, v27, 0x7fff
	v_mad_co_u64_u32 v[26:27], null, v26, s10, 0
	v_mul_lo_u32 v32, s5, v9
	v_mul_lo_u32 v35, s4, v10
	v_mad_co_u64_u32 v[9:10], null, s4, v9, 0
	v_add3_u32 v12, v12, v34, v33
	v_lshrrev_b32_e32 v31, 16, v31
	v_add3_u32 v27, v27, v29, v19
	v_cmp_o_f32_e32 vcc_lo, v2, v2
	s_delay_alu instid0(VALU_DEP_4)
	v_lshlrev_b64_e32 v[11:12], 1, v[11:12]
	v_add3_u32 v10, v10, v35, v32
	s_wait_alu 0xfffd
	v_cndmask_b32_e32 v29, 0x7fc0, v31, vcc_lo
	v_lshlrev_b64_e32 v[31:32], 1, v[26:27]
	v_add_co_u32 v26, vcc_lo, v3, v9
	s_wait_alu 0xfffd
	v_add_co_ci_u32_e64 v27, null, v4, v10, vcc_lo
	v_add_co_u32 v11, vcc_lo, s30, v11
	s_wait_alu 0xfffd
	v_add_co_ci_u32_e64 v12, null, s31, v12, vcc_lo
	s_delay_alu instid0(VALU_DEP_3) | instskip(NEXT) | instid1(VALU_DEP_3)
	v_or_b32_e32 v2, s35, v27
	v_add_co_u32 v11, vcc_lo, v11, v31
	s_wait_alu 0xfffd
	s_delay_alu instid0(VALU_DEP_3)
	v_add_co_ci_u32_e64 v12, null, v12, v32, vcc_lo
	v_ashrrev_i32_e32 v19, 31, v27
	global_store_b16 v[11:12], v29, off
                                        ; implicit-def: $vgpr11_vgpr12
	v_cmpx_ne_u64_e32 0, v[1:2]
	s_wait_alu 0xfffe
	s_xor_b32 s57, exec_lo, s0
	s_cbranch_execz .LBB63_41
; %bb.40:                               ;   in Loop: Header=BB63_3 Depth=1
	s_ashr_i32 s58, s35, 31
	v_add_co_u32 v2, vcc_lo, v26, v19
	s_wait_alu 0xfffe
	s_mov_b32 s59, s58
	s_wait_alu 0xfffd
	v_add_co_ci_u32_e64 v11, null, v27, v19, vcc_lo
	s_wait_alu 0xfffe
	s_add_nc_u64 s[60:61], s[34:35], s[58:59]
	v_xor_b32_e32 v2, v2, v19
	s_wait_alu 0xfffe
	s_xor_b64 s[60:61], s[60:61], s[58:59]
	v_xor_b32_e32 v34, v11, v19
	s_wait_alu 0xfffe
	s_cvt_f32_u32 s0, s60
	s_cvt_f32_u32 s59, s61
	s_sub_nc_u64 s[66:67], 0, s[60:61]
	s_wait_alu 0xfffe
	s_delay_alu instid0(SALU_CYCLE_1) | instskip(SKIP_1) | instid1(SALU_CYCLE_2)
	s_fmamk_f32 s0, s59, 0x4f800000, s0
	s_wait_alu 0xfffe
	v_s_rcp_f32 s0, s0
	s_delay_alu instid0(TRANS32_DEP_1) | instskip(SKIP_1) | instid1(SALU_CYCLE_2)
	s_mul_f32 s0, s0, 0x5f7ffffc
	s_wait_alu 0xfffe
	s_mul_f32 s59, s0, 0x2f800000
	s_wait_alu 0xfffe
	s_delay_alu instid0(SALU_CYCLE_2) | instskip(SKIP_1) | instid1(SALU_CYCLE_2)
	s_trunc_f32 s59, s59
	s_wait_alu 0xfffe
	s_fmamk_f32 s0, s59, 0xcf800000, s0
	s_cvt_u32_f32 s65, s59
	s_wait_alu 0xfffe
	s_delay_alu instid0(SALU_CYCLE_1) | instskip(NEXT) | instid1(SALU_CYCLE_3)
	s_cvt_u32_f32 s64, s0
	s_mul_u64 s[68:69], s[66:67], s[64:65]
	s_delay_alu instid0(SALU_CYCLE_1)
	s_mul_hi_u32 s71, s64, s69
	s_mul_i32 s70, s64, s69
	s_mul_hi_u32 s0, s64, s68
	s_mul_i32 s63, s65, s68
	s_wait_alu 0xfffe
	s_add_nc_u64 s[70:71], s[0:1], s[70:71]
	s_mul_hi_u32 s59, s65, s68
	s_mul_hi_u32 s72, s65, s69
	s_add_co_u32 s0, s70, s63
	s_wait_alu 0xfffe
	s_add_co_ci_u32 s0, s71, s59
	s_mul_i32 s68, s65, s69
	s_add_co_ci_u32 s69, s72, 0
	s_wait_alu 0xfffe
	s_add_nc_u64 s[68:69], s[0:1], s[68:69]
	s_delay_alu instid0(SALU_CYCLE_1) | instskip(SKIP_4) | instid1(SALU_CYCLE_1)
	s_add_co_u32 s64, s64, s68
	s_cselect_b32 s0, -1, 0
	s_wait_alu 0xfffe
	s_cmp_lg_u32 s0, 0
	s_add_co_ci_u32 s65, s65, s69
	s_mul_u64 s[66:67], s[66:67], s[64:65]
	s_delay_alu instid0(SALU_CYCLE_1)
	s_mul_hi_u32 s69, s64, s67
	s_mul_i32 s68, s64, s67
	s_mul_hi_u32 s0, s64, s66
	s_mul_i32 s63, s65, s66
	s_wait_alu 0xfffe
	s_add_nc_u64 s[68:69], s[0:1], s[68:69]
	s_mul_hi_u32 s59, s65, s66
	s_mul_hi_u32 s70, s65, s67
	s_add_co_u32 s0, s68, s63
	s_wait_alu 0xfffe
	s_add_co_ci_u32 s0, s69, s59
	s_mul_i32 s66, s65, s67
	s_add_co_ci_u32 s67, s70, 0
	s_wait_alu 0xfffe
	s_add_nc_u64 s[66:67], s[0:1], s[66:67]
	s_delay_alu instid0(SALU_CYCLE_1)
	s_add_co_u32 s0, s64, s66
	s_cselect_b32 s59, -1, 0
	s_wait_alu 0xfffe
	v_mul_hi_u32 v35, v2, s0
	s_cmp_lg_u32 s59, 0
	v_mad_co_u64_u32 v[30:31], null, v34, s0, 0
	s_add_co_ci_u32 s59, s65, s67
	s_wait_alu 0xfffe
	v_mad_co_u64_u32 v[11:12], null, v2, s59, 0
	v_mad_co_u64_u32 v[32:33], null, v34, s59, 0
	s_delay_alu instid0(VALU_DEP_2) | instskip(SKIP_1) | instid1(VALU_DEP_3)
	v_add_co_u32 v11, vcc_lo, v35, v11
	s_wait_alu 0xfffd
	v_add_co_ci_u32_e64 v12, null, 0, v12, vcc_lo
	s_delay_alu instid0(VALU_DEP_2) | instskip(SKIP_1) | instid1(VALU_DEP_2)
	v_add_co_u32 v11, vcc_lo, v11, v30
	s_wait_alu 0xfffd
	v_add_co_ci_u32_e32 v11, vcc_lo, v12, v31, vcc_lo
	s_wait_alu 0xfffd
	v_add_co_ci_u32_e32 v12, vcc_lo, 0, v33, vcc_lo
	s_delay_alu instid0(VALU_DEP_2) | instskip(SKIP_1) | instid1(VALU_DEP_2)
	v_add_co_u32 v30, vcc_lo, v11, v32
	s_wait_alu 0xfffd
	v_add_co_ci_u32_e64 v31, null, 0, v12, vcc_lo
	s_delay_alu instid0(VALU_DEP_2) | instskip(SKIP_1) | instid1(VALU_DEP_3)
	v_mul_lo_u32 v32, s61, v30
	v_mad_co_u64_u32 v[11:12], null, s60, v30, 0
	v_mul_lo_u32 v33, s60, v31
	s_delay_alu instid0(VALU_DEP_2) | instskip(NEXT) | instid1(VALU_DEP_2)
	v_sub_co_u32 v2, vcc_lo, v2, v11
	v_add3_u32 v12, v12, v33, v32
	s_delay_alu instid0(VALU_DEP_1) | instskip(SKIP_2) | instid1(VALU_DEP_2)
	v_sub_nc_u32_e32 v32, v34, v12
	s_wait_alu 0xfffd
	v_sub_co_ci_u32_e64 v12, null, v34, v12, vcc_lo
	v_subrev_co_ci_u32_e64 v11, null, s61, v32, vcc_lo
	v_add_co_u32 v32, s0, v30, 2
	s_wait_alu 0xf1ff
	v_add_co_ci_u32_e64 v33, null, 0, v31, s0
	v_sub_co_u32 v35, s0, v2, s60
	s_wait_alu 0xf1ff
	v_subrev_co_ci_u32_e64 v11, null, 0, v11, s0
	s_delay_alu instid0(VALU_DEP_2) | instskip(SKIP_2) | instid1(VALU_DEP_3)
	v_cmp_le_u32_e32 vcc_lo, s60, v35
	s_wait_alu 0xfffd
	v_cndmask_b32_e64 v34, 0, -1, vcc_lo
	v_cmp_le_u32_e32 vcc_lo, s61, v11
	s_wait_alu 0xfffd
	v_cndmask_b32_e64 v35, 0, -1, vcc_lo
	;; [unrolled: 3-line block ×4, first 2 shown]
	v_cmp_eq_u32_e32 vcc_lo, s61, v11
	s_wait_alu 0xfffd
	v_cndmask_b32_e32 v11, v35, v34, vcc_lo
	v_add_co_u32 v34, vcc_lo, v30, 1
	s_wait_alu 0xfffd
	v_add_co_ci_u32_e64 v35, null, 0, v31, vcc_lo
	v_cmp_eq_u32_e32 vcc_lo, s61, v12
	v_xor_b32_e32 v12, s58, v19
	s_wait_alu 0xfffd
	v_cndmask_b32_e32 v2, v36, v2, vcc_lo
	v_cmp_ne_u32_e32 vcc_lo, 0, v11
	s_wait_alu 0xfffd
	v_cndmask_b32_e32 v11, v35, v33, vcc_lo
	s_delay_alu instid0(VALU_DEP_3) | instskip(SKIP_2) | instid1(VALU_DEP_2)
	v_cmp_ne_u32_e64 s0, 0, v2
	v_cndmask_b32_e32 v2, v34, v32, vcc_lo
	s_wait_alu 0xf1ff
	v_cndmask_b32_e64 v11, v31, v11, s0
	s_delay_alu instid0(VALU_DEP_2) | instskip(NEXT) | instid1(VALU_DEP_2)
	v_cndmask_b32_e64 v2, v30, v2, s0
	v_xor_b32_e32 v30, v11, v12
	s_delay_alu instid0(VALU_DEP_2) | instskip(NEXT) | instid1(VALU_DEP_1)
	v_xor_b32_e32 v2, v2, v12
	v_sub_co_u32 v11, vcc_lo, v2, v12
	s_wait_alu 0xfffd
	s_delay_alu instid0(VALU_DEP_3)
	v_sub_co_ci_u32_e64 v12, null, v30, v12, vcc_lo
                                        ; implicit-def: $vgpr30
.LBB63_41:                              ;   in Loop: Header=BB63_3 Depth=1
	s_wait_alu 0xfffe
	s_and_not1_saveexec_b32 s0, s57
	s_cbranch_execz .LBB63_43
; %bb.42:                               ;   in Loop: Header=BB63_3 Depth=1
	v_rcp_iflag_f32_e32 v2, v30
	s_sub_co_i32 s57, 0, s34
	s_delay_alu instid0(TRANS32_DEP_1) | instskip(NEXT) | instid1(VALU_DEP_1)
	v_mul_f32_e32 v2, 0x4f7ffffe, v2
	v_cvt_u32_f32_e32 v2, v2
	s_wait_alu 0xfffe
	s_delay_alu instid0(VALU_DEP_1) | instskip(NEXT) | instid1(VALU_DEP_1)
	v_mul_lo_u32 v11, s57, v2
	v_mul_hi_u32 v11, v2, v11
	s_delay_alu instid0(VALU_DEP_1) | instskip(NEXT) | instid1(VALU_DEP_1)
	v_add_nc_u32_e32 v2, v2, v11
	v_mul_hi_u32 v2, v26, v2
	s_delay_alu instid0(VALU_DEP_1) | instskip(SKIP_1) | instid1(VALU_DEP_2)
	v_mul_lo_u32 v11, v2, s34
	v_add_nc_u32_e32 v12, 1, v2
	v_sub_nc_u32_e32 v11, v26, v11
	s_delay_alu instid0(VALU_DEP_1) | instskip(SKIP_2) | instid1(VALU_DEP_2)
	v_subrev_nc_u32_e32 v30, s34, v11
	v_cmp_le_u32_e32 vcc_lo, s34, v11
	s_wait_alu 0xfffd
	v_dual_cndmask_b32 v11, v11, v30 :: v_dual_cndmask_b32 v2, v2, v12
	s_delay_alu instid0(VALU_DEP_1) | instskip(NEXT) | instid1(VALU_DEP_2)
	v_cmp_le_u32_e32 vcc_lo, s34, v11
	v_add_nc_u32_e32 v12, 1, v2
	s_wait_alu 0xfffd
	s_delay_alu instid0(VALU_DEP_1)
	v_dual_cndmask_b32 v11, v2, v12 :: v_dual_mov_b32 v12, v1
.LBB63_43:                              ;   in Loop: Header=BB63_3 Depth=1
	s_wait_alu 0xfffe
	s_or_b32 exec_lo, exec_lo, s0
	s_delay_alu instid0(VALU_DEP_1) | instskip(NEXT) | instid1(VALU_DEP_2)
	v_mul_lo_u32 v2, v12, s34
	v_mul_lo_u32 v32, v11, s35
	v_mad_co_u64_u32 v[30:31], null, v11, s34, 0
	v_mul_lo_u32 v33, v11, s9
	v_bfe_u32 v35, v18, 16, 1
	s_mov_b32 s0, exec_lo
	s_delay_alu instid0(VALU_DEP_3) | instskip(SKIP_3) | instid1(VALU_DEP_3)
	v_add3_u32 v2, v31, v32, v2
	v_mul_lo_u32 v32, v12, s8
	v_sub_co_u32 v12, vcc_lo, v9, v30
	s_wait_alu 0xfffd
	v_sub_co_ci_u32_e64 v2, null, v10, v2, vcc_lo
	s_delay_alu instid0(VALU_DEP_2) | instskip(SKIP_2) | instid1(VALU_DEP_3)
	v_add_co_u32 v30, vcc_lo, v3, v12
	v_mad_co_u64_u32 v[11:12], null, v11, s8, 0
	s_wait_alu 0xfffd
	v_add_co_ci_u32_e64 v2, null, v4, v2, vcc_lo
	s_delay_alu instid0(VALU_DEP_3) | instskip(SKIP_1) | instid1(VALU_DEP_3)
	v_mul_lo_u32 v34, v30, s11
	v_mad_co_u64_u32 v[30:31], null, v30, s10, 0
	v_mul_lo_u32 v2, v2, s10
	v_add3_u32 v12, v12, v33, v32
	v_add3_u32 v32, v18, v35, 0x7fff
	s_delay_alu instid0(VALU_DEP_2) | instskip(NEXT) | instid1(VALU_DEP_2)
	v_lshlrev_b64_e32 v[11:12], 1, v[11:12]
	v_lshrrev_b32_e32 v32, 16, v32
	v_add3_u32 v31, v31, v34, v2
	v_or_b32_e32 v2, s39, v23
	s_delay_alu instid0(VALU_DEP_4) | instskip(NEXT) | instid1(VALU_DEP_3)
	v_add_co_u32 v11, vcc_lo, s30, v11
	v_lshlrev_b64_e32 v[30:31], 1, v[30:31]
	s_wait_alu 0xfffd
	v_add_co_ci_u32_e64 v12, null, s31, v12, vcc_lo
	v_cmp_o_f32_e32 vcc_lo, v18, v18
	s_wait_alu 0xfffd
	v_cndmask_b32_e32 v32, 0x7fc0, v32, vcc_lo
	v_add_co_u32 v11, vcc_lo, v11, v30
	s_wait_alu 0xfffd
	v_add_co_ci_u32_e64 v12, null, v12, v31, vcc_lo
	global_store_b16 v[11:12], v32, off
                                        ; implicit-def: $vgpr11_vgpr12
	v_cmpx_ne_u64_e32 0, v[1:2]
	s_wait_alu 0xfffe
	s_xor_b32 s57, exec_lo, s0
	s_cbranch_execz .LBB63_45
; %bb.44:                               ;   in Loop: Header=BB63_3 Depth=1
	s_ashr_i32 s58, s39, 31
	v_add_co_u32 v2, vcc_lo, v22, v20
	s_wait_alu 0xfffe
	s_mov_b32 s59, s58
	s_wait_alu 0xfffd
	v_add_co_ci_u32_e64 v11, null, v23, v20, vcc_lo
	s_wait_alu 0xfffe
	s_add_nc_u64 s[60:61], s[38:39], s[58:59]
	v_xor_b32_e32 v2, v2, v20
	s_wait_alu 0xfffe
	s_xor_b64 s[60:61], s[60:61], s[58:59]
	v_xor_b32_e32 v32, v11, v20
	s_wait_alu 0xfffe
	s_cvt_f32_u32 s0, s60
	s_cvt_f32_u32 s59, s61
	s_sub_nc_u64 s[66:67], 0, s[60:61]
	s_wait_alu 0xfffe
	s_delay_alu instid0(SALU_CYCLE_1) | instskip(SKIP_1) | instid1(SALU_CYCLE_2)
	s_fmamk_f32 s0, s59, 0x4f800000, s0
	s_wait_alu 0xfffe
	v_s_rcp_f32 s0, s0
	s_delay_alu instid0(TRANS32_DEP_1) | instskip(SKIP_1) | instid1(SALU_CYCLE_2)
	s_mul_f32 s0, s0, 0x5f7ffffc
	s_wait_alu 0xfffe
	s_mul_f32 s59, s0, 0x2f800000
	s_wait_alu 0xfffe
	s_delay_alu instid0(SALU_CYCLE_2) | instskip(SKIP_1) | instid1(SALU_CYCLE_2)
	s_trunc_f32 s59, s59
	s_wait_alu 0xfffe
	s_fmamk_f32 s0, s59, 0xcf800000, s0
	s_cvt_u32_f32 s65, s59
	s_wait_alu 0xfffe
	s_delay_alu instid0(SALU_CYCLE_1) | instskip(NEXT) | instid1(SALU_CYCLE_3)
	s_cvt_u32_f32 s64, s0
	s_mul_u64 s[68:69], s[66:67], s[64:65]
	s_delay_alu instid0(SALU_CYCLE_1)
	s_mul_hi_u32 s71, s64, s69
	s_mul_i32 s70, s64, s69
	s_mul_hi_u32 s0, s64, s68
	s_mul_i32 s63, s65, s68
	s_wait_alu 0xfffe
	s_add_nc_u64 s[70:71], s[0:1], s[70:71]
	s_mul_hi_u32 s59, s65, s68
	s_mul_hi_u32 s72, s65, s69
	s_add_co_u32 s0, s70, s63
	s_wait_alu 0xfffe
	s_add_co_ci_u32 s0, s71, s59
	s_mul_i32 s68, s65, s69
	s_add_co_ci_u32 s69, s72, 0
	s_wait_alu 0xfffe
	s_add_nc_u64 s[68:69], s[0:1], s[68:69]
	s_delay_alu instid0(SALU_CYCLE_1) | instskip(SKIP_4) | instid1(SALU_CYCLE_1)
	s_add_co_u32 s64, s64, s68
	s_cselect_b32 s0, -1, 0
	s_wait_alu 0xfffe
	s_cmp_lg_u32 s0, 0
	s_add_co_ci_u32 s65, s65, s69
	s_mul_u64 s[66:67], s[66:67], s[64:65]
	s_delay_alu instid0(SALU_CYCLE_1)
	s_mul_hi_u32 s69, s64, s67
	s_mul_i32 s68, s64, s67
	s_mul_hi_u32 s0, s64, s66
	s_mul_i32 s63, s65, s66
	s_wait_alu 0xfffe
	s_add_nc_u64 s[68:69], s[0:1], s[68:69]
	s_mul_hi_u32 s59, s65, s66
	s_mul_hi_u32 s70, s65, s67
	s_add_co_u32 s0, s68, s63
	s_wait_alu 0xfffe
	s_add_co_ci_u32 s0, s69, s59
	s_mul_i32 s66, s65, s67
	s_add_co_ci_u32 s67, s70, 0
	s_wait_alu 0xfffe
	s_add_nc_u64 s[66:67], s[0:1], s[66:67]
	s_delay_alu instid0(SALU_CYCLE_1)
	s_add_co_u32 s0, s64, s66
	s_cselect_b32 s59, -1, 0
	s_wait_alu 0xfffe
	v_mul_hi_u32 v33, v2, s0
	s_cmp_lg_u32 s59, 0
	v_mad_co_u64_u32 v[22:23], null, v32, s0, 0
	s_add_co_ci_u32 s59, s65, s67
	s_wait_alu 0xfffe
	v_mad_co_u64_u32 v[11:12], null, v2, s59, 0
	v_mad_co_u64_u32 v[30:31], null, v32, s59, 0
	s_delay_alu instid0(VALU_DEP_2) | instskip(SKIP_1) | instid1(VALU_DEP_3)
	v_add_co_u32 v11, vcc_lo, v33, v11
	s_wait_alu 0xfffd
	v_add_co_ci_u32_e64 v12, null, 0, v12, vcc_lo
	s_delay_alu instid0(VALU_DEP_2) | instskip(SKIP_1) | instid1(VALU_DEP_2)
	v_add_co_u32 v11, vcc_lo, v11, v22
	s_wait_alu 0xfffd
	v_add_co_ci_u32_e32 v11, vcc_lo, v12, v23, vcc_lo
	s_wait_alu 0xfffd
	v_add_co_ci_u32_e32 v12, vcc_lo, 0, v31, vcc_lo
	s_delay_alu instid0(VALU_DEP_2) | instskip(SKIP_1) | instid1(VALU_DEP_2)
	v_add_co_u32 v22, vcc_lo, v11, v30
	s_wait_alu 0xfffd
	v_add_co_ci_u32_e64 v23, null, 0, v12, vcc_lo
	s_delay_alu instid0(VALU_DEP_2) | instskip(SKIP_1) | instid1(VALU_DEP_3)
	v_mul_lo_u32 v30, s61, v22
	v_mad_co_u64_u32 v[11:12], null, s60, v22, 0
	v_mul_lo_u32 v31, s60, v23
	s_delay_alu instid0(VALU_DEP_2) | instskip(NEXT) | instid1(VALU_DEP_2)
	v_sub_co_u32 v2, vcc_lo, v2, v11
	v_add3_u32 v12, v12, v31, v30
	s_delay_alu instid0(VALU_DEP_1) | instskip(SKIP_2) | instid1(VALU_DEP_2)
	v_sub_nc_u32_e32 v30, v32, v12
	s_wait_alu 0xfffd
	v_sub_co_ci_u32_e64 v12, null, v32, v12, vcc_lo
	v_subrev_co_ci_u32_e64 v11, null, s61, v30, vcc_lo
	v_add_co_u32 v30, s0, v22, 2
	s_wait_alu 0xf1ff
	v_add_co_ci_u32_e64 v31, null, 0, v23, s0
	v_sub_co_u32 v33, s0, v2, s60
	s_wait_alu 0xf1ff
	v_subrev_co_ci_u32_e64 v11, null, 0, v11, s0
	s_delay_alu instid0(VALU_DEP_2) | instskip(SKIP_2) | instid1(VALU_DEP_3)
	v_cmp_le_u32_e32 vcc_lo, s60, v33
	s_wait_alu 0xfffd
	v_cndmask_b32_e64 v32, 0, -1, vcc_lo
	v_cmp_le_u32_e32 vcc_lo, s61, v11
	s_wait_alu 0xfffd
	v_cndmask_b32_e64 v33, 0, -1, vcc_lo
	;; [unrolled: 3-line block ×4, first 2 shown]
	v_cmp_eq_u32_e32 vcc_lo, s61, v11
	s_wait_alu 0xfffd
	v_cndmask_b32_e32 v11, v33, v32, vcc_lo
	v_add_co_u32 v32, vcc_lo, v22, 1
	s_wait_alu 0xfffd
	v_add_co_ci_u32_e64 v33, null, 0, v23, vcc_lo
	v_cmp_eq_u32_e32 vcc_lo, s61, v12
	v_xor_b32_e32 v12, s58, v20
	s_wait_alu 0xfffd
	v_cndmask_b32_e32 v2, v34, v2, vcc_lo
	v_cmp_ne_u32_e32 vcc_lo, 0, v11
	s_delay_alu instid0(VALU_DEP_2) | instskip(SKIP_3) | instid1(VALU_DEP_1)
	v_cmp_ne_u32_e64 s0, 0, v2
	s_wait_alu 0xfffd
	v_dual_cndmask_b32 v11, v33, v31 :: v_dual_cndmask_b32 v2, v32, v30
	s_wait_alu 0xf1ff
	v_cndmask_b32_e64 v11, v23, v11, s0
	s_delay_alu instid0(VALU_DEP_2) | instskip(NEXT) | instid1(VALU_DEP_2)
	v_cndmask_b32_e64 v2, v22, v2, s0
                                        ; implicit-def: $vgpr22
	v_xor_b32_e32 v20, v11, v12
	s_delay_alu instid0(VALU_DEP_2) | instskip(NEXT) | instid1(VALU_DEP_1)
	v_xor_b32_e32 v2, v2, v12
	v_sub_co_u32 v11, vcc_lo, v2, v12
	s_wait_alu 0xfffd
	s_delay_alu instid0(VALU_DEP_3)
	v_sub_co_ci_u32_e64 v12, null, v20, v12, vcc_lo
.LBB63_45:                              ;   in Loop: Header=BB63_3 Depth=1
	s_wait_alu 0xfffe
	s_or_saveexec_b32 s0, s57
	v_cvt_f32_u32_e32 v20, s38
	s_wait_alu 0xfffe
	s_xor_b32 exec_lo, exec_lo, s0
	s_cbranch_execz .LBB63_47
; %bb.46:                               ;   in Loop: Header=BB63_3 Depth=1
	s_delay_alu instid0(VALU_DEP_1) | instskip(SKIP_1) | instid1(TRANS32_DEP_1)
	v_rcp_iflag_f32_e32 v2, v20
	s_sub_co_i32 s57, 0, s38
	v_mul_f32_e32 v2, 0x4f7ffffe, v2
	s_delay_alu instid0(VALU_DEP_1) | instskip(SKIP_1) | instid1(VALU_DEP_1)
	v_cvt_u32_f32_e32 v2, v2
	s_wait_alu 0xfffe
	v_mul_lo_u32 v11, s57, v2
	s_delay_alu instid0(VALU_DEP_1) | instskip(NEXT) | instid1(VALU_DEP_1)
	v_mul_hi_u32 v11, v2, v11
	v_add_nc_u32_e32 v2, v2, v11
	s_delay_alu instid0(VALU_DEP_1) | instskip(NEXT) | instid1(VALU_DEP_1)
	v_mul_hi_u32 v2, v22, v2
	v_mul_lo_u32 v11, v2, s38
	v_add_nc_u32_e32 v12, 1, v2
	s_delay_alu instid0(VALU_DEP_2) | instskip(NEXT) | instid1(VALU_DEP_1)
	v_sub_nc_u32_e32 v11, v22, v11
	v_subrev_nc_u32_e32 v22, s38, v11
	v_cmp_le_u32_e32 vcc_lo, s38, v11
	s_wait_alu 0xfffd
	s_delay_alu instid0(VALU_DEP_2) | instskip(NEXT) | instid1(VALU_DEP_1)
	v_dual_cndmask_b32 v11, v11, v22 :: v_dual_cndmask_b32 v2, v2, v12
	v_cmp_le_u32_e32 vcc_lo, s38, v11
	s_delay_alu instid0(VALU_DEP_2) | instskip(SKIP_1) | instid1(VALU_DEP_1)
	v_add_nc_u32_e32 v12, 1, v2
	s_wait_alu 0xfffd
	v_dual_cndmask_b32 v11, v2, v12 :: v_dual_mov_b32 v12, v1
.LBB63_47:                              ;   in Loop: Header=BB63_3 Depth=1
	s_or_b32 exec_lo, exec_lo, s0
	s_delay_alu instid0(VALU_DEP_1) | instskip(NEXT) | instid1(VALU_DEP_2)
	v_mul_lo_u32 v2, v12, s38
	v_mul_lo_u32 v30, v11, s39
	v_mad_co_u64_u32 v[22:23], null, v11, s38, 0
	s_mov_b32 s0, exec_lo
	v_add3_u32 v2, v23, v30, v2
	v_sub_co_u32 v7, vcc_lo, v7, v22
	v_mul_lo_u32 v23, v12, s12
	v_mul_lo_u32 v22, v11, s13
	s_wait_alu 0xfffd
	v_sub_co_ci_u32_e64 v2, null, v8, v2, vcc_lo
	v_add_co_u32 v12, vcc_lo, v3, v7
	v_mad_co_u64_u32 v[7:8], null, v11, s12, 0
	s_wait_alu 0xfffd
	s_delay_alu instid0(VALU_DEP_3) | instskip(NEXT) | instid1(VALU_DEP_3)
	v_add_co_ci_u32_e64 v2, null, v4, v2, vcc_lo
	v_mul_lo_u32 v30, v12, s15
	v_mad_co_u64_u32 v[11:12], null, v12, s14, 0
	s_delay_alu instid0(VALU_DEP_3) | instskip(SKIP_1) | instid1(VALU_DEP_1)
	v_mul_lo_u32 v2, v2, s14
	v_add3_u32 v8, v8, v22, v23
	v_lshlrev_b64_e32 v[7:8], 1, v[7:8]
	s_delay_alu instid0(VALU_DEP_3) | instskip(SKIP_1) | instid1(VALU_DEP_3)
	v_add3_u32 v12, v12, v30, v2
	v_or_b32_e32 v2, s39, v25
	v_add_co_u32 v7, vcc_lo, s36, v7
	s_delay_alu instid0(VALU_DEP_3) | instskip(SKIP_2) | instid1(VALU_DEP_2)
	v_lshlrev_b64_e32 v[11:12], 1, v[11:12]
	s_wait_alu 0xfffd
	v_add_co_ci_u32_e64 v8, null, s37, v8, vcc_lo
	v_add_co_u32 v7, vcc_lo, v7, v11
	s_wait_alu 0xfffd
	s_delay_alu instid0(VALU_DEP_2)
	v_add_co_ci_u32_e64 v8, null, v8, v12, vcc_lo
	global_store_b16 v[7:8], v28, off
                                        ; implicit-def: $vgpr7_vgpr8
	v_cmpx_ne_u64_e32 0, v[1:2]
	s_wait_alu 0xfffe
	s_xor_b32 s57, exec_lo, s0
	s_cbranch_execz .LBB63_49
; %bb.48:                               ;   in Loop: Header=BB63_3 Depth=1
	s_ashr_i32 s58, s39, 31
	v_add_co_u32 v2, vcc_lo, v24, v21
	s_wait_alu 0xfffe
	s_mov_b32 s59, s58
	s_wait_alu 0xfffd
	v_add_co_ci_u32_e64 v7, null, v25, v21, vcc_lo
	s_wait_alu 0xfffe
	s_add_nc_u64 s[60:61], s[38:39], s[58:59]
	v_xor_b32_e32 v2, v2, v21
	s_wait_alu 0xfffe
	s_xor_b64 s[60:61], s[60:61], s[58:59]
	v_xor_b32_e32 v24, v7, v21
	s_wait_alu 0xfffe
	s_cvt_f32_u32 s0, s60
	s_cvt_f32_u32 s59, s61
	s_sub_nc_u64 s[66:67], 0, s[60:61]
	s_wait_alu 0xfffe
	s_delay_alu instid0(SALU_CYCLE_1) | instskip(SKIP_1) | instid1(SALU_CYCLE_2)
	s_fmamk_f32 s0, s59, 0x4f800000, s0
	s_wait_alu 0xfffe
	v_s_rcp_f32 s0, s0
	s_delay_alu instid0(TRANS32_DEP_1) | instskip(SKIP_1) | instid1(SALU_CYCLE_2)
	s_mul_f32 s0, s0, 0x5f7ffffc
	s_wait_alu 0xfffe
	s_mul_f32 s59, s0, 0x2f800000
	s_wait_alu 0xfffe
	s_delay_alu instid0(SALU_CYCLE_2) | instskip(SKIP_1) | instid1(SALU_CYCLE_2)
	s_trunc_f32 s59, s59
	s_wait_alu 0xfffe
	s_fmamk_f32 s0, s59, 0xcf800000, s0
	s_cvt_u32_f32 s65, s59
	s_wait_alu 0xfffe
	s_delay_alu instid0(SALU_CYCLE_1) | instskip(NEXT) | instid1(SALU_CYCLE_3)
	s_cvt_u32_f32 s64, s0
	s_mul_u64 s[68:69], s[66:67], s[64:65]
	s_delay_alu instid0(SALU_CYCLE_1)
	s_mul_hi_u32 s71, s64, s69
	s_mul_i32 s70, s64, s69
	s_mul_hi_u32 s0, s64, s68
	s_mul_i32 s63, s65, s68
	s_wait_alu 0xfffe
	s_add_nc_u64 s[70:71], s[0:1], s[70:71]
	s_mul_hi_u32 s59, s65, s68
	s_mul_hi_u32 s72, s65, s69
	s_add_co_u32 s0, s70, s63
	s_wait_alu 0xfffe
	s_add_co_ci_u32 s0, s71, s59
	s_mul_i32 s68, s65, s69
	s_add_co_ci_u32 s69, s72, 0
	s_wait_alu 0xfffe
	s_add_nc_u64 s[68:69], s[0:1], s[68:69]
	s_delay_alu instid0(SALU_CYCLE_1) | instskip(SKIP_4) | instid1(SALU_CYCLE_1)
	s_add_co_u32 s64, s64, s68
	s_cselect_b32 s0, -1, 0
	s_wait_alu 0xfffe
	s_cmp_lg_u32 s0, 0
	s_add_co_ci_u32 s65, s65, s69
	s_mul_u64 s[66:67], s[66:67], s[64:65]
	s_delay_alu instid0(SALU_CYCLE_1)
	s_mul_hi_u32 s69, s64, s67
	s_mul_i32 s68, s64, s67
	s_mul_hi_u32 s0, s64, s66
	s_mul_i32 s63, s65, s66
	s_wait_alu 0xfffe
	s_add_nc_u64 s[68:69], s[0:1], s[68:69]
	s_mul_hi_u32 s59, s65, s66
	s_mul_hi_u32 s70, s65, s67
	s_add_co_u32 s0, s68, s63
	s_wait_alu 0xfffe
	s_add_co_ci_u32 s0, s69, s59
	s_mul_i32 s66, s65, s67
	s_add_co_ci_u32 s67, s70, 0
	s_wait_alu 0xfffe
	s_add_nc_u64 s[66:67], s[0:1], s[66:67]
	s_delay_alu instid0(SALU_CYCLE_1)
	s_add_co_u32 s0, s64, s66
	s_cselect_b32 s59, -1, 0
	s_wait_alu 0xfffe
	v_mul_hi_u32 v25, v2, s0
	s_cmp_lg_u32 s59, 0
	v_mad_co_u64_u32 v[11:12], null, v24, s0, 0
	s_add_co_ci_u32 s59, s65, s67
	s_wait_alu 0xfffe
	v_mad_co_u64_u32 v[7:8], null, v2, s59, 0
	v_mad_co_u64_u32 v[22:23], null, v24, s59, 0
	s_delay_alu instid0(VALU_DEP_2) | instskip(SKIP_1) | instid1(VALU_DEP_3)
	v_add_co_u32 v7, vcc_lo, v25, v7
	s_wait_alu 0xfffd
	v_add_co_ci_u32_e64 v8, null, 0, v8, vcc_lo
	s_delay_alu instid0(VALU_DEP_2) | instskip(SKIP_1) | instid1(VALU_DEP_2)
	v_add_co_u32 v7, vcc_lo, v7, v11
	s_wait_alu 0xfffd
	v_add_co_ci_u32_e32 v7, vcc_lo, v8, v12, vcc_lo
	s_wait_alu 0xfffd
	v_add_co_ci_u32_e32 v8, vcc_lo, 0, v23, vcc_lo
	s_delay_alu instid0(VALU_DEP_2) | instskip(SKIP_1) | instid1(VALU_DEP_2)
	v_add_co_u32 v11, vcc_lo, v7, v22
	s_wait_alu 0xfffd
	v_add_co_ci_u32_e64 v12, null, 0, v8, vcc_lo
	s_delay_alu instid0(VALU_DEP_2) | instskip(SKIP_1) | instid1(VALU_DEP_3)
	v_mul_lo_u32 v22, s61, v11
	v_mad_co_u64_u32 v[7:8], null, s60, v11, 0
	v_mul_lo_u32 v23, s60, v12
	s_delay_alu instid0(VALU_DEP_2) | instskip(NEXT) | instid1(VALU_DEP_2)
	v_sub_co_u32 v2, vcc_lo, v2, v7
	v_add3_u32 v8, v8, v23, v22
	s_delay_alu instid0(VALU_DEP_1) | instskip(SKIP_2) | instid1(VALU_DEP_2)
	v_sub_nc_u32_e32 v22, v24, v8
	s_wait_alu 0xfffd
	v_sub_co_ci_u32_e64 v8, null, v24, v8, vcc_lo
	v_subrev_co_ci_u32_e64 v7, null, s61, v22, vcc_lo
	v_add_co_u32 v22, s0, v11, 2
	s_wait_alu 0xf1ff
	v_add_co_ci_u32_e64 v23, null, 0, v12, s0
	v_sub_co_u32 v25, s0, v2, s60
	s_wait_alu 0xf1ff
	v_subrev_co_ci_u32_e64 v7, null, 0, v7, s0
	s_delay_alu instid0(VALU_DEP_2) | instskip(SKIP_2) | instid1(VALU_DEP_3)
	v_cmp_le_u32_e32 vcc_lo, s60, v25
	s_wait_alu 0xfffd
	v_cndmask_b32_e64 v24, 0, -1, vcc_lo
	v_cmp_le_u32_e32 vcc_lo, s61, v7
	s_wait_alu 0xfffd
	v_cndmask_b32_e64 v25, 0, -1, vcc_lo
	;; [unrolled: 3-line block ×4, first 2 shown]
	v_cmp_eq_u32_e32 vcc_lo, s61, v7
	s_wait_alu 0xfffd
	v_cndmask_b32_e32 v7, v25, v24, vcc_lo
	v_add_co_u32 v24, vcc_lo, v11, 1
	s_wait_alu 0xfffd
	v_add_co_ci_u32_e64 v25, null, 0, v12, vcc_lo
	v_cmp_eq_u32_e32 vcc_lo, s61, v8
	v_xor_b32_e32 v8, s58, v21
	s_wait_alu 0xfffd
	v_cndmask_b32_e32 v2, v28, v2, vcc_lo
	v_cmp_ne_u32_e32 vcc_lo, 0, v7
	s_delay_alu instid0(VALU_DEP_2) | instskip(SKIP_3) | instid1(VALU_DEP_1)
	v_cmp_ne_u32_e64 s0, 0, v2
	s_wait_alu 0xfffd
	v_dual_cndmask_b32 v7, v25, v23 :: v_dual_cndmask_b32 v2, v24, v22
                                        ; implicit-def: $vgpr24
	s_wait_alu 0xf1ff
	v_cndmask_b32_e64 v7, v12, v7, s0
	s_delay_alu instid0(VALU_DEP_2) | instskip(NEXT) | instid1(VALU_DEP_2)
	v_cndmask_b32_e64 v2, v11, v2, s0
	v_xor_b32_e32 v11, v7, v8
	s_delay_alu instid0(VALU_DEP_2) | instskip(NEXT) | instid1(VALU_DEP_1)
	v_xor_b32_e32 v2, v2, v8
	v_sub_co_u32 v7, vcc_lo, v2, v8
	s_wait_alu 0xfffd
	s_delay_alu instid0(VALU_DEP_3)
	v_sub_co_ci_u32_e64 v8, null, v11, v8, vcc_lo
.LBB63_49:                              ;   in Loop: Header=BB63_3 Depth=1
	s_wait_alu 0xfffe
	s_and_not1_saveexec_b32 s0, s57
	s_cbranch_execz .LBB63_51
; %bb.50:                               ;   in Loop: Header=BB63_3 Depth=1
	v_rcp_iflag_f32_e32 v2, v20
	s_sub_co_i32 s57, 0, s38
	s_delay_alu instid0(TRANS32_DEP_1) | instskip(NEXT) | instid1(VALU_DEP_1)
	v_mul_f32_e32 v2, 0x4f7ffffe, v2
	v_cvt_u32_f32_e32 v2, v2
	s_wait_alu 0xfffe
	s_delay_alu instid0(VALU_DEP_1) | instskip(NEXT) | instid1(VALU_DEP_1)
	v_mul_lo_u32 v7, s57, v2
	v_mul_hi_u32 v7, v2, v7
	s_delay_alu instid0(VALU_DEP_1) | instskip(NEXT) | instid1(VALU_DEP_1)
	v_add_nc_u32_e32 v2, v2, v7
	v_mul_hi_u32 v2, v24, v2
	s_delay_alu instid0(VALU_DEP_1) | instskip(SKIP_1) | instid1(VALU_DEP_2)
	v_mul_lo_u32 v7, v2, s38
	v_add_nc_u32_e32 v8, 1, v2
	v_sub_nc_u32_e32 v7, v24, v7
	s_delay_alu instid0(VALU_DEP_1) | instskip(SKIP_2) | instid1(VALU_DEP_2)
	v_subrev_nc_u32_e32 v11, s38, v7
	v_cmp_le_u32_e32 vcc_lo, s38, v7
	s_wait_alu 0xfffd
	v_dual_cndmask_b32 v7, v7, v11 :: v_dual_cndmask_b32 v2, v2, v8
	s_delay_alu instid0(VALU_DEP_1) | instskip(NEXT) | instid1(VALU_DEP_2)
	v_cmp_le_u32_e32 vcc_lo, s38, v7
	v_add_nc_u32_e32 v8, 1, v2
	s_wait_alu 0xfffd
	s_delay_alu instid0(VALU_DEP_1)
	v_dual_cndmask_b32 v7, v2, v8 :: v_dual_mov_b32 v8, v1
.LBB63_51:                              ;   in Loop: Header=BB63_3 Depth=1
	s_wait_alu 0xfffe
	s_or_b32 exec_lo, exec_lo, s0
	s_delay_alu instid0(VALU_DEP_1) | instskip(NEXT) | instid1(VALU_DEP_2)
	v_mul_lo_u32 v2, v8, s38
	v_mul_lo_u32 v21, v7, s39
	v_mad_co_u64_u32 v[11:12], null, v7, s38, 0
	s_mov_b32 s0, exec_lo
	v_add3_u32 v2, v12, v21, v2
	v_sub_co_u32 v5, vcc_lo, v5, v11
	v_mul_lo_u32 v12, v8, s12
	v_mul_lo_u32 v11, v7, s13
	s_wait_alu 0xfffd
	v_sub_co_ci_u32_e64 v2, null, v6, v2, vcc_lo
	v_add_co_u32 v8, vcc_lo, v3, v5
	v_mad_co_u64_u32 v[5:6], null, v7, s12, 0
	s_wait_alu 0xfffd
	s_delay_alu instid0(VALU_DEP_3) | instskip(NEXT) | instid1(VALU_DEP_3)
	v_add_co_ci_u32_e64 v2, null, v4, v2, vcc_lo
	v_mul_lo_u32 v21, v8, s15
	v_mad_co_u64_u32 v[7:8], null, v8, s14, 0
	s_delay_alu instid0(VALU_DEP_3) | instskip(SKIP_1) | instid1(VALU_DEP_1)
	v_mul_lo_u32 v2, v2, s14
	v_add3_u32 v6, v6, v11, v12
	v_lshlrev_b64_e32 v[5:6], 1, v[5:6]
	s_delay_alu instid0(VALU_DEP_3) | instskip(SKIP_1) | instid1(VALU_DEP_3)
	v_add3_u32 v8, v8, v21, v2
	v_or_b32_e32 v2, s39, v27
	v_add_co_u32 v5, vcc_lo, s36, v5
	s_delay_alu instid0(VALU_DEP_3) | instskip(SKIP_2) | instid1(VALU_DEP_2)
	v_lshlrev_b64_e32 v[7:8], 1, v[7:8]
	s_wait_alu 0xfffd
	v_add_co_ci_u32_e64 v6, null, s37, v6, vcc_lo
	v_add_co_u32 v5, vcc_lo, v5, v7
	s_wait_alu 0xfffd
	s_delay_alu instid0(VALU_DEP_2)
	v_add_co_ci_u32_e64 v6, null, v6, v8, vcc_lo
	global_store_b16 v[5:6], v29, off
                                        ; implicit-def: $vgpr5_vgpr6
	v_cmpx_ne_u64_e32 0, v[1:2]
	s_wait_alu 0xfffe
	s_xor_b32 s57, exec_lo, s0
	s_cbranch_execz .LBB63_53
; %bb.52:                               ;   in Loop: Header=BB63_3 Depth=1
	s_ashr_i32 s58, s39, 31
	v_add_co_u32 v2, vcc_lo, v26, v19
	s_wait_alu 0xfffe
	s_mov_b32 s59, s58
	s_wait_alu 0xfffd
	v_add_co_ci_u32_e64 v5, null, v27, v19, vcc_lo
	s_wait_alu 0xfffe
	s_add_nc_u64 s[60:61], s[38:39], s[58:59]
	v_xor_b32_e32 v2, v2, v19
	s_wait_alu 0xfffe
	s_xor_b64 s[60:61], s[60:61], s[58:59]
	v_xor_b32_e32 v20, v5, v19
	s_wait_alu 0xfffe
	s_cvt_f32_u32 s0, s60
	s_cvt_f32_u32 s59, s61
	s_sub_nc_u64 s[66:67], 0, s[60:61]
                                        ; implicit-def: $vgpr26
	s_wait_alu 0xfffe
	s_delay_alu instid0(SALU_CYCLE_1) | instskip(SKIP_1) | instid1(SALU_CYCLE_2)
	s_fmamk_f32 s0, s59, 0x4f800000, s0
	s_wait_alu 0xfffe
	v_s_rcp_f32 s0, s0
	s_delay_alu instid0(TRANS32_DEP_1) | instskip(SKIP_1) | instid1(SALU_CYCLE_2)
	s_mul_f32 s0, s0, 0x5f7ffffc
	s_wait_alu 0xfffe
	s_mul_f32 s59, s0, 0x2f800000
	s_wait_alu 0xfffe
	s_delay_alu instid0(SALU_CYCLE_2) | instskip(SKIP_1) | instid1(SALU_CYCLE_2)
	s_trunc_f32 s59, s59
	s_wait_alu 0xfffe
	s_fmamk_f32 s0, s59, 0xcf800000, s0
	s_cvt_u32_f32 s65, s59
	s_wait_alu 0xfffe
	s_delay_alu instid0(SALU_CYCLE_1) | instskip(NEXT) | instid1(SALU_CYCLE_3)
	s_cvt_u32_f32 s64, s0
	s_mul_u64 s[68:69], s[66:67], s[64:65]
	s_delay_alu instid0(SALU_CYCLE_1)
	s_mul_hi_u32 s71, s64, s69
	s_mul_i32 s70, s64, s69
	s_mul_hi_u32 s0, s64, s68
	s_mul_i32 s63, s65, s68
	s_wait_alu 0xfffe
	s_add_nc_u64 s[70:71], s[0:1], s[70:71]
	s_mul_hi_u32 s59, s65, s68
	s_mul_hi_u32 s72, s65, s69
	s_add_co_u32 s0, s70, s63
	s_wait_alu 0xfffe
	s_add_co_ci_u32 s0, s71, s59
	s_mul_i32 s68, s65, s69
	s_add_co_ci_u32 s69, s72, 0
	s_wait_alu 0xfffe
	s_add_nc_u64 s[68:69], s[0:1], s[68:69]
	s_delay_alu instid0(SALU_CYCLE_1) | instskip(SKIP_4) | instid1(SALU_CYCLE_1)
	s_add_co_u32 s64, s64, s68
	s_cselect_b32 s0, -1, 0
	s_wait_alu 0xfffe
	s_cmp_lg_u32 s0, 0
	s_add_co_ci_u32 s65, s65, s69
	s_mul_u64 s[66:67], s[66:67], s[64:65]
	s_delay_alu instid0(SALU_CYCLE_1)
	s_mul_hi_u32 s69, s64, s67
	s_mul_i32 s68, s64, s67
	s_mul_hi_u32 s0, s64, s66
	s_mul_i32 s63, s65, s66
	s_wait_alu 0xfffe
	s_add_nc_u64 s[68:69], s[0:1], s[68:69]
	s_mul_hi_u32 s59, s65, s66
	s_mul_hi_u32 s70, s65, s67
	s_add_co_u32 s0, s68, s63
	s_wait_alu 0xfffe
	s_add_co_ci_u32 s0, s69, s59
	s_mul_i32 s66, s65, s67
	s_add_co_ci_u32 s67, s70, 0
	s_wait_alu 0xfffe
	s_add_nc_u64 s[66:67], s[0:1], s[66:67]
	s_delay_alu instid0(SALU_CYCLE_1)
	s_add_co_u32 s0, s64, s66
	s_cselect_b32 s59, -1, 0
	s_wait_alu 0xfffe
	v_mul_hi_u32 v21, v2, s0
	s_cmp_lg_u32 s59, 0
	v_mad_co_u64_u32 v[7:8], null, v20, s0, 0
	s_add_co_ci_u32 s59, s65, s67
	s_wait_alu 0xfffe
	v_mad_co_u64_u32 v[5:6], null, v2, s59, 0
	v_mad_co_u64_u32 v[11:12], null, v20, s59, 0
	s_delay_alu instid0(VALU_DEP_2) | instskip(SKIP_1) | instid1(VALU_DEP_3)
	v_add_co_u32 v5, vcc_lo, v21, v5
	s_wait_alu 0xfffd
	v_add_co_ci_u32_e64 v6, null, 0, v6, vcc_lo
	s_delay_alu instid0(VALU_DEP_2) | instskip(SKIP_1) | instid1(VALU_DEP_2)
	v_add_co_u32 v5, vcc_lo, v5, v7
	s_wait_alu 0xfffd
	v_add_co_ci_u32_e32 v5, vcc_lo, v6, v8, vcc_lo
	s_wait_alu 0xfffd
	v_add_co_ci_u32_e32 v6, vcc_lo, 0, v12, vcc_lo
	s_delay_alu instid0(VALU_DEP_2) | instskip(SKIP_1) | instid1(VALU_DEP_2)
	v_add_co_u32 v7, vcc_lo, v5, v11
	s_wait_alu 0xfffd
	v_add_co_ci_u32_e64 v8, null, 0, v6, vcc_lo
	s_delay_alu instid0(VALU_DEP_2) | instskip(SKIP_1) | instid1(VALU_DEP_3)
	v_mul_lo_u32 v11, s61, v7
	v_mad_co_u64_u32 v[5:6], null, s60, v7, 0
	v_mul_lo_u32 v12, s60, v8
	s_delay_alu instid0(VALU_DEP_2) | instskip(NEXT) | instid1(VALU_DEP_2)
	v_sub_co_u32 v2, vcc_lo, v2, v5
	v_add3_u32 v6, v6, v12, v11
	s_delay_alu instid0(VALU_DEP_1) | instskip(SKIP_2) | instid1(VALU_DEP_2)
	v_sub_nc_u32_e32 v11, v20, v6
	s_wait_alu 0xfffd
	v_sub_co_ci_u32_e64 v6, null, v20, v6, vcc_lo
	v_subrev_co_ci_u32_e64 v5, null, s61, v11, vcc_lo
	v_add_co_u32 v11, s0, v7, 2
	s_wait_alu 0xf1ff
	v_add_co_ci_u32_e64 v12, null, 0, v8, s0
	v_sub_co_u32 v21, s0, v2, s60
	s_wait_alu 0xf1ff
	v_subrev_co_ci_u32_e64 v5, null, 0, v5, s0
	s_delay_alu instid0(VALU_DEP_2) | instskip(SKIP_2) | instid1(VALU_DEP_3)
	v_cmp_le_u32_e32 vcc_lo, s60, v21
	s_wait_alu 0xfffd
	v_cndmask_b32_e64 v20, 0, -1, vcc_lo
	v_cmp_le_u32_e32 vcc_lo, s61, v5
	s_wait_alu 0xfffd
	v_cndmask_b32_e64 v21, 0, -1, vcc_lo
	;; [unrolled: 3-line block ×4, first 2 shown]
	v_cmp_eq_u32_e32 vcc_lo, s61, v5
	s_wait_alu 0xfffd
	v_cndmask_b32_e32 v5, v21, v20, vcc_lo
	v_add_co_u32 v20, vcc_lo, v7, 1
	s_wait_alu 0xfffd
	v_add_co_ci_u32_e64 v21, null, 0, v8, vcc_lo
	v_cmp_eq_u32_e32 vcc_lo, s61, v6
	v_xor_b32_e32 v6, s58, v19
	s_wait_alu 0xfffd
	v_cndmask_b32_e32 v2, v22, v2, vcc_lo
	v_cmp_ne_u32_e32 vcc_lo, 0, v5
	s_delay_alu instid0(VALU_DEP_2) | instskip(SKIP_3) | instid1(VALU_DEP_1)
	v_cmp_ne_u32_e64 s0, 0, v2
	s_wait_alu 0xfffd
	v_dual_cndmask_b32 v5, v21, v12 :: v_dual_cndmask_b32 v2, v20, v11
                                        ; implicit-def: $vgpr20
	s_wait_alu 0xf1ff
	v_cndmask_b32_e64 v5, v8, v5, s0
	s_delay_alu instid0(VALU_DEP_2) | instskip(NEXT) | instid1(VALU_DEP_2)
	v_cndmask_b32_e64 v2, v7, v2, s0
	v_xor_b32_e32 v7, v5, v6
	s_delay_alu instid0(VALU_DEP_2) | instskip(NEXT) | instid1(VALU_DEP_1)
	v_xor_b32_e32 v2, v2, v6
	v_sub_co_u32 v5, vcc_lo, v2, v6
	s_wait_alu 0xfffd
	s_delay_alu instid0(VALU_DEP_3)
	v_sub_co_ci_u32_e64 v6, null, v7, v6, vcc_lo
.LBB63_53:                              ;   in Loop: Header=BB63_3 Depth=1
	s_wait_alu 0xfffe
	s_and_not1_saveexec_b32 s0, s57
	s_cbranch_execz .LBB63_55
; %bb.54:                               ;   in Loop: Header=BB63_3 Depth=1
	v_rcp_iflag_f32_e32 v2, v20
	s_sub_co_i32 s57, 0, s38
	s_delay_alu instid0(TRANS32_DEP_1) | instskip(NEXT) | instid1(VALU_DEP_1)
	v_mul_f32_e32 v2, 0x4f7ffffe, v2
	v_cvt_u32_f32_e32 v2, v2
	s_wait_alu 0xfffe
	s_delay_alu instid0(VALU_DEP_1) | instskip(NEXT) | instid1(VALU_DEP_1)
	v_mul_lo_u32 v5, s57, v2
	v_mul_hi_u32 v5, v2, v5
	s_delay_alu instid0(VALU_DEP_1) | instskip(NEXT) | instid1(VALU_DEP_1)
	v_add_nc_u32_e32 v2, v2, v5
	v_mul_hi_u32 v2, v26, v2
	s_delay_alu instid0(VALU_DEP_1) | instskip(SKIP_1) | instid1(VALU_DEP_2)
	v_mul_lo_u32 v5, v2, s38
	v_add_nc_u32_e32 v6, 1, v2
	v_sub_nc_u32_e32 v5, v26, v5
	s_delay_alu instid0(VALU_DEP_1) | instskip(SKIP_2) | instid1(VALU_DEP_2)
	v_subrev_nc_u32_e32 v7, s38, v5
	v_cmp_le_u32_e32 vcc_lo, s38, v5
	s_wait_alu 0xfffd
	v_dual_cndmask_b32 v5, v5, v7 :: v_dual_cndmask_b32 v2, v2, v6
	s_delay_alu instid0(VALU_DEP_1) | instskip(NEXT) | instid1(VALU_DEP_2)
	v_cmp_le_u32_e32 vcc_lo, s38, v5
	v_add_nc_u32_e32 v6, 1, v2
	s_wait_alu 0xfffd
	s_delay_alu instid0(VALU_DEP_1)
	v_dual_cndmask_b32 v5, v2, v6 :: v_dual_mov_b32 v6, v1
.LBB63_55:                              ;   in Loop: Header=BB63_3 Depth=1
	s_wait_alu 0xfffe
	s_or_b32 exec_lo, exec_lo, s0
	s_delay_alu instid0(VALU_DEP_1) | instskip(NEXT) | instid1(VALU_DEP_2)
	v_mul_lo_u32 v2, v6, s38
	v_mul_lo_u32 v11, v5, s39
	v_mad_co_u64_u32 v[7:8], null, v5, s38, 0
	v_mul_f32_e32 v12, v18, v17
	s_mov_b32 s0, exec_lo
	s_delay_alu instid0(VALU_DEP_1) | instskip(NEXT) | instid1(VALU_DEP_3)
	v_bfe_u32 v17, v12, 16, 1
	v_add3_u32 v2, v8, v11, v2
	v_mul_lo_u32 v11, v6, s12
	v_sub_co_u32 v6, vcc_lo, v9, v7
	v_mul_lo_u32 v9, v5, s13
	s_wait_alu 0xfffd
	v_sub_co_ci_u32_e64 v2, null, v10, v2, vcc_lo
	s_delay_alu instid0(VALU_DEP_3) | instskip(SKIP_2) | instid1(VALU_DEP_3)
	v_add_co_u32 v7, vcc_lo, v3, v6
	v_mad_co_u64_u32 v[5:6], null, v5, s12, 0
	s_wait_alu 0xfffd
	v_add_co_ci_u32_e64 v2, null, v4, v2, vcc_lo
	s_delay_alu instid0(VALU_DEP_3) | instskip(SKIP_1) | instid1(VALU_DEP_3)
	v_mul_lo_u32 v10, v7, s15
	v_mad_co_u64_u32 v[7:8], null, v7, s14, 0
	v_mul_lo_u32 v2, v2, s14
	v_add3_u32 v6, v6, v9, v11
	v_add3_u32 v9, v12, v17, 0x7fff
	s_delay_alu instid0(VALU_DEP_2) | instskip(NEXT) | instid1(VALU_DEP_2)
	v_lshlrev_b64_e32 v[5:6], 1, v[5:6]
	v_lshrrev_b32_e32 v9, 16, v9
	v_add3_u32 v8, v8, v10, v2
	v_or_b32_e32 v2, s47, v4
	s_delay_alu instid0(VALU_DEP_4) | instskip(NEXT) | instid1(VALU_DEP_3)
	v_add_co_u32 v5, vcc_lo, s36, v5
	v_lshlrev_b64_e32 v[7:8], 1, v[7:8]
	s_wait_alu 0xfffd
	v_add_co_ci_u32_e64 v6, null, s37, v6, vcc_lo
	v_cmp_o_f32_e32 vcc_lo, v12, v12
	s_wait_alu 0xfffd
	v_cndmask_b32_e32 v9, 0x7fc0, v9, vcc_lo
	v_add_co_u32 v5, vcc_lo, v5, v7
	s_wait_alu 0xfffd
	v_add_co_ci_u32_e64 v6, null, v6, v8, vcc_lo
	global_store_b16 v[5:6], v9, off
                                        ; implicit-def: $vgpr5_vgpr6
	v_cmpx_ne_u64_e32 0, v[1:2]
	s_wait_alu 0xfffe
	s_xor_b32 s57, exec_lo, s0
	s_cbranch_execz .LBB63_57
; %bb.56:                               ;   in Loop: Header=BB63_3 Depth=1
	s_ashr_i32 s58, s47, 31
	v_add_co_u32 v2, vcc_lo, v3, v14
	s_wait_alu 0xfffe
	s_mov_b32 s59, s58
	s_wait_alu 0xfffd
	v_add_co_ci_u32_e64 v5, null, v4, v14, vcc_lo
	s_wait_alu 0xfffe
	s_add_nc_u64 s[60:61], s[46:47], s[58:59]
	v_xor_b32_e32 v2, v2, v14
	s_wait_alu 0xfffe
	s_xor_b64 s[60:61], s[60:61], s[58:59]
	v_xor_b32_e32 v11, v5, v14
	s_wait_alu 0xfffe
	s_cvt_f32_u32 s0, s60
	s_cvt_f32_u32 s59, s61
	s_sub_nc_u64 s[66:67], 0, s[60:61]
	s_wait_alu 0xfffe
	s_delay_alu instid0(SALU_CYCLE_1) | instskip(SKIP_1) | instid1(SALU_CYCLE_2)
	s_fmamk_f32 s0, s59, 0x4f800000, s0
	s_wait_alu 0xfffe
	v_s_rcp_f32 s0, s0
	s_delay_alu instid0(TRANS32_DEP_1) | instskip(SKIP_1) | instid1(SALU_CYCLE_2)
	s_mul_f32 s0, s0, 0x5f7ffffc
	s_wait_alu 0xfffe
	s_mul_f32 s59, s0, 0x2f800000
	s_wait_alu 0xfffe
	s_delay_alu instid0(SALU_CYCLE_2) | instskip(SKIP_1) | instid1(SALU_CYCLE_2)
	s_trunc_f32 s59, s59
	s_wait_alu 0xfffe
	s_fmamk_f32 s0, s59, 0xcf800000, s0
	s_cvt_u32_f32 s65, s59
	s_wait_alu 0xfffe
	s_delay_alu instid0(SALU_CYCLE_1) | instskip(NEXT) | instid1(SALU_CYCLE_3)
	s_cvt_u32_f32 s64, s0
	s_mul_u64 s[68:69], s[66:67], s[64:65]
	s_delay_alu instid0(SALU_CYCLE_1)
	s_mul_hi_u32 s71, s64, s69
	s_mul_i32 s70, s64, s69
	s_mul_hi_u32 s0, s64, s68
	s_mul_i32 s63, s65, s68
	s_wait_alu 0xfffe
	s_add_nc_u64 s[70:71], s[0:1], s[70:71]
	s_mul_hi_u32 s59, s65, s68
	s_mul_hi_u32 s72, s65, s69
	s_add_co_u32 s0, s70, s63
	s_wait_alu 0xfffe
	s_add_co_ci_u32 s0, s71, s59
	s_mul_i32 s68, s65, s69
	s_add_co_ci_u32 s69, s72, 0
	s_wait_alu 0xfffe
	s_add_nc_u64 s[68:69], s[0:1], s[68:69]
	s_delay_alu instid0(SALU_CYCLE_1) | instskip(SKIP_4) | instid1(SALU_CYCLE_1)
	s_add_co_u32 s64, s64, s68
	s_cselect_b32 s0, -1, 0
	s_wait_alu 0xfffe
	s_cmp_lg_u32 s0, 0
	s_add_co_ci_u32 s65, s65, s69
	s_mul_u64 s[66:67], s[66:67], s[64:65]
	s_delay_alu instid0(SALU_CYCLE_1)
	s_mul_hi_u32 s69, s64, s67
	s_mul_i32 s68, s64, s67
	s_mul_hi_u32 s0, s64, s66
	s_mul_i32 s63, s65, s66
	s_wait_alu 0xfffe
	s_add_nc_u64 s[68:69], s[0:1], s[68:69]
	s_mul_hi_u32 s59, s65, s66
	s_mul_hi_u32 s70, s65, s67
	s_add_co_u32 s0, s68, s63
	s_wait_alu 0xfffe
	s_add_co_ci_u32 s0, s69, s59
	s_mul_i32 s66, s65, s67
	s_add_co_ci_u32 s67, s70, 0
	s_wait_alu 0xfffe
	s_add_nc_u64 s[66:67], s[0:1], s[66:67]
	s_delay_alu instid0(SALU_CYCLE_1)
	s_add_co_u32 s0, s64, s66
	s_cselect_b32 s59, -1, 0
	s_wait_alu 0xfffe
	v_mul_hi_u32 v12, v2, s0
	s_cmp_lg_u32 s59, 0
	v_mad_co_u64_u32 v[7:8], null, v11, s0, 0
	s_add_co_ci_u32 s59, s65, s67
	s_wait_alu 0xfffe
	v_mad_co_u64_u32 v[5:6], null, v2, s59, 0
	v_mad_co_u64_u32 v[9:10], null, v11, s59, 0
	s_delay_alu instid0(VALU_DEP_2) | instskip(SKIP_1) | instid1(VALU_DEP_3)
	v_add_co_u32 v5, vcc_lo, v12, v5
	s_wait_alu 0xfffd
	v_add_co_ci_u32_e64 v6, null, 0, v6, vcc_lo
	s_delay_alu instid0(VALU_DEP_2) | instskip(SKIP_1) | instid1(VALU_DEP_2)
	v_add_co_u32 v5, vcc_lo, v5, v7
	s_wait_alu 0xfffd
	v_add_co_ci_u32_e32 v5, vcc_lo, v6, v8, vcc_lo
	s_wait_alu 0xfffd
	v_add_co_ci_u32_e32 v6, vcc_lo, 0, v10, vcc_lo
	s_delay_alu instid0(VALU_DEP_2) | instskip(SKIP_1) | instid1(VALU_DEP_2)
	v_add_co_u32 v7, vcc_lo, v5, v9
	s_wait_alu 0xfffd
	v_add_co_ci_u32_e64 v8, null, 0, v6, vcc_lo
	s_delay_alu instid0(VALU_DEP_2) | instskip(SKIP_1) | instid1(VALU_DEP_3)
	v_mul_lo_u32 v9, s61, v7
	v_mad_co_u64_u32 v[5:6], null, s60, v7, 0
	v_mul_lo_u32 v10, s60, v8
	s_delay_alu instid0(VALU_DEP_2) | instskip(NEXT) | instid1(VALU_DEP_2)
	v_sub_co_u32 v2, vcc_lo, v2, v5
	v_add3_u32 v6, v6, v10, v9
	s_delay_alu instid0(VALU_DEP_1) | instskip(SKIP_2) | instid1(VALU_DEP_2)
	v_sub_nc_u32_e32 v9, v11, v6
	s_wait_alu 0xfffd
	v_sub_co_ci_u32_e64 v6, null, v11, v6, vcc_lo
	v_subrev_co_ci_u32_e64 v5, null, s61, v9, vcc_lo
	v_add_co_u32 v9, s0, v7, 2
	s_wait_alu 0xf1ff
	v_add_co_ci_u32_e64 v10, null, 0, v8, s0
	v_sub_co_u32 v12, s0, v2, s60
	s_wait_alu 0xf1ff
	v_subrev_co_ci_u32_e64 v5, null, 0, v5, s0
	s_delay_alu instid0(VALU_DEP_2) | instskip(SKIP_2) | instid1(VALU_DEP_3)
	v_cmp_le_u32_e32 vcc_lo, s60, v12
	s_wait_alu 0xfffd
	v_cndmask_b32_e64 v11, 0, -1, vcc_lo
	v_cmp_le_u32_e32 vcc_lo, s61, v5
	s_wait_alu 0xfffd
	v_cndmask_b32_e64 v12, 0, -1, vcc_lo
	v_cmp_le_u32_e32 vcc_lo, s60, v2
	s_wait_alu 0xfffd
	v_cndmask_b32_e64 v2, 0, -1, vcc_lo
	v_cmp_le_u32_e32 vcc_lo, s61, v6
	s_wait_alu 0xfffd
	v_cndmask_b32_e64 v17, 0, -1, vcc_lo
	v_cmp_eq_u32_e32 vcc_lo, s61, v5
	s_wait_alu 0xfffd
	v_cndmask_b32_e32 v5, v12, v11, vcc_lo
	v_add_co_u32 v11, vcc_lo, v7, 1
	s_wait_alu 0xfffd
	v_add_co_ci_u32_e64 v12, null, 0, v8, vcc_lo
	v_cmp_eq_u32_e32 vcc_lo, s61, v6
	v_xor_b32_e32 v6, s58, v14
	s_wait_alu 0xfffd
	v_cndmask_b32_e32 v2, v17, v2, vcc_lo
	v_cmp_ne_u32_e32 vcc_lo, 0, v5
	s_delay_alu instid0(VALU_DEP_2) | instskip(SKIP_3) | instid1(VALU_DEP_1)
	v_cmp_ne_u32_e64 s0, 0, v2
	s_wait_alu 0xfffd
	v_dual_cndmask_b32 v5, v12, v10 :: v_dual_cndmask_b32 v2, v11, v9
	s_wait_alu 0xf1ff
	v_cndmask_b32_e64 v5, v8, v5, s0
	s_delay_alu instid0(VALU_DEP_2) | instskip(NEXT) | instid1(VALU_DEP_2)
	v_cndmask_b32_e64 v2, v7, v2, s0
	v_xor_b32_e32 v7, v5, v6
	s_delay_alu instid0(VALU_DEP_2) | instskip(NEXT) | instid1(VALU_DEP_1)
	v_xor_b32_e32 v2, v2, v6
	v_sub_co_u32 v5, vcc_lo, v2, v6
	s_wait_alu 0xfffd
	s_delay_alu instid0(VALU_DEP_3)
	v_sub_co_ci_u32_e64 v6, null, v7, v6, vcc_lo
.LBB63_57:                              ;   in Loop: Header=BB63_3 Depth=1
	s_wait_alu 0xfffe
	s_and_not1_saveexec_b32 s0, s57
	s_cbranch_execz .LBB63_2
; %bb.58:                               ;   in Loop: Header=BB63_3 Depth=1
	v_cvt_f32_u32_e32 v2, s46
	s_sub_co_i32 s57, 0, s46
	s_delay_alu instid0(VALU_DEP_1) | instskip(NEXT) | instid1(TRANS32_DEP_1)
	v_rcp_iflag_f32_e32 v2, v2
	v_mul_f32_e32 v2, 0x4f7ffffe, v2
	s_delay_alu instid0(VALU_DEP_1) | instskip(SKIP_1) | instid1(VALU_DEP_1)
	v_cvt_u32_f32_e32 v2, v2
	s_wait_alu 0xfffe
	v_mul_lo_u32 v5, s57, v2
	s_delay_alu instid0(VALU_DEP_1) | instskip(NEXT) | instid1(VALU_DEP_1)
	v_mul_hi_u32 v5, v2, v5
	v_add_nc_u32_e32 v2, v2, v5
	s_delay_alu instid0(VALU_DEP_1) | instskip(NEXT) | instid1(VALU_DEP_1)
	v_mul_hi_u32 v2, v3, v2
	v_mul_lo_u32 v5, v2, s46
	v_add_nc_u32_e32 v6, 1, v2
	s_delay_alu instid0(VALU_DEP_2) | instskip(NEXT) | instid1(VALU_DEP_1)
	v_sub_nc_u32_e32 v5, v3, v5
	v_subrev_nc_u32_e32 v7, s46, v5
	v_cmp_le_u32_e32 vcc_lo, s46, v5
	s_wait_alu 0xfffd
	s_delay_alu instid0(VALU_DEP_2) | instskip(NEXT) | instid1(VALU_DEP_1)
	v_dual_cndmask_b32 v5, v5, v7 :: v_dual_cndmask_b32 v2, v2, v6
	v_cmp_le_u32_e32 vcc_lo, s46, v5
	s_delay_alu instid0(VALU_DEP_2) | instskip(SKIP_1) | instid1(VALU_DEP_1)
	v_add_nc_u32_e32 v6, 1, v2
	s_wait_alu 0xfffd
	v_dual_cndmask_b32 v5, v2, v6 :: v_dual_mov_b32 v6, v1
	s_branch .LBB63_2
.LBB63_59:
	s_endpgm
	.section	.rodata,"a",@progbits
	.p2align	6, 0x0
	.amdhsa_kernel _ZN2at6native12_GLOBAL__N_16kernel17gru_cell_backwardIN3c108BFloat16EflLi2EEEvNS_4cuda6detail10TensorInfoIT_T1_EESB_SB_SB_SB_SA_SA_
		.amdhsa_group_segment_fixed_size 0
		.amdhsa_private_segment_fixed_size 0
		.amdhsa_kernarg_size 2352
		.amdhsa_user_sgpr_count 2
		.amdhsa_user_sgpr_dispatch_ptr 0
		.amdhsa_user_sgpr_queue_ptr 0
		.amdhsa_user_sgpr_kernarg_segment_ptr 1
		.amdhsa_user_sgpr_dispatch_id 0
		.amdhsa_user_sgpr_private_segment_size 0
		.amdhsa_wavefront_size32 1
		.amdhsa_uses_dynamic_stack 0
		.amdhsa_enable_private_segment 0
		.amdhsa_system_sgpr_workgroup_id_x 1
		.amdhsa_system_sgpr_workgroup_id_y 0
		.amdhsa_system_sgpr_workgroup_id_z 0
		.amdhsa_system_sgpr_workgroup_info 0
		.amdhsa_system_vgpr_workitem_id 0
		.amdhsa_next_free_vgpr 37
		.amdhsa_next_free_sgpr 73
		.amdhsa_reserve_vcc 1
		.amdhsa_float_round_mode_32 0
		.amdhsa_float_round_mode_16_64 0
		.amdhsa_float_denorm_mode_32 3
		.amdhsa_float_denorm_mode_16_64 3
		.amdhsa_fp16_overflow 0
		.amdhsa_workgroup_processor_mode 1
		.amdhsa_memory_ordered 1
		.amdhsa_forward_progress 1
		.amdhsa_inst_pref_size 136
		.amdhsa_round_robin_scheduling 0
		.amdhsa_exception_fp_ieee_invalid_op 0
		.amdhsa_exception_fp_denorm_src 0
		.amdhsa_exception_fp_ieee_div_zero 0
		.amdhsa_exception_fp_ieee_overflow 0
		.amdhsa_exception_fp_ieee_underflow 0
		.amdhsa_exception_fp_ieee_inexact 0
		.amdhsa_exception_int_div_zero 0
	.end_amdhsa_kernel
	.section	.text._ZN2at6native12_GLOBAL__N_16kernel17gru_cell_backwardIN3c108BFloat16EflLi2EEEvNS_4cuda6detail10TensorInfoIT_T1_EESB_SB_SB_SB_SA_SA_,"axG",@progbits,_ZN2at6native12_GLOBAL__N_16kernel17gru_cell_backwardIN3c108BFloat16EflLi2EEEvNS_4cuda6detail10TensorInfoIT_T1_EESB_SB_SB_SB_SA_SA_,comdat
.Lfunc_end63:
	.size	_ZN2at6native12_GLOBAL__N_16kernel17gru_cell_backwardIN3c108BFloat16EflLi2EEEvNS_4cuda6detail10TensorInfoIT_T1_EESB_SB_SB_SB_SA_SA_, .Lfunc_end63-_ZN2at6native12_GLOBAL__N_16kernel17gru_cell_backwardIN3c108BFloat16EflLi2EEEvNS_4cuda6detail10TensorInfoIT_T1_EESB_SB_SB_SB_SA_SA_
                                        ; -- End function
	.set _ZN2at6native12_GLOBAL__N_16kernel17gru_cell_backwardIN3c108BFloat16EflLi2EEEvNS_4cuda6detail10TensorInfoIT_T1_EESB_SB_SB_SB_SA_SA_.num_vgpr, 37
	.set _ZN2at6native12_GLOBAL__N_16kernel17gru_cell_backwardIN3c108BFloat16EflLi2EEEvNS_4cuda6detail10TensorInfoIT_T1_EESB_SB_SB_SB_SA_SA_.num_agpr, 0
	.set _ZN2at6native12_GLOBAL__N_16kernel17gru_cell_backwardIN3c108BFloat16EflLi2EEEvNS_4cuda6detail10TensorInfoIT_T1_EESB_SB_SB_SB_SA_SA_.numbered_sgpr, 73
	.set _ZN2at6native12_GLOBAL__N_16kernel17gru_cell_backwardIN3c108BFloat16EflLi2EEEvNS_4cuda6detail10TensorInfoIT_T1_EESB_SB_SB_SB_SA_SA_.num_named_barrier, 0
	.set _ZN2at6native12_GLOBAL__N_16kernel17gru_cell_backwardIN3c108BFloat16EflLi2EEEvNS_4cuda6detail10TensorInfoIT_T1_EESB_SB_SB_SB_SA_SA_.private_seg_size, 0
	.set _ZN2at6native12_GLOBAL__N_16kernel17gru_cell_backwardIN3c108BFloat16EflLi2EEEvNS_4cuda6detail10TensorInfoIT_T1_EESB_SB_SB_SB_SA_SA_.uses_vcc, 1
	.set _ZN2at6native12_GLOBAL__N_16kernel17gru_cell_backwardIN3c108BFloat16EflLi2EEEvNS_4cuda6detail10TensorInfoIT_T1_EESB_SB_SB_SB_SA_SA_.uses_flat_scratch, 0
	.set _ZN2at6native12_GLOBAL__N_16kernel17gru_cell_backwardIN3c108BFloat16EflLi2EEEvNS_4cuda6detail10TensorInfoIT_T1_EESB_SB_SB_SB_SA_SA_.has_dyn_sized_stack, 0
	.set _ZN2at6native12_GLOBAL__N_16kernel17gru_cell_backwardIN3c108BFloat16EflLi2EEEvNS_4cuda6detail10TensorInfoIT_T1_EESB_SB_SB_SB_SA_SA_.has_recursion, 0
	.set _ZN2at6native12_GLOBAL__N_16kernel17gru_cell_backwardIN3c108BFloat16EflLi2EEEvNS_4cuda6detail10TensorInfoIT_T1_EESB_SB_SB_SB_SA_SA_.has_indirect_call, 0
	.section	.AMDGPU.csdata,"",@progbits
; Kernel info:
; codeLenInByte = 17368
; TotalNumSgprs: 75
; NumVgprs: 37
; ScratchSize: 0
; MemoryBound: 0
; FloatMode: 240
; IeeeMode: 1
; LDSByteSize: 0 bytes/workgroup (compile time only)
; SGPRBlocks: 0
; VGPRBlocks: 4
; NumSGPRsForWavesPerEU: 75
; NumVGPRsForWavesPerEU: 37
; Occupancy: 16
; WaveLimiterHint : 1
; COMPUTE_PGM_RSRC2:SCRATCH_EN: 0
; COMPUTE_PGM_RSRC2:USER_SGPR: 2
; COMPUTE_PGM_RSRC2:TRAP_HANDLER: 0
; COMPUTE_PGM_RSRC2:TGID_X_EN: 1
; COMPUTE_PGM_RSRC2:TGID_Y_EN: 0
; COMPUTE_PGM_RSRC2:TGID_Z_EN: 0
; COMPUTE_PGM_RSRC2:TIDIG_COMP_CNT: 0
	.section	.AMDGPU.gpr_maximums,"",@progbits
	.set amdgpu.max_num_vgpr, 0
	.set amdgpu.max_num_agpr, 0
	.set amdgpu.max_num_sgpr, 0
	.section	.AMDGPU.csdata,"",@progbits
	.type	__hip_cuid_512efa96afe8493e,@object ; @__hip_cuid_512efa96afe8493e
	.section	.bss,"aw",@nobits
	.globl	__hip_cuid_512efa96afe8493e
__hip_cuid_512efa96afe8493e:
	.byte	0                               ; 0x0
	.size	__hip_cuid_512efa96afe8493e, 1

	.ident	"AMD clang version 22.0.0git (https://github.com/RadeonOpenCompute/llvm-project roc-7.2.4 26084 f58b06dce1f9c15707c5f808fd002e18c2accf7e)"
	.section	".note.GNU-stack","",@progbits
	.addrsig
	.addrsig_sym __hip_cuid_512efa96afe8493e
	.amdgpu_metadata
---
amdhsa.kernels:
  - .args:
      - .offset:         0
        .size:           216
        .value_kind:     by_value
      - .offset:         216
        .size:           216
        .value_kind:     by_value
      - .offset:         432
        .size:           216
        .value_kind:     by_value
      - .offset:         648
        .size:           216
        .value_kind:     by_value
      - .offset:         864
        .size:           216
        .value_kind:     by_value
      - .offset:         1080
        .size:           216
        .value_kind:     by_value
      - .offset:         1296
        .size:           216
        .value_kind:     by_value
      - .offset:         1512
        .size:           216
        .value_kind:     by_value
      - .offset:         1728
        .size:           4
        .value_kind:     by_value
      - .offset:         1732
        .size:           4
        .value_kind:     by_value
      - .offset:         1736
        .size:           4
        .value_kind:     hidden_block_count_x
      - .offset:         1740
        .size:           4
        .value_kind:     hidden_block_count_y
      - .offset:         1744
        .size:           4
        .value_kind:     hidden_block_count_z
      - .offset:         1748
        .size:           2
        .value_kind:     hidden_group_size_x
      - .offset:         1750
        .size:           2
        .value_kind:     hidden_group_size_y
      - .offset:         1752
        .size:           2
        .value_kind:     hidden_group_size_z
      - .offset:         1754
        .size:           2
        .value_kind:     hidden_remainder_x
      - .offset:         1756
        .size:           2
        .value_kind:     hidden_remainder_y
      - .offset:         1758
        .size:           2
        .value_kind:     hidden_remainder_z
      - .offset:         1776
        .size:           8
        .value_kind:     hidden_global_offset_x
      - .offset:         1784
        .size:           8
        .value_kind:     hidden_global_offset_y
      - .offset:         1792
        .size:           8
        .value_kind:     hidden_global_offset_z
      - .offset:         1800
        .size:           2
        .value_kind:     hidden_grid_dims
    .group_segment_fixed_size: 0
    .kernarg_segment_align: 8
    .kernarg_segment_size: 1992
    .language:       OpenCL C
    .language_version:
      - 2
      - 0
    .max_flat_workgroup_size: 512
    .name:           _ZN2at6native12_GLOBAL__N_16kernel17lstm_cell_forwardIddiLi1EEEvNS_4cuda6detail10TensorInfoIT_T1_EES9_S9_S9_S9_S9_S9_S9_S8_S8_
    .private_segment_fixed_size: 0
    .sgpr_count:     74
    .sgpr_spill_count: 0
    .symbol:         _ZN2at6native12_GLOBAL__N_16kernel17lstm_cell_forwardIddiLi1EEEvNS_4cuda6detail10TensorInfoIT_T1_EES9_S9_S9_S9_S9_S9_S9_S8_S8_.kd
    .uniform_work_group_size: 1
    .uses_dynamic_stack: false
    .vgpr_count:     61
    .vgpr_spill_count: 0
    .wavefront_size: 32
    .workgroup_processor_mode: 1
  - .args:
      - .offset:         0
        .size:           216
        .value_kind:     by_value
      - .offset:         216
        .size:           216
        .value_kind:     by_value
      - .offset:         432
        .size:           216
        .value_kind:     by_value
      - .offset:         648
        .size:           216
        .value_kind:     by_value
      - .offset:         864
        .size:           216
        .value_kind:     by_value
      - .offset:         1080
        .size:           216
        .value_kind:     by_value
      - .offset:         1296
        .size:           216
        .value_kind:     by_value
      - .offset:         1512
        .size:           216
        .value_kind:     by_value
      - .offset:         1728
        .size:           4
        .value_kind:     by_value
      - .offset:         1732
        .size:           4
        .value_kind:     by_value
      - .offset:         1736
        .size:           4
        .value_kind:     hidden_block_count_x
      - .offset:         1740
        .size:           4
        .value_kind:     hidden_block_count_y
      - .offset:         1744
        .size:           4
        .value_kind:     hidden_block_count_z
      - .offset:         1748
        .size:           2
        .value_kind:     hidden_group_size_x
      - .offset:         1750
        .size:           2
        .value_kind:     hidden_group_size_y
      - .offset:         1752
        .size:           2
        .value_kind:     hidden_group_size_z
      - .offset:         1754
        .size:           2
        .value_kind:     hidden_remainder_x
      - .offset:         1756
        .size:           2
        .value_kind:     hidden_remainder_y
      - .offset:         1758
        .size:           2
        .value_kind:     hidden_remainder_z
      - .offset:         1776
        .size:           8
        .value_kind:     hidden_global_offset_x
      - .offset:         1784
        .size:           8
        .value_kind:     hidden_global_offset_y
      - .offset:         1792
        .size:           8
        .value_kind:     hidden_global_offset_z
      - .offset:         1800
        .size:           2
        .value_kind:     hidden_grid_dims
    .group_segment_fixed_size: 0
    .kernarg_segment_align: 8
    .kernarg_segment_size: 1992
    .language:       OpenCL C
    .language_version:
      - 2
      - 0
    .max_flat_workgroup_size: 512
    .name:           _ZN2at6native12_GLOBAL__N_16kernel17lstm_cell_forwardIddiLi2EEEvNS_4cuda6detail10TensorInfoIT_T1_EES9_S9_S9_S9_S9_S9_S9_S8_S8_
    .private_segment_fixed_size: 0
    .sgpr_count:     105
    .sgpr_spill_count: 0
    .symbol:         _ZN2at6native12_GLOBAL__N_16kernel17lstm_cell_forwardIddiLi2EEEvNS_4cuda6detail10TensorInfoIT_T1_EES9_S9_S9_S9_S9_S9_S9_S8_S8_.kd
    .uniform_work_group_size: 1
    .uses_dynamic_stack: false
    .vgpr_count:     67
    .vgpr_spill_count: 0
    .wavefront_size: 32
    .workgroup_processor_mode: 1
  - .args:
      - .offset:         0
        .size:           416
        .value_kind:     by_value
      - .offset:         416
        .size:           416
        .value_kind:     by_value
      - .offset:         832
        .size:           416
        .value_kind:     by_value
      - .offset:         1248
        .size:           416
        .value_kind:     by_value
      - .offset:         1664
        .size:           416
        .value_kind:     by_value
      - .offset:         2080
        .size:           416
        .value_kind:     by_value
      - .offset:         2496
        .size:           416
        .value_kind:     by_value
      - .offset:         2912
        .size:           416
        .value_kind:     by_value
      - .offset:         3328
        .size:           8
        .value_kind:     by_value
      - .offset:         3336
        .size:           8
        .value_kind:     by_value
      - .offset:         3344
        .size:           4
        .value_kind:     hidden_block_count_x
      - .offset:         3348
        .size:           4
        .value_kind:     hidden_block_count_y
      - .offset:         3352
        .size:           4
        .value_kind:     hidden_block_count_z
      - .offset:         3356
        .size:           2
        .value_kind:     hidden_group_size_x
      - .offset:         3358
        .size:           2
        .value_kind:     hidden_group_size_y
      - .offset:         3360
        .size:           2
        .value_kind:     hidden_group_size_z
      - .offset:         3362
        .size:           2
        .value_kind:     hidden_remainder_x
      - .offset:         3364
        .size:           2
        .value_kind:     hidden_remainder_y
      - .offset:         3366
        .size:           2
        .value_kind:     hidden_remainder_z
      - .offset:         3384
        .size:           8
        .value_kind:     hidden_global_offset_x
      - .offset:         3392
        .size:           8
        .value_kind:     hidden_global_offset_y
      - .offset:         3400
        .size:           8
        .value_kind:     hidden_global_offset_z
      - .offset:         3408
        .size:           2
        .value_kind:     hidden_grid_dims
    .group_segment_fixed_size: 0
    .kernarg_segment_align: 8
    .kernarg_segment_size: 3600
    .language:       OpenCL C
    .language_version:
      - 2
      - 0
    .max_flat_workgroup_size: 512
    .name:           _ZN2at6native12_GLOBAL__N_16kernel17lstm_cell_forwardIddlLi1EEEvNS_4cuda6detail10TensorInfoIT_T1_EES9_S9_S9_S9_S9_S9_S9_S8_S8_
    .private_segment_fixed_size: 0
    .sgpr_count:     90
    .sgpr_spill_count: 0
    .symbol:         _ZN2at6native12_GLOBAL__N_16kernel17lstm_cell_forwardIddlLi1EEEvNS_4cuda6detail10TensorInfoIT_T1_EES9_S9_S9_S9_S9_S9_S9_S8_S8_.kd
    .uniform_work_group_size: 1
    .uses_dynamic_stack: false
    .vgpr_count:     70
    .vgpr_spill_count: 0
    .wavefront_size: 32
    .workgroup_processor_mode: 1
  - .args:
      - .offset:         0
        .size:           416
        .value_kind:     by_value
      - .offset:         416
        .size:           416
        .value_kind:     by_value
      - .offset:         832
        .size:           416
        .value_kind:     by_value
      - .offset:         1248
        .size:           416
        .value_kind:     by_value
      - .offset:         1664
        .size:           416
        .value_kind:     by_value
      - .offset:         2080
        .size:           416
        .value_kind:     by_value
      - .offset:         2496
        .size:           416
        .value_kind:     by_value
      - .offset:         2912
        .size:           416
        .value_kind:     by_value
      - .offset:         3328
        .size:           8
        .value_kind:     by_value
      - .offset:         3336
        .size:           8
        .value_kind:     by_value
      - .offset:         3344
        .size:           4
        .value_kind:     hidden_block_count_x
      - .offset:         3348
        .size:           4
        .value_kind:     hidden_block_count_y
      - .offset:         3352
        .size:           4
        .value_kind:     hidden_block_count_z
      - .offset:         3356
        .size:           2
        .value_kind:     hidden_group_size_x
      - .offset:         3358
        .size:           2
        .value_kind:     hidden_group_size_y
      - .offset:         3360
        .size:           2
        .value_kind:     hidden_group_size_z
      - .offset:         3362
        .size:           2
        .value_kind:     hidden_remainder_x
      - .offset:         3364
        .size:           2
        .value_kind:     hidden_remainder_y
      - .offset:         3366
        .size:           2
        .value_kind:     hidden_remainder_z
      - .offset:         3384
        .size:           8
        .value_kind:     hidden_global_offset_x
      - .offset:         3392
        .size:           8
        .value_kind:     hidden_global_offset_y
      - .offset:         3400
        .size:           8
        .value_kind:     hidden_global_offset_z
      - .offset:         3408
        .size:           2
        .value_kind:     hidden_grid_dims
    .group_segment_fixed_size: 0
    .kernarg_segment_align: 8
    .kernarg_segment_size: 3600
    .language:       OpenCL C
    .language_version:
      - 2
      - 0
    .max_flat_workgroup_size: 512
    .name:           _ZN2at6native12_GLOBAL__N_16kernel17lstm_cell_forwardIddlLi2EEEvNS_4cuda6detail10TensorInfoIT_T1_EES9_S9_S9_S9_S9_S9_S9_S8_S8_
    .private_segment_fixed_size: 0
    .sgpr_count:     107
    .sgpr_spill_count: 8
    .symbol:         _ZN2at6native12_GLOBAL__N_16kernel17lstm_cell_forwardIddlLi2EEEvNS_4cuda6detail10TensorInfoIT_T1_EES9_S9_S9_S9_S9_S9_S9_S8_S8_.kd
    .uniform_work_group_size: 1
    .uses_dynamic_stack: false
    .vgpr_count:     71
    .vgpr_spill_count: 0
    .wavefront_size: 32
    .workgroup_processor_mode: 1
  - .args:
      - .offset:         0
        .size:           216
        .value_kind:     by_value
      - .offset:         216
        .size:           216
        .value_kind:     by_value
      - .offset:         432
        .size:           216
        .value_kind:     by_value
      - .offset:         648
        .size:           216
        .value_kind:     by_value
      - .offset:         864
        .size:           216
        .value_kind:     by_value
      - .offset:         1080
        .size:           216
        .value_kind:     by_value
      - .offset:         1296
        .size:           216
        .value_kind:     by_value
      - .offset:         1512
        .size:           216
        .value_kind:     by_value
      - .offset:         1728
        .size:           4
        .value_kind:     by_value
      - .offset:         1732
        .size:           4
        .value_kind:     by_value
      - .offset:         1736
        .size:           4
        .value_kind:     hidden_block_count_x
      - .offset:         1740
        .size:           4
        .value_kind:     hidden_block_count_y
      - .offset:         1744
        .size:           4
        .value_kind:     hidden_block_count_z
      - .offset:         1748
        .size:           2
        .value_kind:     hidden_group_size_x
      - .offset:         1750
        .size:           2
        .value_kind:     hidden_group_size_y
      - .offset:         1752
        .size:           2
        .value_kind:     hidden_group_size_z
      - .offset:         1754
        .size:           2
        .value_kind:     hidden_remainder_x
      - .offset:         1756
        .size:           2
        .value_kind:     hidden_remainder_y
      - .offset:         1758
        .size:           2
        .value_kind:     hidden_remainder_z
      - .offset:         1776
        .size:           8
        .value_kind:     hidden_global_offset_x
      - .offset:         1784
        .size:           8
        .value_kind:     hidden_global_offset_y
      - .offset:         1792
        .size:           8
        .value_kind:     hidden_global_offset_z
      - .offset:         1800
        .size:           2
        .value_kind:     hidden_grid_dims
    .group_segment_fixed_size: 0
    .kernarg_segment_align: 8
    .kernarg_segment_size: 1992
    .language:       OpenCL C
    .language_version:
      - 2
      - 0
    .max_flat_workgroup_size: 512
    .name:           _ZN2at6native12_GLOBAL__N_16kernel17lstm_cell_forwardIffiLi1EEEvNS_4cuda6detail10TensorInfoIT_T1_EES9_S9_S9_S9_S9_S9_S9_S8_S8_
    .private_segment_fixed_size: 0
    .sgpr_count:     40
    .sgpr_spill_count: 0
    .symbol:         _ZN2at6native12_GLOBAL__N_16kernel17lstm_cell_forwardIffiLi1EEEvNS_4cuda6detail10TensorInfoIT_T1_EES9_S9_S9_S9_S9_S9_S9_S8_S8_.kd
    .uniform_work_group_size: 1
    .uses_dynamic_stack: false
    .vgpr_count:     37
    .vgpr_spill_count: 0
    .wavefront_size: 32
    .workgroup_processor_mode: 1
  - .args:
      - .offset:         0
        .size:           216
        .value_kind:     by_value
      - .offset:         216
        .size:           216
        .value_kind:     by_value
      - .offset:         432
        .size:           216
        .value_kind:     by_value
      - .offset:         648
        .size:           216
        .value_kind:     by_value
      - .offset:         864
        .size:           216
        .value_kind:     by_value
      - .offset:         1080
        .size:           216
        .value_kind:     by_value
      - .offset:         1296
        .size:           216
        .value_kind:     by_value
      - .offset:         1512
        .size:           216
        .value_kind:     by_value
      - .offset:         1728
        .size:           4
        .value_kind:     by_value
      - .offset:         1732
        .size:           4
        .value_kind:     by_value
      - .offset:         1736
        .size:           4
        .value_kind:     hidden_block_count_x
      - .offset:         1740
        .size:           4
        .value_kind:     hidden_block_count_y
      - .offset:         1744
        .size:           4
        .value_kind:     hidden_block_count_z
      - .offset:         1748
        .size:           2
        .value_kind:     hidden_group_size_x
      - .offset:         1750
        .size:           2
        .value_kind:     hidden_group_size_y
      - .offset:         1752
        .size:           2
        .value_kind:     hidden_group_size_z
      - .offset:         1754
        .size:           2
        .value_kind:     hidden_remainder_x
      - .offset:         1756
        .size:           2
        .value_kind:     hidden_remainder_y
      - .offset:         1758
        .size:           2
        .value_kind:     hidden_remainder_z
      - .offset:         1776
        .size:           8
        .value_kind:     hidden_global_offset_x
      - .offset:         1784
        .size:           8
        .value_kind:     hidden_global_offset_y
      - .offset:         1792
        .size:           8
        .value_kind:     hidden_global_offset_z
      - .offset:         1800
        .size:           2
        .value_kind:     hidden_grid_dims
    .group_segment_fixed_size: 0
    .kernarg_segment_align: 8
    .kernarg_segment_size: 1992
    .language:       OpenCL C
    .language_version:
      - 2
      - 0
    .max_flat_workgroup_size: 512
    .name:           _ZN2at6native12_GLOBAL__N_16kernel17lstm_cell_forwardIffiLi2EEEvNS_4cuda6detail10TensorInfoIT_T1_EES9_S9_S9_S9_S9_S9_S9_S8_S8_
    .private_segment_fixed_size: 0
    .sgpr_count:     71
    .sgpr_spill_count: 0
    .symbol:         _ZN2at6native12_GLOBAL__N_16kernel17lstm_cell_forwardIffiLi2EEEvNS_4cuda6detail10TensorInfoIT_T1_EES9_S9_S9_S9_S9_S9_S9_S8_S8_.kd
    .uniform_work_group_size: 1
    .uses_dynamic_stack: false
    .vgpr_count:     50
    .vgpr_spill_count: 0
    .wavefront_size: 32
    .workgroup_processor_mode: 1
  - .args:
      - .offset:         0
        .size:           416
        .value_kind:     by_value
      - .offset:         416
        .size:           416
        .value_kind:     by_value
      - .offset:         832
        .size:           416
        .value_kind:     by_value
      - .offset:         1248
        .size:           416
        .value_kind:     by_value
      - .offset:         1664
        .size:           416
        .value_kind:     by_value
      - .offset:         2080
        .size:           416
        .value_kind:     by_value
      - .offset:         2496
        .size:           416
        .value_kind:     by_value
      - .offset:         2912
        .size:           416
        .value_kind:     by_value
      - .offset:         3328
        .size:           8
        .value_kind:     by_value
      - .offset:         3336
        .size:           8
        .value_kind:     by_value
      - .offset:         3344
        .size:           4
        .value_kind:     hidden_block_count_x
      - .offset:         3348
        .size:           4
        .value_kind:     hidden_block_count_y
      - .offset:         3352
        .size:           4
        .value_kind:     hidden_block_count_z
      - .offset:         3356
        .size:           2
        .value_kind:     hidden_group_size_x
      - .offset:         3358
        .size:           2
        .value_kind:     hidden_group_size_y
      - .offset:         3360
        .size:           2
        .value_kind:     hidden_group_size_z
      - .offset:         3362
        .size:           2
        .value_kind:     hidden_remainder_x
      - .offset:         3364
        .size:           2
        .value_kind:     hidden_remainder_y
      - .offset:         3366
        .size:           2
        .value_kind:     hidden_remainder_z
      - .offset:         3384
        .size:           8
        .value_kind:     hidden_global_offset_x
      - .offset:         3392
        .size:           8
        .value_kind:     hidden_global_offset_y
      - .offset:         3400
        .size:           8
        .value_kind:     hidden_global_offset_z
      - .offset:         3408
        .size:           2
        .value_kind:     hidden_grid_dims
    .group_segment_fixed_size: 0
    .kernarg_segment_align: 8
    .kernarg_segment_size: 3600
    .language:       OpenCL C
    .language_version:
      - 2
      - 0
    .max_flat_workgroup_size: 512
    .name:           _ZN2at6native12_GLOBAL__N_16kernel17lstm_cell_forwardIfflLi1EEEvNS_4cuda6detail10TensorInfoIT_T1_EES9_S9_S9_S9_S9_S9_S9_S8_S8_
    .private_segment_fixed_size: 0
    .sgpr_count:     58
    .sgpr_spill_count: 0
    .symbol:         _ZN2at6native12_GLOBAL__N_16kernel17lstm_cell_forwardIfflLi1EEEvNS_4cuda6detail10TensorInfoIT_T1_EES9_S9_S9_S9_S9_S9_S9_S8_S8_.kd
    .uniform_work_group_size: 1
    .uses_dynamic_stack: false
    .vgpr_count:     49
    .vgpr_spill_count: 0
    .wavefront_size: 32
    .workgroup_processor_mode: 1
  - .args:
      - .offset:         0
        .size:           416
        .value_kind:     by_value
      - .offset:         416
        .size:           416
        .value_kind:     by_value
      - .offset:         832
        .size:           416
        .value_kind:     by_value
      - .offset:         1248
        .size:           416
        .value_kind:     by_value
      - .offset:         1664
        .size:           416
        .value_kind:     by_value
      - .offset:         2080
        .size:           416
        .value_kind:     by_value
      - .offset:         2496
        .size:           416
        .value_kind:     by_value
      - .offset:         2912
        .size:           416
        .value_kind:     by_value
      - .offset:         3328
        .size:           8
        .value_kind:     by_value
      - .offset:         3336
        .size:           8
        .value_kind:     by_value
      - .offset:         3344
        .size:           4
        .value_kind:     hidden_block_count_x
      - .offset:         3348
        .size:           4
        .value_kind:     hidden_block_count_y
      - .offset:         3352
        .size:           4
        .value_kind:     hidden_block_count_z
      - .offset:         3356
        .size:           2
        .value_kind:     hidden_group_size_x
      - .offset:         3358
        .size:           2
        .value_kind:     hidden_group_size_y
      - .offset:         3360
        .size:           2
        .value_kind:     hidden_group_size_z
      - .offset:         3362
        .size:           2
        .value_kind:     hidden_remainder_x
      - .offset:         3364
        .size:           2
        .value_kind:     hidden_remainder_y
      - .offset:         3366
        .size:           2
        .value_kind:     hidden_remainder_z
      - .offset:         3384
        .size:           8
        .value_kind:     hidden_global_offset_x
      - .offset:         3392
        .size:           8
        .value_kind:     hidden_global_offset_y
      - .offset:         3400
        .size:           8
        .value_kind:     hidden_global_offset_z
      - .offset:         3408
        .size:           2
        .value_kind:     hidden_grid_dims
    .group_segment_fixed_size: 0
    .kernarg_segment_align: 8
    .kernarg_segment_size: 3600
    .language:       OpenCL C
    .language_version:
      - 2
      - 0
    .max_flat_workgroup_size: 512
    .name:           _ZN2at6native12_GLOBAL__N_16kernel17lstm_cell_forwardIfflLi2EEEvNS_4cuda6detail10TensorInfoIT_T1_EES9_S9_S9_S9_S9_S9_S9_S8_S8_
    .private_segment_fixed_size: 0
    .sgpr_count:     94
    .sgpr_spill_count: 0
    .symbol:         _ZN2at6native12_GLOBAL__N_16kernel17lstm_cell_forwardIfflLi2EEEvNS_4cuda6detail10TensorInfoIT_T1_EES9_S9_S9_S9_S9_S9_S9_S8_S8_.kd
    .uniform_work_group_size: 1
    .uses_dynamic_stack: false
    .vgpr_count:     56
    .vgpr_spill_count: 0
    .wavefront_size: 32
    .workgroup_processor_mode: 1
  - .args:
      - .offset:         0
        .size:           216
        .value_kind:     by_value
      - .offset:         216
        .size:           216
        .value_kind:     by_value
      - .offset:         432
        .size:           216
        .value_kind:     by_value
      - .offset:         648
        .size:           216
        .value_kind:     by_value
      - .offset:         864
        .size:           216
        .value_kind:     by_value
      - .offset:         1080
        .size:           216
        .value_kind:     by_value
      - .offset:         1296
        .size:           216
        .value_kind:     by_value
      - .offset:         1512
        .size:           216
        .value_kind:     by_value
      - .offset:         1728
        .size:           4
        .value_kind:     by_value
      - .offset:         1732
        .size:           4
        .value_kind:     by_value
      - .offset:         1736
        .size:           4
        .value_kind:     hidden_block_count_x
      - .offset:         1740
        .size:           4
        .value_kind:     hidden_block_count_y
      - .offset:         1744
        .size:           4
        .value_kind:     hidden_block_count_z
      - .offset:         1748
        .size:           2
        .value_kind:     hidden_group_size_x
      - .offset:         1750
        .size:           2
        .value_kind:     hidden_group_size_y
      - .offset:         1752
        .size:           2
        .value_kind:     hidden_group_size_z
      - .offset:         1754
        .size:           2
        .value_kind:     hidden_remainder_x
      - .offset:         1756
        .size:           2
        .value_kind:     hidden_remainder_y
      - .offset:         1758
        .size:           2
        .value_kind:     hidden_remainder_z
      - .offset:         1776
        .size:           8
        .value_kind:     hidden_global_offset_x
      - .offset:         1784
        .size:           8
        .value_kind:     hidden_global_offset_y
      - .offset:         1792
        .size:           8
        .value_kind:     hidden_global_offset_z
      - .offset:         1800
        .size:           2
        .value_kind:     hidden_grid_dims
    .group_segment_fixed_size: 0
    .kernarg_segment_align: 8
    .kernarg_segment_size: 1992
    .language:       OpenCL C
    .language_version:
      - 2
      - 0
    .max_flat_workgroup_size: 512
    .name:           _ZN2at6native12_GLOBAL__N_16kernel17lstm_cell_forwardIN3c104HalfEfiLi1EEEvNS_4cuda6detail10TensorInfoIT_T1_EESB_SB_SB_SB_SB_SB_SB_SA_SA_
    .private_segment_fixed_size: 0
    .sgpr_count:     40
    .sgpr_spill_count: 0
    .symbol:         _ZN2at6native12_GLOBAL__N_16kernel17lstm_cell_forwardIN3c104HalfEfiLi1EEEvNS_4cuda6detail10TensorInfoIT_T1_EESB_SB_SB_SB_SB_SB_SB_SA_SA_.kd
    .uniform_work_group_size: 1
    .uses_dynamic_stack: false
    .vgpr_count:     34
    .vgpr_spill_count: 0
    .wavefront_size: 32
    .workgroup_processor_mode: 1
  - .args:
      - .offset:         0
        .size:           216
        .value_kind:     by_value
      - .offset:         216
        .size:           216
        .value_kind:     by_value
      - .offset:         432
        .size:           216
        .value_kind:     by_value
      - .offset:         648
        .size:           216
        .value_kind:     by_value
      - .offset:         864
        .size:           216
        .value_kind:     by_value
      - .offset:         1080
        .size:           216
        .value_kind:     by_value
      - .offset:         1296
        .size:           216
        .value_kind:     by_value
      - .offset:         1512
        .size:           216
        .value_kind:     by_value
      - .offset:         1728
        .size:           4
        .value_kind:     by_value
      - .offset:         1732
        .size:           4
        .value_kind:     by_value
      - .offset:         1736
        .size:           4
        .value_kind:     hidden_block_count_x
      - .offset:         1740
        .size:           4
        .value_kind:     hidden_block_count_y
      - .offset:         1744
        .size:           4
        .value_kind:     hidden_block_count_z
      - .offset:         1748
        .size:           2
        .value_kind:     hidden_group_size_x
      - .offset:         1750
        .size:           2
        .value_kind:     hidden_group_size_y
      - .offset:         1752
        .size:           2
        .value_kind:     hidden_group_size_z
      - .offset:         1754
        .size:           2
        .value_kind:     hidden_remainder_x
      - .offset:         1756
        .size:           2
        .value_kind:     hidden_remainder_y
      - .offset:         1758
        .size:           2
        .value_kind:     hidden_remainder_z
      - .offset:         1776
        .size:           8
        .value_kind:     hidden_global_offset_x
      - .offset:         1784
        .size:           8
        .value_kind:     hidden_global_offset_y
      - .offset:         1792
        .size:           8
        .value_kind:     hidden_global_offset_z
      - .offset:         1800
        .size:           2
        .value_kind:     hidden_grid_dims
    .group_segment_fixed_size: 0
    .kernarg_segment_align: 8
    .kernarg_segment_size: 1992
    .language:       OpenCL C
    .language_version:
      - 2
      - 0
    .max_flat_workgroup_size: 512
    .name:           _ZN2at6native12_GLOBAL__N_16kernel17lstm_cell_forwardIN3c104HalfEfiLi2EEEvNS_4cuda6detail10TensorInfoIT_T1_EESB_SB_SB_SB_SB_SB_SB_SA_SA_
    .private_segment_fixed_size: 0
    .sgpr_count:     71
    .sgpr_spill_count: 0
    .symbol:         _ZN2at6native12_GLOBAL__N_16kernel17lstm_cell_forwardIN3c104HalfEfiLi2EEEvNS_4cuda6detail10TensorInfoIT_T1_EESB_SB_SB_SB_SB_SB_SB_SA_SA_.kd
    .uniform_work_group_size: 1
    .uses_dynamic_stack: false
    .vgpr_count:     49
    .vgpr_spill_count: 0
    .wavefront_size: 32
    .workgroup_processor_mode: 1
  - .args:
      - .offset:         0
        .size:           416
        .value_kind:     by_value
      - .offset:         416
        .size:           416
        .value_kind:     by_value
      - .offset:         832
        .size:           416
        .value_kind:     by_value
      - .offset:         1248
        .size:           416
        .value_kind:     by_value
      - .offset:         1664
        .size:           416
        .value_kind:     by_value
      - .offset:         2080
        .size:           416
        .value_kind:     by_value
      - .offset:         2496
        .size:           416
        .value_kind:     by_value
      - .offset:         2912
        .size:           416
        .value_kind:     by_value
      - .offset:         3328
        .size:           8
        .value_kind:     by_value
      - .offset:         3336
        .size:           8
        .value_kind:     by_value
      - .offset:         3344
        .size:           4
        .value_kind:     hidden_block_count_x
      - .offset:         3348
        .size:           4
        .value_kind:     hidden_block_count_y
      - .offset:         3352
        .size:           4
        .value_kind:     hidden_block_count_z
      - .offset:         3356
        .size:           2
        .value_kind:     hidden_group_size_x
      - .offset:         3358
        .size:           2
        .value_kind:     hidden_group_size_y
      - .offset:         3360
        .size:           2
        .value_kind:     hidden_group_size_z
      - .offset:         3362
        .size:           2
        .value_kind:     hidden_remainder_x
      - .offset:         3364
        .size:           2
        .value_kind:     hidden_remainder_y
      - .offset:         3366
        .size:           2
        .value_kind:     hidden_remainder_z
      - .offset:         3384
        .size:           8
        .value_kind:     hidden_global_offset_x
      - .offset:         3392
        .size:           8
        .value_kind:     hidden_global_offset_y
      - .offset:         3400
        .size:           8
        .value_kind:     hidden_global_offset_z
      - .offset:         3408
        .size:           2
        .value_kind:     hidden_grid_dims
    .group_segment_fixed_size: 0
    .kernarg_segment_align: 8
    .kernarg_segment_size: 3600
    .language:       OpenCL C
    .language_version:
      - 2
      - 0
    .max_flat_workgroup_size: 512
    .name:           _ZN2at6native12_GLOBAL__N_16kernel17lstm_cell_forwardIN3c104HalfEflLi1EEEvNS_4cuda6detail10TensorInfoIT_T1_EESB_SB_SB_SB_SB_SB_SB_SA_SA_
    .private_segment_fixed_size: 0
    .sgpr_count:     58
    .sgpr_spill_count: 0
    .symbol:         _ZN2at6native12_GLOBAL__N_16kernel17lstm_cell_forwardIN3c104HalfEflLi1EEEvNS_4cuda6detail10TensorInfoIT_T1_EESB_SB_SB_SB_SB_SB_SB_SA_SA_.kd
    .uniform_work_group_size: 1
    .uses_dynamic_stack: false
    .vgpr_count:     50
    .vgpr_spill_count: 0
    .wavefront_size: 32
    .workgroup_processor_mode: 1
  - .args:
      - .offset:         0
        .size:           416
        .value_kind:     by_value
      - .offset:         416
        .size:           416
        .value_kind:     by_value
      - .offset:         832
        .size:           416
        .value_kind:     by_value
      - .offset:         1248
        .size:           416
        .value_kind:     by_value
      - .offset:         1664
        .size:           416
        .value_kind:     by_value
      - .offset:         2080
        .size:           416
        .value_kind:     by_value
      - .offset:         2496
        .size:           416
        .value_kind:     by_value
      - .offset:         2912
        .size:           416
        .value_kind:     by_value
      - .offset:         3328
        .size:           8
        .value_kind:     by_value
      - .offset:         3336
        .size:           8
        .value_kind:     by_value
      - .offset:         3344
        .size:           4
        .value_kind:     hidden_block_count_x
      - .offset:         3348
        .size:           4
        .value_kind:     hidden_block_count_y
      - .offset:         3352
        .size:           4
        .value_kind:     hidden_block_count_z
      - .offset:         3356
        .size:           2
        .value_kind:     hidden_group_size_x
      - .offset:         3358
        .size:           2
        .value_kind:     hidden_group_size_y
      - .offset:         3360
        .size:           2
        .value_kind:     hidden_group_size_z
      - .offset:         3362
        .size:           2
        .value_kind:     hidden_remainder_x
      - .offset:         3364
        .size:           2
        .value_kind:     hidden_remainder_y
      - .offset:         3366
        .size:           2
        .value_kind:     hidden_remainder_z
      - .offset:         3384
        .size:           8
        .value_kind:     hidden_global_offset_x
      - .offset:         3392
        .size:           8
        .value_kind:     hidden_global_offset_y
      - .offset:         3400
        .size:           8
        .value_kind:     hidden_global_offset_z
      - .offset:         3408
        .size:           2
        .value_kind:     hidden_grid_dims
    .group_segment_fixed_size: 0
    .kernarg_segment_align: 8
    .kernarg_segment_size: 3600
    .language:       OpenCL C
    .language_version:
      - 2
      - 0
    .max_flat_workgroup_size: 512
    .name:           _ZN2at6native12_GLOBAL__N_16kernel17lstm_cell_forwardIN3c104HalfEflLi2EEEvNS_4cuda6detail10TensorInfoIT_T1_EESB_SB_SB_SB_SB_SB_SB_SA_SA_
    .private_segment_fixed_size: 0
    .sgpr_count:     94
    .sgpr_spill_count: 0
    .symbol:         _ZN2at6native12_GLOBAL__N_16kernel17lstm_cell_forwardIN3c104HalfEflLi2EEEvNS_4cuda6detail10TensorInfoIT_T1_EESB_SB_SB_SB_SB_SB_SB_SA_SA_.kd
    .uniform_work_group_size: 1
    .uses_dynamic_stack: false
    .vgpr_count:     57
    .vgpr_spill_count: 0
    .wavefront_size: 32
    .workgroup_processor_mode: 1
  - .args:
      - .offset:         0
        .size:           216
        .value_kind:     by_value
      - .offset:         216
        .size:           216
        .value_kind:     by_value
      - .offset:         432
        .size:           216
        .value_kind:     by_value
      - .offset:         648
        .size:           216
        .value_kind:     by_value
      - .offset:         864
        .size:           216
        .value_kind:     by_value
      - .offset:         1080
        .size:           216
        .value_kind:     by_value
      - .offset:         1296
        .size:           216
        .value_kind:     by_value
      - .offset:         1512
        .size:           216
        .value_kind:     by_value
      - .offset:         1728
        .size:           4
        .value_kind:     by_value
      - .offset:         1732
        .size:           4
        .value_kind:     by_value
      - .offset:         1736
        .size:           4
        .value_kind:     hidden_block_count_x
      - .offset:         1740
        .size:           4
        .value_kind:     hidden_block_count_y
      - .offset:         1744
        .size:           4
        .value_kind:     hidden_block_count_z
      - .offset:         1748
        .size:           2
        .value_kind:     hidden_group_size_x
      - .offset:         1750
        .size:           2
        .value_kind:     hidden_group_size_y
      - .offset:         1752
        .size:           2
        .value_kind:     hidden_group_size_z
      - .offset:         1754
        .size:           2
        .value_kind:     hidden_remainder_x
      - .offset:         1756
        .size:           2
        .value_kind:     hidden_remainder_y
      - .offset:         1758
        .size:           2
        .value_kind:     hidden_remainder_z
      - .offset:         1776
        .size:           8
        .value_kind:     hidden_global_offset_x
      - .offset:         1784
        .size:           8
        .value_kind:     hidden_global_offset_y
      - .offset:         1792
        .size:           8
        .value_kind:     hidden_global_offset_z
      - .offset:         1800
        .size:           2
        .value_kind:     hidden_grid_dims
    .group_segment_fixed_size: 0
    .kernarg_segment_align: 8
    .kernarg_segment_size: 1992
    .language:       OpenCL C
    .language_version:
      - 2
      - 0
    .max_flat_workgroup_size: 512
    .name:           _ZN2at6native12_GLOBAL__N_16kernel17lstm_cell_forwardIN3c108BFloat16EfiLi1EEEvNS_4cuda6detail10TensorInfoIT_T1_EESB_SB_SB_SB_SB_SB_SB_SA_SA_
    .private_segment_fixed_size: 0
    .sgpr_count:     40
    .sgpr_spill_count: 0
    .symbol:         _ZN2at6native12_GLOBAL__N_16kernel17lstm_cell_forwardIN3c108BFloat16EfiLi1EEEvNS_4cuda6detail10TensorInfoIT_T1_EESB_SB_SB_SB_SB_SB_SB_SA_SA_.kd
    .uniform_work_group_size: 1
    .uses_dynamic_stack: false
    .vgpr_count:     36
    .vgpr_spill_count: 0
    .wavefront_size: 32
    .workgroup_processor_mode: 1
  - .args:
      - .offset:         0
        .size:           216
        .value_kind:     by_value
      - .offset:         216
        .size:           216
        .value_kind:     by_value
      - .offset:         432
        .size:           216
        .value_kind:     by_value
      - .offset:         648
        .size:           216
        .value_kind:     by_value
      - .offset:         864
        .size:           216
        .value_kind:     by_value
      - .offset:         1080
        .size:           216
        .value_kind:     by_value
      - .offset:         1296
        .size:           216
        .value_kind:     by_value
      - .offset:         1512
        .size:           216
        .value_kind:     by_value
      - .offset:         1728
        .size:           4
        .value_kind:     by_value
      - .offset:         1732
        .size:           4
        .value_kind:     by_value
      - .offset:         1736
        .size:           4
        .value_kind:     hidden_block_count_x
      - .offset:         1740
        .size:           4
        .value_kind:     hidden_block_count_y
      - .offset:         1744
        .size:           4
        .value_kind:     hidden_block_count_z
      - .offset:         1748
        .size:           2
        .value_kind:     hidden_group_size_x
      - .offset:         1750
        .size:           2
        .value_kind:     hidden_group_size_y
      - .offset:         1752
        .size:           2
        .value_kind:     hidden_group_size_z
      - .offset:         1754
        .size:           2
        .value_kind:     hidden_remainder_x
      - .offset:         1756
        .size:           2
        .value_kind:     hidden_remainder_y
      - .offset:         1758
        .size:           2
        .value_kind:     hidden_remainder_z
      - .offset:         1776
        .size:           8
        .value_kind:     hidden_global_offset_x
      - .offset:         1784
        .size:           8
        .value_kind:     hidden_global_offset_y
      - .offset:         1792
        .size:           8
        .value_kind:     hidden_global_offset_z
      - .offset:         1800
        .size:           2
        .value_kind:     hidden_grid_dims
    .group_segment_fixed_size: 0
    .kernarg_segment_align: 8
    .kernarg_segment_size: 1992
    .language:       OpenCL C
    .language_version:
      - 2
      - 0
    .max_flat_workgroup_size: 512
    .name:           _ZN2at6native12_GLOBAL__N_16kernel17lstm_cell_forwardIN3c108BFloat16EfiLi2EEEvNS_4cuda6detail10TensorInfoIT_T1_EESB_SB_SB_SB_SB_SB_SB_SA_SA_
    .private_segment_fixed_size: 0
    .sgpr_count:     73
    .sgpr_spill_count: 0
    .symbol:         _ZN2at6native12_GLOBAL__N_16kernel17lstm_cell_forwardIN3c108BFloat16EfiLi2EEEvNS_4cuda6detail10TensorInfoIT_T1_EESB_SB_SB_SB_SB_SB_SB_SA_SA_.kd
    .uniform_work_group_size: 1
    .uses_dynamic_stack: false
    .vgpr_count:     49
    .vgpr_spill_count: 0
    .wavefront_size: 32
    .workgroup_processor_mode: 1
  - .args:
      - .offset:         0
        .size:           416
        .value_kind:     by_value
      - .offset:         416
        .size:           416
        .value_kind:     by_value
      - .offset:         832
        .size:           416
        .value_kind:     by_value
      - .offset:         1248
        .size:           416
        .value_kind:     by_value
      - .offset:         1664
        .size:           416
        .value_kind:     by_value
      - .offset:         2080
        .size:           416
        .value_kind:     by_value
      - .offset:         2496
        .size:           416
        .value_kind:     by_value
      - .offset:         2912
        .size:           416
        .value_kind:     by_value
      - .offset:         3328
        .size:           8
        .value_kind:     by_value
      - .offset:         3336
        .size:           8
        .value_kind:     by_value
      - .offset:         3344
        .size:           4
        .value_kind:     hidden_block_count_x
      - .offset:         3348
        .size:           4
        .value_kind:     hidden_block_count_y
      - .offset:         3352
        .size:           4
        .value_kind:     hidden_block_count_z
      - .offset:         3356
        .size:           2
        .value_kind:     hidden_group_size_x
      - .offset:         3358
        .size:           2
        .value_kind:     hidden_group_size_y
      - .offset:         3360
        .size:           2
        .value_kind:     hidden_group_size_z
      - .offset:         3362
        .size:           2
        .value_kind:     hidden_remainder_x
      - .offset:         3364
        .size:           2
        .value_kind:     hidden_remainder_y
      - .offset:         3366
        .size:           2
        .value_kind:     hidden_remainder_z
      - .offset:         3384
        .size:           8
        .value_kind:     hidden_global_offset_x
      - .offset:         3392
        .size:           8
        .value_kind:     hidden_global_offset_y
      - .offset:         3400
        .size:           8
        .value_kind:     hidden_global_offset_z
      - .offset:         3408
        .size:           2
        .value_kind:     hidden_grid_dims
    .group_segment_fixed_size: 0
    .kernarg_segment_align: 8
    .kernarg_segment_size: 3600
    .language:       OpenCL C
    .language_version:
      - 2
      - 0
    .max_flat_workgroup_size: 512
    .name:           _ZN2at6native12_GLOBAL__N_16kernel17lstm_cell_forwardIN3c108BFloat16EflLi1EEEvNS_4cuda6detail10TensorInfoIT_T1_EESB_SB_SB_SB_SB_SB_SB_SA_SA_
    .private_segment_fixed_size: 0
    .sgpr_count:     58
    .sgpr_spill_count: 0
    .symbol:         _ZN2at6native12_GLOBAL__N_16kernel17lstm_cell_forwardIN3c108BFloat16EflLi1EEEvNS_4cuda6detail10TensorInfoIT_T1_EESB_SB_SB_SB_SB_SB_SB_SA_SA_.kd
    .uniform_work_group_size: 1
    .uses_dynamic_stack: false
    .vgpr_count:     49
    .vgpr_spill_count: 0
    .wavefront_size: 32
    .workgroup_processor_mode: 1
  - .args:
      - .offset:         0
        .size:           416
        .value_kind:     by_value
      - .offset:         416
        .size:           416
        .value_kind:     by_value
      - .offset:         832
        .size:           416
        .value_kind:     by_value
      - .offset:         1248
        .size:           416
        .value_kind:     by_value
      - .offset:         1664
        .size:           416
        .value_kind:     by_value
      - .offset:         2080
        .size:           416
        .value_kind:     by_value
      - .offset:         2496
        .size:           416
        .value_kind:     by_value
      - .offset:         2912
        .size:           416
        .value_kind:     by_value
      - .offset:         3328
        .size:           8
        .value_kind:     by_value
      - .offset:         3336
        .size:           8
        .value_kind:     by_value
      - .offset:         3344
        .size:           4
        .value_kind:     hidden_block_count_x
      - .offset:         3348
        .size:           4
        .value_kind:     hidden_block_count_y
      - .offset:         3352
        .size:           4
        .value_kind:     hidden_block_count_z
      - .offset:         3356
        .size:           2
        .value_kind:     hidden_group_size_x
      - .offset:         3358
        .size:           2
        .value_kind:     hidden_group_size_y
      - .offset:         3360
        .size:           2
        .value_kind:     hidden_group_size_z
      - .offset:         3362
        .size:           2
        .value_kind:     hidden_remainder_x
      - .offset:         3364
        .size:           2
        .value_kind:     hidden_remainder_y
      - .offset:         3366
        .size:           2
        .value_kind:     hidden_remainder_z
      - .offset:         3384
        .size:           8
        .value_kind:     hidden_global_offset_x
      - .offset:         3392
        .size:           8
        .value_kind:     hidden_global_offset_y
      - .offset:         3400
        .size:           8
        .value_kind:     hidden_global_offset_z
      - .offset:         3408
        .size:           2
        .value_kind:     hidden_grid_dims
    .group_segment_fixed_size: 0
    .kernarg_segment_align: 8
    .kernarg_segment_size: 3600
    .language:       OpenCL C
    .language_version:
      - 2
      - 0
    .max_flat_workgroup_size: 512
    .name:           _ZN2at6native12_GLOBAL__N_16kernel17lstm_cell_forwardIN3c108BFloat16EflLi2EEEvNS_4cuda6detail10TensorInfoIT_T1_EESB_SB_SB_SB_SB_SB_SB_SA_SA_
    .private_segment_fixed_size: 0
    .sgpr_count:     94
    .sgpr_spill_count: 0
    .symbol:         _ZN2at6native12_GLOBAL__N_16kernel17lstm_cell_forwardIN3c108BFloat16EflLi2EEEvNS_4cuda6detail10TensorInfoIT_T1_EESB_SB_SB_SB_SB_SB_SB_SA_SA_.kd
    .uniform_work_group_size: 1
    .uses_dynamic_stack: false
    .vgpr_count:     56
    .vgpr_spill_count: 0
    .wavefront_size: 32
    .workgroup_processor_mode: 1
  - .args:
      - .offset:         0
        .size:           216
        .value_kind:     by_value
      - .offset:         216
        .size:           216
        .value_kind:     by_value
      - .offset:         432
        .size:           216
        .value_kind:     by_value
      - .offset:         648
        .size:           216
        .value_kind:     by_value
      - .offset:         864
        .size:           216
        .value_kind:     by_value
      - .offset:         1080
        .size:           216
        .value_kind:     by_value
      - .offset:         1296
        .size:           216
        .value_kind:     by_value
      - .offset:         1512
        .size:           4
        .value_kind:     by_value
      - .offset:         1516
        .size:           4
        .value_kind:     by_value
      - .offset:         1520
        .size:           4
        .value_kind:     hidden_block_count_x
      - .offset:         1524
        .size:           4
        .value_kind:     hidden_block_count_y
      - .offset:         1528
        .size:           4
        .value_kind:     hidden_block_count_z
      - .offset:         1532
        .size:           2
        .value_kind:     hidden_group_size_x
      - .offset:         1534
        .size:           2
        .value_kind:     hidden_group_size_y
      - .offset:         1536
        .size:           2
        .value_kind:     hidden_group_size_z
      - .offset:         1538
        .size:           2
        .value_kind:     hidden_remainder_x
      - .offset:         1540
        .size:           2
        .value_kind:     hidden_remainder_y
      - .offset:         1542
        .size:           2
        .value_kind:     hidden_remainder_z
      - .offset:         1560
        .size:           8
        .value_kind:     hidden_global_offset_x
      - .offset:         1568
        .size:           8
        .value_kind:     hidden_global_offset_y
      - .offset:         1576
        .size:           8
        .value_kind:     hidden_global_offset_z
      - .offset:         1584
        .size:           2
        .value_kind:     hidden_grid_dims
    .group_segment_fixed_size: 0
    .kernarg_segment_align: 8
    .kernarg_segment_size: 1776
    .language:       OpenCL C
    .language_version:
      - 2
      - 0
    .max_flat_workgroup_size: 512
    .name:           _ZN2at6native12_GLOBAL__N_16kernel18lstm_cell_backwardIddiLi1EEEvNS_4cuda6detail10TensorInfoIT_T1_EES9_S9_S9_S9_S9_S9_S8_S8_
    .private_segment_fixed_size: 0
    .sgpr_count:     62
    .sgpr_spill_count: 0
    .symbol:         _ZN2at6native12_GLOBAL__N_16kernel18lstm_cell_backwardIddiLi1EEEvNS_4cuda6detail10TensorInfoIT_T1_EES9_S9_S9_S9_S9_S9_S8_S8_.kd
    .uniform_work_group_size: 1
    .uses_dynamic_stack: false
    .vgpr_count:     52
    .vgpr_spill_count: 0
    .wavefront_size: 32
    .workgroup_processor_mode: 1
  - .args:
      - .offset:         0
        .size:           216
        .value_kind:     by_value
      - .offset:         216
        .size:           216
        .value_kind:     by_value
      - .offset:         432
        .size:           216
        .value_kind:     by_value
      - .offset:         648
        .size:           216
        .value_kind:     by_value
      - .offset:         864
        .size:           216
        .value_kind:     by_value
      - .offset:         1080
        .size:           216
        .value_kind:     by_value
      - .offset:         1296
        .size:           216
        .value_kind:     by_value
      - .offset:         1512
        .size:           4
        .value_kind:     by_value
      - .offset:         1516
        .size:           4
        .value_kind:     by_value
      - .offset:         1520
        .size:           4
        .value_kind:     hidden_block_count_x
      - .offset:         1524
        .size:           4
        .value_kind:     hidden_block_count_y
      - .offset:         1528
        .size:           4
        .value_kind:     hidden_block_count_z
      - .offset:         1532
        .size:           2
        .value_kind:     hidden_group_size_x
      - .offset:         1534
        .size:           2
        .value_kind:     hidden_group_size_y
      - .offset:         1536
        .size:           2
        .value_kind:     hidden_group_size_z
      - .offset:         1538
        .size:           2
        .value_kind:     hidden_remainder_x
      - .offset:         1540
        .size:           2
        .value_kind:     hidden_remainder_y
      - .offset:         1542
        .size:           2
        .value_kind:     hidden_remainder_z
      - .offset:         1560
        .size:           8
        .value_kind:     hidden_global_offset_x
      - .offset:         1568
        .size:           8
        .value_kind:     hidden_global_offset_y
      - .offset:         1576
        .size:           8
        .value_kind:     hidden_global_offset_z
      - .offset:         1584
        .size:           2
        .value_kind:     hidden_grid_dims
    .group_segment_fixed_size: 0
    .kernarg_segment_align: 8
    .kernarg_segment_size: 1776
    .language:       OpenCL C
    .language_version:
      - 2
      - 0
    .max_flat_workgroup_size: 512
    .name:           _ZN2at6native12_GLOBAL__N_16kernel18lstm_cell_backwardIddiLi2EEEvNS_4cuda6detail10TensorInfoIT_T1_EES9_S9_S9_S9_S9_S9_S8_S8_
    .private_segment_fixed_size: 0
    .sgpr_count:     101
    .sgpr_spill_count: 0
    .symbol:         _ZN2at6native12_GLOBAL__N_16kernel18lstm_cell_backwardIddiLi2EEEvNS_4cuda6detail10TensorInfoIT_T1_EES9_S9_S9_S9_S9_S9_S8_S8_.kd
    .uniform_work_group_size: 1
    .uses_dynamic_stack: false
    .vgpr_count:     54
    .vgpr_spill_count: 0
    .wavefront_size: 32
    .workgroup_processor_mode: 1
  - .args:
      - .offset:         0
        .size:           416
        .value_kind:     by_value
      - .offset:         416
        .size:           416
        .value_kind:     by_value
      - .offset:         832
        .size:           416
        .value_kind:     by_value
      - .offset:         1248
        .size:           416
        .value_kind:     by_value
      - .offset:         1664
        .size:           416
        .value_kind:     by_value
      - .offset:         2080
        .size:           416
        .value_kind:     by_value
      - .offset:         2496
        .size:           416
        .value_kind:     by_value
      - .offset:         2912
        .size:           8
        .value_kind:     by_value
      - .offset:         2920
        .size:           8
        .value_kind:     by_value
      - .offset:         2928
        .size:           4
        .value_kind:     hidden_block_count_x
      - .offset:         2932
        .size:           4
        .value_kind:     hidden_block_count_y
      - .offset:         2936
        .size:           4
        .value_kind:     hidden_block_count_z
      - .offset:         2940
        .size:           2
        .value_kind:     hidden_group_size_x
      - .offset:         2942
        .size:           2
        .value_kind:     hidden_group_size_y
      - .offset:         2944
        .size:           2
        .value_kind:     hidden_group_size_z
      - .offset:         2946
        .size:           2
        .value_kind:     hidden_remainder_x
      - .offset:         2948
        .size:           2
        .value_kind:     hidden_remainder_y
      - .offset:         2950
        .size:           2
        .value_kind:     hidden_remainder_z
      - .offset:         2968
        .size:           8
        .value_kind:     hidden_global_offset_x
      - .offset:         2976
        .size:           8
        .value_kind:     hidden_global_offset_y
      - .offset:         2984
        .size:           8
        .value_kind:     hidden_global_offset_z
      - .offset:         2992
        .size:           2
        .value_kind:     hidden_grid_dims
    .group_segment_fixed_size: 0
    .kernarg_segment_align: 8
    .kernarg_segment_size: 3184
    .language:       OpenCL C
    .language_version:
      - 2
      - 0
    .max_flat_workgroup_size: 512
    .name:           _ZN2at6native12_GLOBAL__N_16kernel18lstm_cell_backwardIddlLi1EEEvNS_4cuda6detail10TensorInfoIT_T1_EES9_S9_S9_S9_S9_S9_S8_S8_
    .private_segment_fixed_size: 0
    .sgpr_count:     76
    .sgpr_spill_count: 0
    .symbol:         _ZN2at6native12_GLOBAL__N_16kernel18lstm_cell_backwardIddlLi1EEEvNS_4cuda6detail10TensorInfoIT_T1_EES9_S9_S9_S9_S9_S9_S8_S8_.kd
    .uniform_work_group_size: 1
    .uses_dynamic_stack: false
    .vgpr_count:     60
    .vgpr_spill_count: 0
    .wavefront_size: 32
    .workgroup_processor_mode: 1
  - .args:
      - .offset:         0
        .size:           416
        .value_kind:     by_value
      - .offset:         416
        .size:           416
        .value_kind:     by_value
      - .offset:         832
        .size:           416
        .value_kind:     by_value
      - .offset:         1248
        .size:           416
        .value_kind:     by_value
      - .offset:         1664
        .size:           416
        .value_kind:     by_value
      - .offset:         2080
        .size:           416
        .value_kind:     by_value
      - .offset:         2496
        .size:           416
        .value_kind:     by_value
      - .offset:         2912
        .size:           8
        .value_kind:     by_value
      - .offset:         2920
        .size:           8
        .value_kind:     by_value
      - .offset:         2928
        .size:           4
        .value_kind:     hidden_block_count_x
      - .offset:         2932
        .size:           4
        .value_kind:     hidden_block_count_y
      - .offset:         2936
        .size:           4
        .value_kind:     hidden_block_count_z
      - .offset:         2940
        .size:           2
        .value_kind:     hidden_group_size_x
      - .offset:         2942
        .size:           2
        .value_kind:     hidden_group_size_y
      - .offset:         2944
        .size:           2
        .value_kind:     hidden_group_size_z
      - .offset:         2946
        .size:           2
        .value_kind:     hidden_remainder_x
      - .offset:         2948
        .size:           2
        .value_kind:     hidden_remainder_y
      - .offset:         2950
        .size:           2
        .value_kind:     hidden_remainder_z
      - .offset:         2968
        .size:           8
        .value_kind:     hidden_global_offset_x
      - .offset:         2976
        .size:           8
        .value_kind:     hidden_global_offset_y
      - .offset:         2984
        .size:           8
        .value_kind:     hidden_global_offset_z
      - .offset:         2992
        .size:           2
        .value_kind:     hidden_grid_dims
    .group_segment_fixed_size: 0
    .kernarg_segment_align: 8
    .kernarg_segment_size: 3184
    .language:       OpenCL C
    .language_version:
      - 2
      - 0
    .max_flat_workgroup_size: 512
    .name:           _ZN2at6native12_GLOBAL__N_16kernel18lstm_cell_backwardIddlLi2EEEvNS_4cuda6detail10TensorInfoIT_T1_EES9_S9_S9_S9_S9_S9_S8_S8_
    .private_segment_fixed_size: 0
    .sgpr_count:     107
    .sgpr_spill_count: 0
    .symbol:         _ZN2at6native12_GLOBAL__N_16kernel18lstm_cell_backwardIddlLi2EEEvNS_4cuda6detail10TensorInfoIT_T1_EES9_S9_S9_S9_S9_S9_S8_S8_.kd
    .uniform_work_group_size: 1
    .uses_dynamic_stack: false
    .vgpr_count:     60
    .vgpr_spill_count: 0
    .wavefront_size: 32
    .workgroup_processor_mode: 1
  - .args:
      - .offset:         0
        .size:           216
        .value_kind:     by_value
      - .offset:         216
        .size:           216
        .value_kind:     by_value
      - .offset:         432
        .size:           216
        .value_kind:     by_value
      - .offset:         648
        .size:           216
        .value_kind:     by_value
      - .offset:         864
        .size:           216
        .value_kind:     by_value
      - .offset:         1080
        .size:           216
        .value_kind:     by_value
      - .offset:         1296
        .size:           216
        .value_kind:     by_value
      - .offset:         1512
        .size:           4
        .value_kind:     by_value
      - .offset:         1516
        .size:           4
        .value_kind:     by_value
      - .offset:         1520
        .size:           4
        .value_kind:     hidden_block_count_x
      - .offset:         1524
        .size:           4
        .value_kind:     hidden_block_count_y
      - .offset:         1528
        .size:           4
        .value_kind:     hidden_block_count_z
      - .offset:         1532
        .size:           2
        .value_kind:     hidden_group_size_x
      - .offset:         1534
        .size:           2
        .value_kind:     hidden_group_size_y
      - .offset:         1536
        .size:           2
        .value_kind:     hidden_group_size_z
      - .offset:         1538
        .size:           2
        .value_kind:     hidden_remainder_x
      - .offset:         1540
        .size:           2
        .value_kind:     hidden_remainder_y
      - .offset:         1542
        .size:           2
        .value_kind:     hidden_remainder_z
      - .offset:         1560
        .size:           8
        .value_kind:     hidden_global_offset_x
      - .offset:         1568
        .size:           8
        .value_kind:     hidden_global_offset_y
      - .offset:         1576
        .size:           8
        .value_kind:     hidden_global_offset_z
      - .offset:         1584
        .size:           2
        .value_kind:     hidden_grid_dims
    .group_segment_fixed_size: 0
    .kernarg_segment_align: 8
    .kernarg_segment_size: 1776
    .language:       OpenCL C
    .language_version:
      - 2
      - 0
    .max_flat_workgroup_size: 512
    .name:           _ZN2at6native12_GLOBAL__N_16kernel18lstm_cell_backwardIffiLi1EEEvNS_4cuda6detail10TensorInfoIT_T1_EES9_S9_S9_S9_S9_S9_S8_S8_
    .private_segment_fixed_size: 0
    .sgpr_count:     37
    .sgpr_spill_count: 0
    .symbol:         _ZN2at6native12_GLOBAL__N_16kernel18lstm_cell_backwardIffiLi1EEEvNS_4cuda6detail10TensorInfoIT_T1_EES9_S9_S9_S9_S9_S9_S8_S8_.kd
    .uniform_work_group_size: 1
    .uses_dynamic_stack: false
    .vgpr_count:     30
    .vgpr_spill_count: 0
    .wavefront_size: 32
    .workgroup_processor_mode: 1
  - .args:
      - .offset:         0
        .size:           216
        .value_kind:     by_value
      - .offset:         216
        .size:           216
        .value_kind:     by_value
      - .offset:         432
        .size:           216
        .value_kind:     by_value
      - .offset:         648
        .size:           216
        .value_kind:     by_value
      - .offset:         864
        .size:           216
        .value_kind:     by_value
      - .offset:         1080
        .size:           216
        .value_kind:     by_value
      - .offset:         1296
        .size:           216
        .value_kind:     by_value
      - .offset:         1512
        .size:           4
        .value_kind:     by_value
      - .offset:         1516
        .size:           4
        .value_kind:     by_value
      - .offset:         1520
        .size:           4
        .value_kind:     hidden_block_count_x
      - .offset:         1524
        .size:           4
        .value_kind:     hidden_block_count_y
      - .offset:         1528
        .size:           4
        .value_kind:     hidden_block_count_z
      - .offset:         1532
        .size:           2
        .value_kind:     hidden_group_size_x
      - .offset:         1534
        .size:           2
        .value_kind:     hidden_group_size_y
      - .offset:         1536
        .size:           2
        .value_kind:     hidden_group_size_z
      - .offset:         1538
        .size:           2
        .value_kind:     hidden_remainder_x
      - .offset:         1540
        .size:           2
        .value_kind:     hidden_remainder_y
      - .offset:         1542
        .size:           2
        .value_kind:     hidden_remainder_z
      - .offset:         1560
        .size:           8
        .value_kind:     hidden_global_offset_x
      - .offset:         1568
        .size:           8
        .value_kind:     hidden_global_offset_y
      - .offset:         1576
        .size:           8
        .value_kind:     hidden_global_offset_z
      - .offset:         1584
        .size:           2
        .value_kind:     hidden_grid_dims
    .group_segment_fixed_size: 0
    .kernarg_segment_align: 8
    .kernarg_segment_size: 1776
    .language:       OpenCL C
    .language_version:
      - 2
      - 0
    .max_flat_workgroup_size: 512
    .name:           _ZN2at6native12_GLOBAL__N_16kernel18lstm_cell_backwardIffiLi2EEEvNS_4cuda6detail10TensorInfoIT_T1_EES9_S9_S9_S9_S9_S9_S8_S8_
    .private_segment_fixed_size: 0
    .sgpr_count:     72
    .sgpr_spill_count: 0
    .symbol:         _ZN2at6native12_GLOBAL__N_16kernel18lstm_cell_backwardIffiLi2EEEvNS_4cuda6detail10TensorInfoIT_T1_EES9_S9_S9_S9_S9_S9_S8_S8_.kd
    .uniform_work_group_size: 1
    .uses_dynamic_stack: false
    .vgpr_count:     38
    .vgpr_spill_count: 0
    .wavefront_size: 32
    .workgroup_processor_mode: 1
  - .args:
      - .offset:         0
        .size:           416
        .value_kind:     by_value
      - .offset:         416
        .size:           416
        .value_kind:     by_value
      - .offset:         832
        .size:           416
        .value_kind:     by_value
      - .offset:         1248
        .size:           416
        .value_kind:     by_value
      - .offset:         1664
        .size:           416
        .value_kind:     by_value
      - .offset:         2080
        .size:           416
        .value_kind:     by_value
      - .offset:         2496
        .size:           416
        .value_kind:     by_value
      - .offset:         2912
        .size:           8
        .value_kind:     by_value
      - .offset:         2920
        .size:           8
        .value_kind:     by_value
      - .offset:         2928
        .size:           4
        .value_kind:     hidden_block_count_x
      - .offset:         2932
        .size:           4
        .value_kind:     hidden_block_count_y
      - .offset:         2936
        .size:           4
        .value_kind:     hidden_block_count_z
      - .offset:         2940
        .size:           2
        .value_kind:     hidden_group_size_x
      - .offset:         2942
        .size:           2
        .value_kind:     hidden_group_size_y
      - .offset:         2944
        .size:           2
        .value_kind:     hidden_group_size_z
      - .offset:         2946
        .size:           2
        .value_kind:     hidden_remainder_x
      - .offset:         2948
        .size:           2
        .value_kind:     hidden_remainder_y
      - .offset:         2950
        .size:           2
        .value_kind:     hidden_remainder_z
      - .offset:         2968
        .size:           8
        .value_kind:     hidden_global_offset_x
      - .offset:         2976
        .size:           8
        .value_kind:     hidden_global_offset_y
      - .offset:         2984
        .size:           8
        .value_kind:     hidden_global_offset_z
      - .offset:         2992
        .size:           2
        .value_kind:     hidden_grid_dims
    .group_segment_fixed_size: 0
    .kernarg_segment_align: 8
    .kernarg_segment_size: 3184
    .language:       OpenCL C
    .language_version:
      - 2
      - 0
    .max_flat_workgroup_size: 512
    .name:           _ZN2at6native12_GLOBAL__N_16kernel18lstm_cell_backwardIfflLi1EEEvNS_4cuda6detail10TensorInfoIT_T1_EES9_S9_S9_S9_S9_S9_S8_S8_
    .private_segment_fixed_size: 0
    .sgpr_count:     49
    .sgpr_spill_count: 0
    .symbol:         _ZN2at6native12_GLOBAL__N_16kernel18lstm_cell_backwardIfflLi1EEEvNS_4cuda6detail10TensorInfoIT_T1_EES9_S9_S9_S9_S9_S9_S8_S8_.kd
    .uniform_work_group_size: 1
    .uses_dynamic_stack: false
    .vgpr_count:     35
    .vgpr_spill_count: 0
    .wavefront_size: 32
    .workgroup_processor_mode: 1
  - .args:
      - .offset:         0
        .size:           416
        .value_kind:     by_value
      - .offset:         416
        .size:           416
        .value_kind:     by_value
      - .offset:         832
        .size:           416
        .value_kind:     by_value
      - .offset:         1248
        .size:           416
        .value_kind:     by_value
      - .offset:         1664
        .size:           416
        .value_kind:     by_value
      - .offset:         2080
        .size:           416
        .value_kind:     by_value
      - .offset:         2496
        .size:           416
        .value_kind:     by_value
      - .offset:         2912
        .size:           8
        .value_kind:     by_value
      - .offset:         2920
        .size:           8
        .value_kind:     by_value
      - .offset:         2928
        .size:           4
        .value_kind:     hidden_block_count_x
      - .offset:         2932
        .size:           4
        .value_kind:     hidden_block_count_y
      - .offset:         2936
        .size:           4
        .value_kind:     hidden_block_count_z
      - .offset:         2940
        .size:           2
        .value_kind:     hidden_group_size_x
      - .offset:         2942
        .size:           2
        .value_kind:     hidden_group_size_y
      - .offset:         2944
        .size:           2
        .value_kind:     hidden_group_size_z
      - .offset:         2946
        .size:           2
        .value_kind:     hidden_remainder_x
      - .offset:         2948
        .size:           2
        .value_kind:     hidden_remainder_y
      - .offset:         2950
        .size:           2
        .value_kind:     hidden_remainder_z
      - .offset:         2968
        .size:           8
        .value_kind:     hidden_global_offset_x
      - .offset:         2976
        .size:           8
        .value_kind:     hidden_global_offset_y
      - .offset:         2984
        .size:           8
        .value_kind:     hidden_global_offset_z
      - .offset:         2992
        .size:           2
        .value_kind:     hidden_grid_dims
    .group_segment_fixed_size: 0
    .kernarg_segment_align: 8
    .kernarg_segment_size: 3184
    .language:       OpenCL C
    .language_version:
      - 2
      - 0
    .max_flat_workgroup_size: 512
    .name:           _ZN2at6native12_GLOBAL__N_16kernel18lstm_cell_backwardIfflLi2EEEvNS_4cuda6detail10TensorInfoIT_T1_EES9_S9_S9_S9_S9_S9_S8_S8_
    .private_segment_fixed_size: 0
    .sgpr_count:     97
    .sgpr_spill_count: 0
    .symbol:         _ZN2at6native12_GLOBAL__N_16kernel18lstm_cell_backwardIfflLi2EEEvNS_4cuda6detail10TensorInfoIT_T1_EES9_S9_S9_S9_S9_S9_S8_S8_.kd
    .uniform_work_group_size: 1
    .uses_dynamic_stack: false
    .vgpr_count:     43
    .vgpr_spill_count: 0
    .wavefront_size: 32
    .workgroup_processor_mode: 1
  - .args:
      - .offset:         0
        .size:           216
        .value_kind:     by_value
      - .offset:         216
        .size:           216
        .value_kind:     by_value
      - .offset:         432
        .size:           216
        .value_kind:     by_value
      - .offset:         648
        .size:           216
        .value_kind:     by_value
      - .offset:         864
        .size:           216
        .value_kind:     by_value
      - .offset:         1080
        .size:           216
        .value_kind:     by_value
      - .offset:         1296
        .size:           216
        .value_kind:     by_value
      - .offset:         1512
        .size:           4
        .value_kind:     by_value
      - .offset:         1516
        .size:           4
        .value_kind:     by_value
      - .offset:         1520
        .size:           4
        .value_kind:     hidden_block_count_x
      - .offset:         1524
        .size:           4
        .value_kind:     hidden_block_count_y
      - .offset:         1528
        .size:           4
        .value_kind:     hidden_block_count_z
      - .offset:         1532
        .size:           2
        .value_kind:     hidden_group_size_x
      - .offset:         1534
        .size:           2
        .value_kind:     hidden_group_size_y
      - .offset:         1536
        .size:           2
        .value_kind:     hidden_group_size_z
      - .offset:         1538
        .size:           2
        .value_kind:     hidden_remainder_x
      - .offset:         1540
        .size:           2
        .value_kind:     hidden_remainder_y
      - .offset:         1542
        .size:           2
        .value_kind:     hidden_remainder_z
      - .offset:         1560
        .size:           8
        .value_kind:     hidden_global_offset_x
      - .offset:         1568
        .size:           8
        .value_kind:     hidden_global_offset_y
      - .offset:         1576
        .size:           8
        .value_kind:     hidden_global_offset_z
      - .offset:         1584
        .size:           2
        .value_kind:     hidden_grid_dims
    .group_segment_fixed_size: 0
    .kernarg_segment_align: 8
    .kernarg_segment_size: 1776
    .language:       OpenCL C
    .language_version:
      - 2
      - 0
    .max_flat_workgroup_size: 512
    .name:           _ZN2at6native12_GLOBAL__N_16kernel18lstm_cell_backwardIN3c104HalfEfiLi1EEEvNS_4cuda6detail10TensorInfoIT_T1_EESB_SB_SB_SB_SB_SB_SA_SA_
    .private_segment_fixed_size: 0
    .sgpr_count:     38
    .sgpr_spill_count: 0
    .symbol:         _ZN2at6native12_GLOBAL__N_16kernel18lstm_cell_backwardIN3c104HalfEfiLi1EEEvNS_4cuda6detail10TensorInfoIT_T1_EESB_SB_SB_SB_SB_SB_SA_SA_.kd
    .uniform_work_group_size: 1
    .uses_dynamic_stack: false
    .vgpr_count:     30
    .vgpr_spill_count: 0
    .wavefront_size: 32
    .workgroup_processor_mode: 1
  - .args:
      - .offset:         0
        .size:           216
        .value_kind:     by_value
      - .offset:         216
        .size:           216
        .value_kind:     by_value
      - .offset:         432
        .size:           216
        .value_kind:     by_value
      - .offset:         648
        .size:           216
        .value_kind:     by_value
      - .offset:         864
        .size:           216
        .value_kind:     by_value
      - .offset:         1080
        .size:           216
        .value_kind:     by_value
      - .offset:         1296
        .size:           216
        .value_kind:     by_value
      - .offset:         1512
        .size:           4
        .value_kind:     by_value
      - .offset:         1516
        .size:           4
        .value_kind:     by_value
      - .offset:         1520
        .size:           4
        .value_kind:     hidden_block_count_x
      - .offset:         1524
        .size:           4
        .value_kind:     hidden_block_count_y
      - .offset:         1528
        .size:           4
        .value_kind:     hidden_block_count_z
      - .offset:         1532
        .size:           2
        .value_kind:     hidden_group_size_x
      - .offset:         1534
        .size:           2
        .value_kind:     hidden_group_size_y
      - .offset:         1536
        .size:           2
        .value_kind:     hidden_group_size_z
      - .offset:         1538
        .size:           2
        .value_kind:     hidden_remainder_x
      - .offset:         1540
        .size:           2
        .value_kind:     hidden_remainder_y
      - .offset:         1542
        .size:           2
        .value_kind:     hidden_remainder_z
      - .offset:         1560
        .size:           8
        .value_kind:     hidden_global_offset_x
      - .offset:         1568
        .size:           8
        .value_kind:     hidden_global_offset_y
      - .offset:         1576
        .size:           8
        .value_kind:     hidden_global_offset_z
      - .offset:         1584
        .size:           2
        .value_kind:     hidden_grid_dims
    .group_segment_fixed_size: 0
    .kernarg_segment_align: 8
    .kernarg_segment_size: 1776
    .language:       OpenCL C
    .language_version:
      - 2
      - 0
    .max_flat_workgroup_size: 512
    .name:           _ZN2at6native12_GLOBAL__N_16kernel18lstm_cell_backwardIN3c104HalfEfiLi2EEEvNS_4cuda6detail10TensorInfoIT_T1_EESB_SB_SB_SB_SB_SB_SA_SA_
    .private_segment_fixed_size: 0
    .sgpr_count:     73
    .sgpr_spill_count: 0
    .symbol:         _ZN2at6native12_GLOBAL__N_16kernel18lstm_cell_backwardIN3c104HalfEfiLi2EEEvNS_4cuda6detail10TensorInfoIT_T1_EESB_SB_SB_SB_SB_SB_SA_SA_.kd
    .uniform_work_group_size: 1
    .uses_dynamic_stack: false
    .vgpr_count:     37
    .vgpr_spill_count: 0
    .wavefront_size: 32
    .workgroup_processor_mode: 1
  - .args:
      - .offset:         0
        .size:           416
        .value_kind:     by_value
      - .offset:         416
        .size:           416
        .value_kind:     by_value
      - .offset:         832
        .size:           416
        .value_kind:     by_value
      - .offset:         1248
        .size:           416
        .value_kind:     by_value
      - .offset:         1664
        .size:           416
        .value_kind:     by_value
      - .offset:         2080
        .size:           416
        .value_kind:     by_value
      - .offset:         2496
        .size:           416
        .value_kind:     by_value
      - .offset:         2912
        .size:           8
        .value_kind:     by_value
      - .offset:         2920
        .size:           8
        .value_kind:     by_value
      - .offset:         2928
        .size:           4
        .value_kind:     hidden_block_count_x
      - .offset:         2932
        .size:           4
        .value_kind:     hidden_block_count_y
      - .offset:         2936
        .size:           4
        .value_kind:     hidden_block_count_z
      - .offset:         2940
        .size:           2
        .value_kind:     hidden_group_size_x
      - .offset:         2942
        .size:           2
        .value_kind:     hidden_group_size_y
      - .offset:         2944
        .size:           2
        .value_kind:     hidden_group_size_z
      - .offset:         2946
        .size:           2
        .value_kind:     hidden_remainder_x
      - .offset:         2948
        .size:           2
        .value_kind:     hidden_remainder_y
      - .offset:         2950
        .size:           2
        .value_kind:     hidden_remainder_z
      - .offset:         2968
        .size:           8
        .value_kind:     hidden_global_offset_x
      - .offset:         2976
        .size:           8
        .value_kind:     hidden_global_offset_y
      - .offset:         2984
        .size:           8
        .value_kind:     hidden_global_offset_z
      - .offset:         2992
        .size:           2
        .value_kind:     hidden_grid_dims
    .group_segment_fixed_size: 0
    .kernarg_segment_align: 8
    .kernarg_segment_size: 3184
    .language:       OpenCL C
    .language_version:
      - 2
      - 0
    .max_flat_workgroup_size: 512
    .name:           _ZN2at6native12_GLOBAL__N_16kernel18lstm_cell_backwardIN3c104HalfEflLi1EEEvNS_4cuda6detail10TensorInfoIT_T1_EESB_SB_SB_SB_SB_SB_SA_SA_
    .private_segment_fixed_size: 0
    .sgpr_count:     50
    .sgpr_spill_count: 0
    .symbol:         _ZN2at6native12_GLOBAL__N_16kernel18lstm_cell_backwardIN3c104HalfEflLi1EEEvNS_4cuda6detail10TensorInfoIT_T1_EESB_SB_SB_SB_SB_SB_SA_SA_.kd
    .uniform_work_group_size: 1
    .uses_dynamic_stack: false
    .vgpr_count:     36
    .vgpr_spill_count: 0
    .wavefront_size: 32
    .workgroup_processor_mode: 1
  - .args:
      - .offset:         0
        .size:           416
        .value_kind:     by_value
      - .offset:         416
        .size:           416
        .value_kind:     by_value
      - .offset:         832
        .size:           416
        .value_kind:     by_value
      - .offset:         1248
        .size:           416
        .value_kind:     by_value
      - .offset:         1664
        .size:           416
        .value_kind:     by_value
      - .offset:         2080
        .size:           416
        .value_kind:     by_value
      - .offset:         2496
        .size:           416
        .value_kind:     by_value
      - .offset:         2912
        .size:           8
        .value_kind:     by_value
      - .offset:         2920
        .size:           8
        .value_kind:     by_value
      - .offset:         2928
        .size:           4
        .value_kind:     hidden_block_count_x
      - .offset:         2932
        .size:           4
        .value_kind:     hidden_block_count_y
      - .offset:         2936
        .size:           4
        .value_kind:     hidden_block_count_z
      - .offset:         2940
        .size:           2
        .value_kind:     hidden_group_size_x
      - .offset:         2942
        .size:           2
        .value_kind:     hidden_group_size_y
      - .offset:         2944
        .size:           2
        .value_kind:     hidden_group_size_z
      - .offset:         2946
        .size:           2
        .value_kind:     hidden_remainder_x
      - .offset:         2948
        .size:           2
        .value_kind:     hidden_remainder_y
      - .offset:         2950
        .size:           2
        .value_kind:     hidden_remainder_z
      - .offset:         2968
        .size:           8
        .value_kind:     hidden_global_offset_x
      - .offset:         2976
        .size:           8
        .value_kind:     hidden_global_offset_y
      - .offset:         2984
        .size:           8
        .value_kind:     hidden_global_offset_z
      - .offset:         2992
        .size:           2
        .value_kind:     hidden_grid_dims
    .group_segment_fixed_size: 0
    .kernarg_segment_align: 8
    .kernarg_segment_size: 3184
    .language:       OpenCL C
    .language_version:
      - 2
      - 0
    .max_flat_workgroup_size: 512
    .name:           _ZN2at6native12_GLOBAL__N_16kernel18lstm_cell_backwardIN3c104HalfEflLi2EEEvNS_4cuda6detail10TensorInfoIT_T1_EESB_SB_SB_SB_SB_SB_SA_SA_
    .private_segment_fixed_size: 0
    .sgpr_count:     98
    .sgpr_spill_count: 0
    .symbol:         _ZN2at6native12_GLOBAL__N_16kernel18lstm_cell_backwardIN3c104HalfEflLi2EEEvNS_4cuda6detail10TensorInfoIT_T1_EESB_SB_SB_SB_SB_SB_SA_SA_.kd
    .uniform_work_group_size: 1
    .uses_dynamic_stack: false
    .vgpr_count:     43
    .vgpr_spill_count: 0
    .wavefront_size: 32
    .workgroup_processor_mode: 1
  - .args:
      - .offset:         0
        .size:           216
        .value_kind:     by_value
      - .offset:         216
        .size:           216
        .value_kind:     by_value
      - .offset:         432
        .size:           216
        .value_kind:     by_value
      - .offset:         648
        .size:           216
        .value_kind:     by_value
      - .offset:         864
        .size:           216
        .value_kind:     by_value
      - .offset:         1080
        .size:           216
        .value_kind:     by_value
      - .offset:         1296
        .size:           216
        .value_kind:     by_value
      - .offset:         1512
        .size:           4
        .value_kind:     by_value
      - .offset:         1516
        .size:           4
        .value_kind:     by_value
      - .offset:         1520
        .size:           4
        .value_kind:     hidden_block_count_x
      - .offset:         1524
        .size:           4
        .value_kind:     hidden_block_count_y
      - .offset:         1528
        .size:           4
        .value_kind:     hidden_block_count_z
      - .offset:         1532
        .size:           2
        .value_kind:     hidden_group_size_x
      - .offset:         1534
        .size:           2
        .value_kind:     hidden_group_size_y
      - .offset:         1536
        .size:           2
        .value_kind:     hidden_group_size_z
      - .offset:         1538
        .size:           2
        .value_kind:     hidden_remainder_x
      - .offset:         1540
        .size:           2
        .value_kind:     hidden_remainder_y
      - .offset:         1542
        .size:           2
        .value_kind:     hidden_remainder_z
      - .offset:         1560
        .size:           8
        .value_kind:     hidden_global_offset_x
      - .offset:         1568
        .size:           8
        .value_kind:     hidden_global_offset_y
      - .offset:         1576
        .size:           8
        .value_kind:     hidden_global_offset_z
      - .offset:         1584
        .size:           2
        .value_kind:     hidden_grid_dims
    .group_segment_fixed_size: 0
    .kernarg_segment_align: 8
    .kernarg_segment_size: 1776
    .language:       OpenCL C
    .language_version:
      - 2
      - 0
    .max_flat_workgroup_size: 512
    .name:           _ZN2at6native12_GLOBAL__N_16kernel18lstm_cell_backwardIN3c108BFloat16EfiLi1EEEvNS_4cuda6detail10TensorInfoIT_T1_EESB_SB_SB_SB_SB_SB_SA_SA_
    .private_segment_fixed_size: 0
    .sgpr_count:     37
    .sgpr_spill_count: 0
    .symbol:         _ZN2at6native12_GLOBAL__N_16kernel18lstm_cell_backwardIN3c108BFloat16EfiLi1EEEvNS_4cuda6detail10TensorInfoIT_T1_EESB_SB_SB_SB_SB_SB_SA_SA_.kd
    .uniform_work_group_size: 1
    .uses_dynamic_stack: false
    .vgpr_count:     28
    .vgpr_spill_count: 0
    .wavefront_size: 32
    .workgroup_processor_mode: 1
  - .args:
      - .offset:         0
        .size:           216
        .value_kind:     by_value
      - .offset:         216
        .size:           216
        .value_kind:     by_value
      - .offset:         432
        .size:           216
        .value_kind:     by_value
      - .offset:         648
        .size:           216
        .value_kind:     by_value
      - .offset:         864
        .size:           216
        .value_kind:     by_value
      - .offset:         1080
        .size:           216
        .value_kind:     by_value
      - .offset:         1296
        .size:           216
        .value_kind:     by_value
      - .offset:         1512
        .size:           4
        .value_kind:     by_value
      - .offset:         1516
        .size:           4
        .value_kind:     by_value
      - .offset:         1520
        .size:           4
        .value_kind:     hidden_block_count_x
      - .offset:         1524
        .size:           4
        .value_kind:     hidden_block_count_y
      - .offset:         1528
        .size:           4
        .value_kind:     hidden_block_count_z
      - .offset:         1532
        .size:           2
        .value_kind:     hidden_group_size_x
      - .offset:         1534
        .size:           2
        .value_kind:     hidden_group_size_y
      - .offset:         1536
        .size:           2
        .value_kind:     hidden_group_size_z
      - .offset:         1538
        .size:           2
        .value_kind:     hidden_remainder_x
      - .offset:         1540
        .size:           2
        .value_kind:     hidden_remainder_y
      - .offset:         1542
        .size:           2
        .value_kind:     hidden_remainder_z
      - .offset:         1560
        .size:           8
        .value_kind:     hidden_global_offset_x
      - .offset:         1568
        .size:           8
        .value_kind:     hidden_global_offset_y
      - .offset:         1576
        .size:           8
        .value_kind:     hidden_global_offset_z
      - .offset:         1584
        .size:           2
        .value_kind:     hidden_grid_dims
    .group_segment_fixed_size: 0
    .kernarg_segment_align: 8
    .kernarg_segment_size: 1776
    .language:       OpenCL C
    .language_version:
      - 2
      - 0
    .max_flat_workgroup_size: 512
    .name:           _ZN2at6native12_GLOBAL__N_16kernel18lstm_cell_backwardIN3c108BFloat16EfiLi2EEEvNS_4cuda6detail10TensorInfoIT_T1_EESB_SB_SB_SB_SB_SB_SA_SA_
    .private_segment_fixed_size: 0
    .sgpr_count:     72
    .sgpr_spill_count: 0
    .symbol:         _ZN2at6native12_GLOBAL__N_16kernel18lstm_cell_backwardIN3c108BFloat16EfiLi2EEEvNS_4cuda6detail10TensorInfoIT_T1_EESB_SB_SB_SB_SB_SB_SA_SA_.kd
    .uniform_work_group_size: 1
    .uses_dynamic_stack: false
    .vgpr_count:     37
    .vgpr_spill_count: 0
    .wavefront_size: 32
    .workgroup_processor_mode: 1
  - .args:
      - .offset:         0
        .size:           416
        .value_kind:     by_value
      - .offset:         416
        .size:           416
        .value_kind:     by_value
      - .offset:         832
        .size:           416
        .value_kind:     by_value
      - .offset:         1248
        .size:           416
        .value_kind:     by_value
      - .offset:         1664
        .size:           416
        .value_kind:     by_value
      - .offset:         2080
        .size:           416
        .value_kind:     by_value
      - .offset:         2496
        .size:           416
        .value_kind:     by_value
      - .offset:         2912
        .size:           8
        .value_kind:     by_value
      - .offset:         2920
        .size:           8
        .value_kind:     by_value
      - .offset:         2928
        .size:           4
        .value_kind:     hidden_block_count_x
      - .offset:         2932
        .size:           4
        .value_kind:     hidden_block_count_y
      - .offset:         2936
        .size:           4
        .value_kind:     hidden_block_count_z
      - .offset:         2940
        .size:           2
        .value_kind:     hidden_group_size_x
      - .offset:         2942
        .size:           2
        .value_kind:     hidden_group_size_y
      - .offset:         2944
        .size:           2
        .value_kind:     hidden_group_size_z
      - .offset:         2946
        .size:           2
        .value_kind:     hidden_remainder_x
      - .offset:         2948
        .size:           2
        .value_kind:     hidden_remainder_y
      - .offset:         2950
        .size:           2
        .value_kind:     hidden_remainder_z
      - .offset:         2968
        .size:           8
        .value_kind:     hidden_global_offset_x
      - .offset:         2976
        .size:           8
        .value_kind:     hidden_global_offset_y
      - .offset:         2984
        .size:           8
        .value_kind:     hidden_global_offset_z
      - .offset:         2992
        .size:           2
        .value_kind:     hidden_grid_dims
    .group_segment_fixed_size: 0
    .kernarg_segment_align: 8
    .kernarg_segment_size: 3184
    .language:       OpenCL C
    .language_version:
      - 2
      - 0
    .max_flat_workgroup_size: 512
    .name:           _ZN2at6native12_GLOBAL__N_16kernel18lstm_cell_backwardIN3c108BFloat16EflLi1EEEvNS_4cuda6detail10TensorInfoIT_T1_EESB_SB_SB_SB_SB_SB_SA_SA_
    .private_segment_fixed_size: 0
    .sgpr_count:     49
    .sgpr_spill_count: 0
    .symbol:         _ZN2at6native12_GLOBAL__N_16kernel18lstm_cell_backwardIN3c108BFloat16EflLi1EEEvNS_4cuda6detail10TensorInfoIT_T1_EESB_SB_SB_SB_SB_SB_SA_SA_.kd
    .uniform_work_group_size: 1
    .uses_dynamic_stack: false
    .vgpr_count:     35
    .vgpr_spill_count: 0
    .wavefront_size: 32
    .workgroup_processor_mode: 1
  - .args:
      - .offset:         0
        .size:           416
        .value_kind:     by_value
      - .offset:         416
        .size:           416
        .value_kind:     by_value
      - .offset:         832
        .size:           416
        .value_kind:     by_value
      - .offset:         1248
        .size:           416
        .value_kind:     by_value
      - .offset:         1664
        .size:           416
        .value_kind:     by_value
      - .offset:         2080
        .size:           416
        .value_kind:     by_value
      - .offset:         2496
        .size:           416
        .value_kind:     by_value
      - .offset:         2912
        .size:           8
        .value_kind:     by_value
      - .offset:         2920
        .size:           8
        .value_kind:     by_value
      - .offset:         2928
        .size:           4
        .value_kind:     hidden_block_count_x
      - .offset:         2932
        .size:           4
        .value_kind:     hidden_block_count_y
      - .offset:         2936
        .size:           4
        .value_kind:     hidden_block_count_z
      - .offset:         2940
        .size:           2
        .value_kind:     hidden_group_size_x
      - .offset:         2942
        .size:           2
        .value_kind:     hidden_group_size_y
      - .offset:         2944
        .size:           2
        .value_kind:     hidden_group_size_z
      - .offset:         2946
        .size:           2
        .value_kind:     hidden_remainder_x
      - .offset:         2948
        .size:           2
        .value_kind:     hidden_remainder_y
      - .offset:         2950
        .size:           2
        .value_kind:     hidden_remainder_z
      - .offset:         2968
        .size:           8
        .value_kind:     hidden_global_offset_x
      - .offset:         2976
        .size:           8
        .value_kind:     hidden_global_offset_y
      - .offset:         2984
        .size:           8
        .value_kind:     hidden_global_offset_z
      - .offset:         2992
        .size:           2
        .value_kind:     hidden_grid_dims
    .group_segment_fixed_size: 0
    .kernarg_segment_align: 8
    .kernarg_segment_size: 3184
    .language:       OpenCL C
    .language_version:
      - 2
      - 0
    .max_flat_workgroup_size: 512
    .name:           _ZN2at6native12_GLOBAL__N_16kernel18lstm_cell_backwardIN3c108BFloat16EflLi2EEEvNS_4cuda6detail10TensorInfoIT_T1_EESB_SB_SB_SB_SB_SB_SA_SA_
    .private_segment_fixed_size: 0
    .sgpr_count:     97
    .sgpr_spill_count: 0
    .symbol:         _ZN2at6native12_GLOBAL__N_16kernel18lstm_cell_backwardIN3c108BFloat16EflLi2EEEvNS_4cuda6detail10TensorInfoIT_T1_EESB_SB_SB_SB_SB_SB_SA_SA_.kd
    .uniform_work_group_size: 1
    .uses_dynamic_stack: false
    .vgpr_count:     44
    .vgpr_spill_count: 0
    .wavefront_size: 32
    .workgroup_processor_mode: 1
  - .args:
      - .offset:         0
        .size:           216
        .value_kind:     by_value
      - .offset:         216
        .size:           216
        .value_kind:     by_value
      - .offset:         432
        .size:           216
        .value_kind:     by_value
      - .offset:         648
        .size:           216
        .value_kind:     by_value
      - .offset:         864
        .size:           216
        .value_kind:     by_value
      - .offset:         1080
        .size:           216
        .value_kind:     by_value
      - .offset:         1296
        .size:           216
        .value_kind:     by_value
      - .offset:         1512
        .size:           4
        .value_kind:     by_value
      - .offset:         1516
        .size:           4
        .value_kind:     by_value
      - .offset:         1520
        .size:           4
        .value_kind:     hidden_block_count_x
      - .offset:         1524
        .size:           4
        .value_kind:     hidden_block_count_y
      - .offset:         1528
        .size:           4
        .value_kind:     hidden_block_count_z
      - .offset:         1532
        .size:           2
        .value_kind:     hidden_group_size_x
      - .offset:         1534
        .size:           2
        .value_kind:     hidden_group_size_y
      - .offset:         1536
        .size:           2
        .value_kind:     hidden_group_size_z
      - .offset:         1538
        .size:           2
        .value_kind:     hidden_remainder_x
      - .offset:         1540
        .size:           2
        .value_kind:     hidden_remainder_y
      - .offset:         1542
        .size:           2
        .value_kind:     hidden_remainder_z
      - .offset:         1560
        .size:           8
        .value_kind:     hidden_global_offset_x
      - .offset:         1568
        .size:           8
        .value_kind:     hidden_global_offset_y
      - .offset:         1576
        .size:           8
        .value_kind:     hidden_global_offset_z
      - .offset:         1584
        .size:           2
        .value_kind:     hidden_grid_dims
    .group_segment_fixed_size: 0
    .kernarg_segment_align: 8
    .kernarg_segment_size: 1776
    .language:       OpenCL C
    .language_version:
      - 2
      - 0
    .max_flat_workgroup_size: 512
    .name:           _ZN2at6native12_GLOBAL__N_16kernel16gru_cell_forwardIddiLi1EEEvNS_4cuda6detail10TensorInfoIT_T1_EES9_S9_S9_S9_S9_S9_S8_S8_
    .private_segment_fixed_size: 0
    .sgpr_count:     70
    .sgpr_spill_count: 0
    .symbol:         _ZN2at6native12_GLOBAL__N_16kernel16gru_cell_forwardIddiLi1EEEvNS_4cuda6detail10TensorInfoIT_T1_EES9_S9_S9_S9_S9_S9_S8_S8_.kd
    .uniform_work_group_size: 1
    .uses_dynamic_stack: false
    .vgpr_count:     45
    .vgpr_spill_count: 0
    .wavefront_size: 32
    .workgroup_processor_mode: 1
  - .args:
      - .offset:         0
        .size:           216
        .value_kind:     by_value
      - .offset:         216
        .size:           216
        .value_kind:     by_value
      - .offset:         432
        .size:           216
        .value_kind:     by_value
      - .offset:         648
        .size:           216
        .value_kind:     by_value
      - .offset:         864
        .size:           216
        .value_kind:     by_value
      - .offset:         1080
        .size:           216
        .value_kind:     by_value
      - .offset:         1296
        .size:           216
        .value_kind:     by_value
      - .offset:         1512
        .size:           4
        .value_kind:     by_value
      - .offset:         1516
        .size:           4
        .value_kind:     by_value
      - .offset:         1520
        .size:           4
        .value_kind:     hidden_block_count_x
      - .offset:         1524
        .size:           4
        .value_kind:     hidden_block_count_y
      - .offset:         1528
        .size:           4
        .value_kind:     hidden_block_count_z
      - .offset:         1532
        .size:           2
        .value_kind:     hidden_group_size_x
      - .offset:         1534
        .size:           2
        .value_kind:     hidden_group_size_y
      - .offset:         1536
        .size:           2
        .value_kind:     hidden_group_size_z
      - .offset:         1538
        .size:           2
        .value_kind:     hidden_remainder_x
      - .offset:         1540
        .size:           2
        .value_kind:     hidden_remainder_y
      - .offset:         1542
        .size:           2
        .value_kind:     hidden_remainder_z
      - .offset:         1560
        .size:           8
        .value_kind:     hidden_global_offset_x
      - .offset:         1568
        .size:           8
        .value_kind:     hidden_global_offset_y
      - .offset:         1576
        .size:           8
        .value_kind:     hidden_global_offset_z
      - .offset:         1584
        .size:           2
        .value_kind:     hidden_grid_dims
    .group_segment_fixed_size: 0
    .kernarg_segment_align: 8
    .kernarg_segment_size: 1776
    .language:       OpenCL C
    .language_version:
      - 2
      - 0
    .max_flat_workgroup_size: 512
    .name:           _ZN2at6native12_GLOBAL__N_16kernel16gru_cell_forwardIddiLi2EEEvNS_4cuda6detail10TensorInfoIT_T1_EES9_S9_S9_S9_S9_S9_S8_S8_
    .private_segment_fixed_size: 0
    .sgpr_count:     98
    .sgpr_spill_count: 0
    .symbol:         _ZN2at6native12_GLOBAL__N_16kernel16gru_cell_forwardIddiLi2EEEvNS_4cuda6detail10TensorInfoIT_T1_EES9_S9_S9_S9_S9_S9_S8_S8_.kd
    .uniform_work_group_size: 1
    .uses_dynamic_stack: false
    .vgpr_count:     48
    .vgpr_spill_count: 0
    .wavefront_size: 32
    .workgroup_processor_mode: 1
  - .args:
      - .offset:         0
        .size:           416
        .value_kind:     by_value
      - .offset:         416
        .size:           416
        .value_kind:     by_value
      - .offset:         832
        .size:           416
        .value_kind:     by_value
      - .offset:         1248
        .size:           416
        .value_kind:     by_value
      - .offset:         1664
        .size:           416
        .value_kind:     by_value
      - .offset:         2080
        .size:           416
        .value_kind:     by_value
      - .offset:         2496
        .size:           416
        .value_kind:     by_value
      - .offset:         2912
        .size:           8
        .value_kind:     by_value
      - .offset:         2920
        .size:           8
        .value_kind:     by_value
      - .offset:         2928
        .size:           4
        .value_kind:     hidden_block_count_x
      - .offset:         2932
        .size:           4
        .value_kind:     hidden_block_count_y
      - .offset:         2936
        .size:           4
        .value_kind:     hidden_block_count_z
      - .offset:         2940
        .size:           2
        .value_kind:     hidden_group_size_x
      - .offset:         2942
        .size:           2
        .value_kind:     hidden_group_size_y
      - .offset:         2944
        .size:           2
        .value_kind:     hidden_group_size_z
      - .offset:         2946
        .size:           2
        .value_kind:     hidden_remainder_x
      - .offset:         2948
        .size:           2
        .value_kind:     hidden_remainder_y
      - .offset:         2950
        .size:           2
        .value_kind:     hidden_remainder_z
      - .offset:         2968
        .size:           8
        .value_kind:     hidden_global_offset_x
      - .offset:         2976
        .size:           8
        .value_kind:     hidden_global_offset_y
      - .offset:         2984
        .size:           8
        .value_kind:     hidden_global_offset_z
      - .offset:         2992
        .size:           2
        .value_kind:     hidden_grid_dims
    .group_segment_fixed_size: 0
    .kernarg_segment_align: 8
    .kernarg_segment_size: 3184
    .language:       OpenCL C
    .language_version:
      - 2
      - 0
    .max_flat_workgroup_size: 512
    .name:           _ZN2at6native12_GLOBAL__N_16kernel16gru_cell_forwardIddlLi1EEEvNS_4cuda6detail10TensorInfoIT_T1_EES9_S9_S9_S9_S9_S9_S8_S8_
    .private_segment_fixed_size: 0
    .sgpr_count:     90
    .sgpr_spill_count: 0
    .symbol:         _ZN2at6native12_GLOBAL__N_16kernel16gru_cell_forwardIddlLi1EEEvNS_4cuda6detail10TensorInfoIT_T1_EES9_S9_S9_S9_S9_S9_S8_S8_.kd
    .uniform_work_group_size: 1
    .uses_dynamic_stack: false
    .vgpr_count:     49
    .vgpr_spill_count: 0
    .wavefront_size: 32
    .workgroup_processor_mode: 1
  - .args:
      - .offset:         0
        .size:           416
        .value_kind:     by_value
      - .offset:         416
        .size:           416
        .value_kind:     by_value
      - .offset:         832
        .size:           416
        .value_kind:     by_value
      - .offset:         1248
        .size:           416
        .value_kind:     by_value
      - .offset:         1664
        .size:           416
        .value_kind:     by_value
      - .offset:         2080
        .size:           416
        .value_kind:     by_value
      - .offset:         2496
        .size:           416
        .value_kind:     by_value
      - .offset:         2912
        .size:           8
        .value_kind:     by_value
      - .offset:         2920
        .size:           8
        .value_kind:     by_value
      - .offset:         2928
        .size:           4
        .value_kind:     hidden_block_count_x
      - .offset:         2932
        .size:           4
        .value_kind:     hidden_block_count_y
      - .offset:         2936
        .size:           4
        .value_kind:     hidden_block_count_z
      - .offset:         2940
        .size:           2
        .value_kind:     hidden_group_size_x
      - .offset:         2942
        .size:           2
        .value_kind:     hidden_group_size_y
      - .offset:         2944
        .size:           2
        .value_kind:     hidden_group_size_z
      - .offset:         2946
        .size:           2
        .value_kind:     hidden_remainder_x
      - .offset:         2948
        .size:           2
        .value_kind:     hidden_remainder_y
      - .offset:         2950
        .size:           2
        .value_kind:     hidden_remainder_z
      - .offset:         2968
        .size:           8
        .value_kind:     hidden_global_offset_x
      - .offset:         2976
        .size:           8
        .value_kind:     hidden_global_offset_y
      - .offset:         2984
        .size:           8
        .value_kind:     hidden_global_offset_z
      - .offset:         2992
        .size:           2
        .value_kind:     hidden_grid_dims
    .group_segment_fixed_size: 0
    .kernarg_segment_align: 8
    .kernarg_segment_size: 3184
    .language:       OpenCL C
    .language_version:
      - 2
      - 0
    .max_flat_workgroup_size: 512
    .name:           _ZN2at6native12_GLOBAL__N_16kernel16gru_cell_forwardIddlLi2EEEvNS_4cuda6detail10TensorInfoIT_T1_EES9_S9_S9_S9_S9_S9_S8_S8_
    .private_segment_fixed_size: 0
    .sgpr_count:     107
    .sgpr_spill_count: 0
    .symbol:         _ZN2at6native12_GLOBAL__N_16kernel16gru_cell_forwardIddlLi2EEEvNS_4cuda6detail10TensorInfoIT_T1_EES9_S9_S9_S9_S9_S9_S8_S8_.kd
    .uniform_work_group_size: 1
    .uses_dynamic_stack: false
    .vgpr_count:     48
    .vgpr_spill_count: 0
    .wavefront_size: 32
    .workgroup_processor_mode: 1
  - .args:
      - .offset:         0
        .size:           216
        .value_kind:     by_value
      - .offset:         216
        .size:           216
        .value_kind:     by_value
      - .offset:         432
        .size:           216
        .value_kind:     by_value
      - .offset:         648
        .size:           216
        .value_kind:     by_value
      - .offset:         864
        .size:           216
        .value_kind:     by_value
      - .offset:         1080
        .size:           216
        .value_kind:     by_value
      - .offset:         1296
        .size:           216
        .value_kind:     by_value
      - .offset:         1512
        .size:           4
        .value_kind:     by_value
      - .offset:         1516
        .size:           4
        .value_kind:     by_value
      - .offset:         1520
        .size:           4
        .value_kind:     hidden_block_count_x
      - .offset:         1524
        .size:           4
        .value_kind:     hidden_block_count_y
      - .offset:         1528
        .size:           4
        .value_kind:     hidden_block_count_z
      - .offset:         1532
        .size:           2
        .value_kind:     hidden_group_size_x
      - .offset:         1534
        .size:           2
        .value_kind:     hidden_group_size_y
      - .offset:         1536
        .size:           2
        .value_kind:     hidden_group_size_z
      - .offset:         1538
        .size:           2
        .value_kind:     hidden_remainder_x
      - .offset:         1540
        .size:           2
        .value_kind:     hidden_remainder_y
      - .offset:         1542
        .size:           2
        .value_kind:     hidden_remainder_z
      - .offset:         1560
        .size:           8
        .value_kind:     hidden_global_offset_x
      - .offset:         1568
        .size:           8
        .value_kind:     hidden_global_offset_y
      - .offset:         1576
        .size:           8
        .value_kind:     hidden_global_offset_z
      - .offset:         1584
        .size:           2
        .value_kind:     hidden_grid_dims
    .group_segment_fixed_size: 0
    .kernarg_segment_align: 8
    .kernarg_segment_size: 1776
    .language:       OpenCL C
    .language_version:
      - 2
      - 0
    .max_flat_workgroup_size: 512
    .name:           _ZN2at6native12_GLOBAL__N_16kernel16gru_cell_forwardIffiLi1EEEvNS_4cuda6detail10TensorInfoIT_T1_EES9_S9_S9_S9_S9_S9_S8_S8_
    .private_segment_fixed_size: 0
    .sgpr_count:     38
    .sgpr_spill_count: 0
    .symbol:         _ZN2at6native12_GLOBAL__N_16kernel16gru_cell_forwardIffiLi1EEEvNS_4cuda6detail10TensorInfoIT_T1_EES9_S9_S9_S9_S9_S9_S8_S8_.kd
    .uniform_work_group_size: 1
    .uses_dynamic_stack: false
    .vgpr_count:     27
    .vgpr_spill_count: 0
    .wavefront_size: 32
    .workgroup_processor_mode: 1
  - .args:
      - .offset:         0
        .size:           216
        .value_kind:     by_value
      - .offset:         216
        .size:           216
        .value_kind:     by_value
      - .offset:         432
        .size:           216
        .value_kind:     by_value
      - .offset:         648
        .size:           216
        .value_kind:     by_value
      - .offset:         864
        .size:           216
        .value_kind:     by_value
      - .offset:         1080
        .size:           216
        .value_kind:     by_value
      - .offset:         1296
        .size:           216
        .value_kind:     by_value
      - .offset:         1512
        .size:           4
        .value_kind:     by_value
      - .offset:         1516
        .size:           4
        .value_kind:     by_value
      - .offset:         1520
        .size:           4
        .value_kind:     hidden_block_count_x
      - .offset:         1524
        .size:           4
        .value_kind:     hidden_block_count_y
      - .offset:         1528
        .size:           4
        .value_kind:     hidden_block_count_z
      - .offset:         1532
        .size:           2
        .value_kind:     hidden_group_size_x
      - .offset:         1534
        .size:           2
        .value_kind:     hidden_group_size_y
      - .offset:         1536
        .size:           2
        .value_kind:     hidden_group_size_z
      - .offset:         1538
        .size:           2
        .value_kind:     hidden_remainder_x
      - .offset:         1540
        .size:           2
        .value_kind:     hidden_remainder_y
      - .offset:         1542
        .size:           2
        .value_kind:     hidden_remainder_z
      - .offset:         1560
        .size:           8
        .value_kind:     hidden_global_offset_x
      - .offset:         1568
        .size:           8
        .value_kind:     hidden_global_offset_y
      - .offset:         1576
        .size:           8
        .value_kind:     hidden_global_offset_z
      - .offset:         1584
        .size:           2
        .value_kind:     hidden_grid_dims
    .group_segment_fixed_size: 0
    .kernarg_segment_align: 8
    .kernarg_segment_size: 1776
    .language:       OpenCL C
    .language_version:
      - 2
      - 0
    .max_flat_workgroup_size: 512
    .name:           _ZN2at6native12_GLOBAL__N_16kernel16gru_cell_forwardIffiLi2EEEvNS_4cuda6detail10TensorInfoIT_T1_EES9_S9_S9_S9_S9_S9_S8_S8_
    .private_segment_fixed_size: 0
    .sgpr_count:     64
    .sgpr_spill_count: 0
    .symbol:         _ZN2at6native12_GLOBAL__N_16kernel16gru_cell_forwardIffiLi2EEEvNS_4cuda6detail10TensorInfoIT_T1_EES9_S9_S9_S9_S9_S9_S8_S8_.kd
    .uniform_work_group_size: 1
    .uses_dynamic_stack: false
    .vgpr_count:     38
    .vgpr_spill_count: 0
    .wavefront_size: 32
    .workgroup_processor_mode: 1
  - .args:
      - .offset:         0
        .size:           416
        .value_kind:     by_value
      - .offset:         416
        .size:           416
        .value_kind:     by_value
      - .offset:         832
        .size:           416
        .value_kind:     by_value
      - .offset:         1248
        .size:           416
        .value_kind:     by_value
      - .offset:         1664
        .size:           416
        .value_kind:     by_value
      - .offset:         2080
        .size:           416
        .value_kind:     by_value
      - .offset:         2496
        .size:           416
        .value_kind:     by_value
      - .offset:         2912
        .size:           8
        .value_kind:     by_value
      - .offset:         2920
        .size:           8
        .value_kind:     by_value
      - .offset:         2928
        .size:           4
        .value_kind:     hidden_block_count_x
      - .offset:         2932
        .size:           4
        .value_kind:     hidden_block_count_y
      - .offset:         2936
        .size:           4
        .value_kind:     hidden_block_count_z
      - .offset:         2940
        .size:           2
        .value_kind:     hidden_group_size_x
      - .offset:         2942
        .size:           2
        .value_kind:     hidden_group_size_y
      - .offset:         2944
        .size:           2
        .value_kind:     hidden_group_size_z
      - .offset:         2946
        .size:           2
        .value_kind:     hidden_remainder_x
      - .offset:         2948
        .size:           2
        .value_kind:     hidden_remainder_y
      - .offset:         2950
        .size:           2
        .value_kind:     hidden_remainder_z
      - .offset:         2968
        .size:           8
        .value_kind:     hidden_global_offset_x
      - .offset:         2976
        .size:           8
        .value_kind:     hidden_global_offset_y
      - .offset:         2984
        .size:           8
        .value_kind:     hidden_global_offset_z
      - .offset:         2992
        .size:           2
        .value_kind:     hidden_grid_dims
    .group_segment_fixed_size: 0
    .kernarg_segment_align: 8
    .kernarg_segment_size: 3184
    .language:       OpenCL C
    .language_version:
      - 2
      - 0
    .max_flat_workgroup_size: 512
    .name:           _ZN2at6native12_GLOBAL__N_16kernel16gru_cell_forwardIfflLi1EEEvNS_4cuda6detail10TensorInfoIT_T1_EES9_S9_S9_S9_S9_S9_S8_S8_
    .private_segment_fixed_size: 0
    .sgpr_count:     58
    .sgpr_spill_count: 0
    .symbol:         _ZN2at6native12_GLOBAL__N_16kernel16gru_cell_forwardIfflLi1EEEvNS_4cuda6detail10TensorInfoIT_T1_EES9_S9_S9_S9_S9_S9_S8_S8_.kd
    .uniform_work_group_size: 1
    .uses_dynamic_stack: false
    .vgpr_count:     37
    .vgpr_spill_count: 0
    .wavefront_size: 32
    .workgroup_processor_mode: 1
  - .args:
      - .offset:         0
        .size:           416
        .value_kind:     by_value
      - .offset:         416
        .size:           416
        .value_kind:     by_value
      - .offset:         832
        .size:           416
        .value_kind:     by_value
      - .offset:         1248
        .size:           416
        .value_kind:     by_value
      - .offset:         1664
        .size:           416
        .value_kind:     by_value
      - .offset:         2080
        .size:           416
        .value_kind:     by_value
      - .offset:         2496
        .size:           416
        .value_kind:     by_value
      - .offset:         2912
        .size:           8
        .value_kind:     by_value
      - .offset:         2920
        .size:           8
        .value_kind:     by_value
      - .offset:         2928
        .size:           4
        .value_kind:     hidden_block_count_x
      - .offset:         2932
        .size:           4
        .value_kind:     hidden_block_count_y
      - .offset:         2936
        .size:           4
        .value_kind:     hidden_block_count_z
      - .offset:         2940
        .size:           2
        .value_kind:     hidden_group_size_x
      - .offset:         2942
        .size:           2
        .value_kind:     hidden_group_size_y
      - .offset:         2944
        .size:           2
        .value_kind:     hidden_group_size_z
      - .offset:         2946
        .size:           2
        .value_kind:     hidden_remainder_x
      - .offset:         2948
        .size:           2
        .value_kind:     hidden_remainder_y
      - .offset:         2950
        .size:           2
        .value_kind:     hidden_remainder_z
      - .offset:         2968
        .size:           8
        .value_kind:     hidden_global_offset_x
      - .offset:         2976
        .size:           8
        .value_kind:     hidden_global_offset_y
      - .offset:         2984
        .size:           8
        .value_kind:     hidden_global_offset_z
      - .offset:         2992
        .size:           2
        .value_kind:     hidden_grid_dims
    .group_segment_fixed_size: 0
    .kernarg_segment_align: 8
    .kernarg_segment_size: 3184
    .language:       OpenCL C
    .language_version:
      - 2
      - 0
    .max_flat_workgroup_size: 512
    .name:           _ZN2at6native12_GLOBAL__N_16kernel16gru_cell_forwardIfflLi2EEEvNS_4cuda6detail10TensorInfoIT_T1_EES9_S9_S9_S9_S9_S9_S8_S8_
    .private_segment_fixed_size: 0
    .sgpr_count:     87
    .sgpr_spill_count: 0
    .symbol:         _ZN2at6native12_GLOBAL__N_16kernel16gru_cell_forwardIfflLi2EEEvNS_4cuda6detail10TensorInfoIT_T1_EES9_S9_S9_S9_S9_S9_S8_S8_.kd
    .uniform_work_group_size: 1
    .uses_dynamic_stack: false
    .vgpr_count:     35
    .vgpr_spill_count: 0
    .wavefront_size: 32
    .workgroup_processor_mode: 1
  - .args:
      - .offset:         0
        .size:           216
        .value_kind:     by_value
      - .offset:         216
        .size:           216
        .value_kind:     by_value
      - .offset:         432
        .size:           216
        .value_kind:     by_value
      - .offset:         648
        .size:           216
        .value_kind:     by_value
      - .offset:         864
        .size:           216
        .value_kind:     by_value
      - .offset:         1080
        .size:           216
        .value_kind:     by_value
      - .offset:         1296
        .size:           216
        .value_kind:     by_value
      - .offset:         1512
        .size:           4
        .value_kind:     by_value
      - .offset:         1516
        .size:           4
        .value_kind:     by_value
      - .offset:         1520
        .size:           4
        .value_kind:     hidden_block_count_x
      - .offset:         1524
        .size:           4
        .value_kind:     hidden_block_count_y
      - .offset:         1528
        .size:           4
        .value_kind:     hidden_block_count_z
      - .offset:         1532
        .size:           2
        .value_kind:     hidden_group_size_x
      - .offset:         1534
        .size:           2
        .value_kind:     hidden_group_size_y
      - .offset:         1536
        .size:           2
        .value_kind:     hidden_group_size_z
      - .offset:         1538
        .size:           2
        .value_kind:     hidden_remainder_x
      - .offset:         1540
        .size:           2
        .value_kind:     hidden_remainder_y
      - .offset:         1542
        .size:           2
        .value_kind:     hidden_remainder_z
      - .offset:         1560
        .size:           8
        .value_kind:     hidden_global_offset_x
      - .offset:         1568
        .size:           8
        .value_kind:     hidden_global_offset_y
      - .offset:         1576
        .size:           8
        .value_kind:     hidden_global_offset_z
      - .offset:         1584
        .size:           2
        .value_kind:     hidden_grid_dims
    .group_segment_fixed_size: 0
    .kernarg_segment_align: 8
    .kernarg_segment_size: 1776
    .language:       OpenCL C
    .language_version:
      - 2
      - 0
    .max_flat_workgroup_size: 512
    .name:           _ZN2at6native12_GLOBAL__N_16kernel16gru_cell_forwardIN3c104HalfEfiLi1EEEvNS_4cuda6detail10TensorInfoIT_T1_EESB_SB_SB_SB_SB_SB_SA_SA_
    .private_segment_fixed_size: 0
    .sgpr_count:     38
    .sgpr_spill_count: 0
    .symbol:         _ZN2at6native12_GLOBAL__N_16kernel16gru_cell_forwardIN3c104HalfEfiLi1EEEvNS_4cuda6detail10TensorInfoIT_T1_EESB_SB_SB_SB_SB_SB_SA_SA_.kd
    .uniform_work_group_size: 1
    .uses_dynamic_stack: false
    .vgpr_count:     27
    .vgpr_spill_count: 0
    .wavefront_size: 32
    .workgroup_processor_mode: 1
  - .args:
      - .offset:         0
        .size:           216
        .value_kind:     by_value
      - .offset:         216
        .size:           216
        .value_kind:     by_value
      - .offset:         432
        .size:           216
        .value_kind:     by_value
      - .offset:         648
        .size:           216
        .value_kind:     by_value
      - .offset:         864
        .size:           216
        .value_kind:     by_value
      - .offset:         1080
        .size:           216
        .value_kind:     by_value
      - .offset:         1296
        .size:           216
        .value_kind:     by_value
      - .offset:         1512
        .size:           4
        .value_kind:     by_value
      - .offset:         1516
        .size:           4
        .value_kind:     by_value
      - .offset:         1520
        .size:           4
        .value_kind:     hidden_block_count_x
      - .offset:         1524
        .size:           4
        .value_kind:     hidden_block_count_y
      - .offset:         1528
        .size:           4
        .value_kind:     hidden_block_count_z
      - .offset:         1532
        .size:           2
        .value_kind:     hidden_group_size_x
      - .offset:         1534
        .size:           2
        .value_kind:     hidden_group_size_y
      - .offset:         1536
        .size:           2
        .value_kind:     hidden_group_size_z
      - .offset:         1538
        .size:           2
        .value_kind:     hidden_remainder_x
      - .offset:         1540
        .size:           2
        .value_kind:     hidden_remainder_y
      - .offset:         1542
        .size:           2
        .value_kind:     hidden_remainder_z
      - .offset:         1560
        .size:           8
        .value_kind:     hidden_global_offset_x
      - .offset:         1568
        .size:           8
        .value_kind:     hidden_global_offset_y
      - .offset:         1576
        .size:           8
        .value_kind:     hidden_global_offset_z
      - .offset:         1584
        .size:           2
        .value_kind:     hidden_grid_dims
    .group_segment_fixed_size: 0
    .kernarg_segment_align: 8
    .kernarg_segment_size: 1776
    .language:       OpenCL C
    .language_version:
      - 2
      - 0
    .max_flat_workgroup_size: 512
    .name:           _ZN2at6native12_GLOBAL__N_16kernel16gru_cell_forwardIN3c104HalfEfiLi2EEEvNS_4cuda6detail10TensorInfoIT_T1_EESB_SB_SB_SB_SB_SB_SA_SA_
    .private_segment_fixed_size: 0
    .sgpr_count:     64
    .sgpr_spill_count: 0
    .symbol:         _ZN2at6native12_GLOBAL__N_16kernel16gru_cell_forwardIN3c104HalfEfiLi2EEEvNS_4cuda6detail10TensorInfoIT_T1_EESB_SB_SB_SB_SB_SB_SA_SA_.kd
    .uniform_work_group_size: 1
    .uses_dynamic_stack: false
    .vgpr_count:     38
    .vgpr_spill_count: 0
    .wavefront_size: 32
    .workgroup_processor_mode: 1
  - .args:
      - .offset:         0
        .size:           416
        .value_kind:     by_value
      - .offset:         416
        .size:           416
        .value_kind:     by_value
      - .offset:         832
        .size:           416
        .value_kind:     by_value
      - .offset:         1248
        .size:           416
        .value_kind:     by_value
      - .offset:         1664
        .size:           416
        .value_kind:     by_value
      - .offset:         2080
        .size:           416
        .value_kind:     by_value
      - .offset:         2496
        .size:           416
        .value_kind:     by_value
      - .offset:         2912
        .size:           8
        .value_kind:     by_value
      - .offset:         2920
        .size:           8
        .value_kind:     by_value
      - .offset:         2928
        .size:           4
        .value_kind:     hidden_block_count_x
      - .offset:         2932
        .size:           4
        .value_kind:     hidden_block_count_y
      - .offset:         2936
        .size:           4
        .value_kind:     hidden_block_count_z
      - .offset:         2940
        .size:           2
        .value_kind:     hidden_group_size_x
      - .offset:         2942
        .size:           2
        .value_kind:     hidden_group_size_y
      - .offset:         2944
        .size:           2
        .value_kind:     hidden_group_size_z
      - .offset:         2946
        .size:           2
        .value_kind:     hidden_remainder_x
      - .offset:         2948
        .size:           2
        .value_kind:     hidden_remainder_y
      - .offset:         2950
        .size:           2
        .value_kind:     hidden_remainder_z
      - .offset:         2968
        .size:           8
        .value_kind:     hidden_global_offset_x
      - .offset:         2976
        .size:           8
        .value_kind:     hidden_global_offset_y
      - .offset:         2984
        .size:           8
        .value_kind:     hidden_global_offset_z
      - .offset:         2992
        .size:           2
        .value_kind:     hidden_grid_dims
    .group_segment_fixed_size: 0
    .kernarg_segment_align: 8
    .kernarg_segment_size: 3184
    .language:       OpenCL C
    .language_version:
      - 2
      - 0
    .max_flat_workgroup_size: 512
    .name:           _ZN2at6native12_GLOBAL__N_16kernel16gru_cell_forwardIN3c104HalfEflLi1EEEvNS_4cuda6detail10TensorInfoIT_T1_EESB_SB_SB_SB_SB_SB_SA_SA_
    .private_segment_fixed_size: 0
    .sgpr_count:     58
    .sgpr_spill_count: 0
    .symbol:         _ZN2at6native12_GLOBAL__N_16kernel16gru_cell_forwardIN3c104HalfEflLi1EEEvNS_4cuda6detail10TensorInfoIT_T1_EESB_SB_SB_SB_SB_SB_SA_SA_.kd
    .uniform_work_group_size: 1
    .uses_dynamic_stack: false
    .vgpr_count:     38
    .vgpr_spill_count: 0
    .wavefront_size: 32
    .workgroup_processor_mode: 1
  - .args:
      - .offset:         0
        .size:           416
        .value_kind:     by_value
      - .offset:         416
        .size:           416
        .value_kind:     by_value
      - .offset:         832
        .size:           416
        .value_kind:     by_value
      - .offset:         1248
        .size:           416
        .value_kind:     by_value
      - .offset:         1664
        .size:           416
        .value_kind:     by_value
      - .offset:         2080
        .size:           416
        .value_kind:     by_value
      - .offset:         2496
        .size:           416
        .value_kind:     by_value
      - .offset:         2912
        .size:           8
        .value_kind:     by_value
      - .offset:         2920
        .size:           8
        .value_kind:     by_value
      - .offset:         2928
        .size:           4
        .value_kind:     hidden_block_count_x
      - .offset:         2932
        .size:           4
        .value_kind:     hidden_block_count_y
      - .offset:         2936
        .size:           4
        .value_kind:     hidden_block_count_z
      - .offset:         2940
        .size:           2
        .value_kind:     hidden_group_size_x
      - .offset:         2942
        .size:           2
        .value_kind:     hidden_group_size_y
      - .offset:         2944
        .size:           2
        .value_kind:     hidden_group_size_z
      - .offset:         2946
        .size:           2
        .value_kind:     hidden_remainder_x
      - .offset:         2948
        .size:           2
        .value_kind:     hidden_remainder_y
      - .offset:         2950
        .size:           2
        .value_kind:     hidden_remainder_z
      - .offset:         2968
        .size:           8
        .value_kind:     hidden_global_offset_x
      - .offset:         2976
        .size:           8
        .value_kind:     hidden_global_offset_y
      - .offset:         2984
        .size:           8
        .value_kind:     hidden_global_offset_z
      - .offset:         2992
        .size:           2
        .value_kind:     hidden_grid_dims
    .group_segment_fixed_size: 0
    .kernarg_segment_align: 8
    .kernarg_segment_size: 3184
    .language:       OpenCL C
    .language_version:
      - 2
      - 0
    .max_flat_workgroup_size: 512
    .name:           _ZN2at6native12_GLOBAL__N_16kernel16gru_cell_forwardIN3c104HalfEflLi2EEEvNS_4cuda6detail10TensorInfoIT_T1_EESB_SB_SB_SB_SB_SB_SA_SA_
    .private_segment_fixed_size: 0
    .sgpr_count:     87
    .sgpr_spill_count: 0
    .symbol:         _ZN2at6native12_GLOBAL__N_16kernel16gru_cell_forwardIN3c104HalfEflLi2EEEvNS_4cuda6detail10TensorInfoIT_T1_EESB_SB_SB_SB_SB_SB_SA_SA_.kd
    .uniform_work_group_size: 1
    .uses_dynamic_stack: false
    .vgpr_count:     35
    .vgpr_spill_count: 0
    .wavefront_size: 32
    .workgroup_processor_mode: 1
  - .args:
      - .offset:         0
        .size:           216
        .value_kind:     by_value
      - .offset:         216
        .size:           216
        .value_kind:     by_value
      - .offset:         432
        .size:           216
        .value_kind:     by_value
      - .offset:         648
        .size:           216
        .value_kind:     by_value
      - .offset:         864
        .size:           216
        .value_kind:     by_value
      - .offset:         1080
        .size:           216
        .value_kind:     by_value
      - .offset:         1296
        .size:           216
        .value_kind:     by_value
      - .offset:         1512
        .size:           4
        .value_kind:     by_value
      - .offset:         1516
        .size:           4
        .value_kind:     by_value
      - .offset:         1520
        .size:           4
        .value_kind:     hidden_block_count_x
      - .offset:         1524
        .size:           4
        .value_kind:     hidden_block_count_y
      - .offset:         1528
        .size:           4
        .value_kind:     hidden_block_count_z
      - .offset:         1532
        .size:           2
        .value_kind:     hidden_group_size_x
      - .offset:         1534
        .size:           2
        .value_kind:     hidden_group_size_y
      - .offset:         1536
        .size:           2
        .value_kind:     hidden_group_size_z
      - .offset:         1538
        .size:           2
        .value_kind:     hidden_remainder_x
      - .offset:         1540
        .size:           2
        .value_kind:     hidden_remainder_y
      - .offset:         1542
        .size:           2
        .value_kind:     hidden_remainder_z
      - .offset:         1560
        .size:           8
        .value_kind:     hidden_global_offset_x
      - .offset:         1568
        .size:           8
        .value_kind:     hidden_global_offset_y
      - .offset:         1576
        .size:           8
        .value_kind:     hidden_global_offset_z
      - .offset:         1584
        .size:           2
        .value_kind:     hidden_grid_dims
    .group_segment_fixed_size: 0
    .kernarg_segment_align: 8
    .kernarg_segment_size: 1776
    .language:       OpenCL C
    .language_version:
      - 2
      - 0
    .max_flat_workgroup_size: 512
    .name:           _ZN2at6native12_GLOBAL__N_16kernel16gru_cell_forwardIN3c108BFloat16EfiLi1EEEvNS_4cuda6detail10TensorInfoIT_T1_EESB_SB_SB_SB_SB_SB_SA_SA_
    .private_segment_fixed_size: 0
    .sgpr_count:     38
    .sgpr_spill_count: 0
    .symbol:         _ZN2at6native12_GLOBAL__N_16kernel16gru_cell_forwardIN3c108BFloat16EfiLi1EEEvNS_4cuda6detail10TensorInfoIT_T1_EESB_SB_SB_SB_SB_SB_SA_SA_.kd
    .uniform_work_group_size: 1
    .uses_dynamic_stack: false
    .vgpr_count:     27
    .vgpr_spill_count: 0
    .wavefront_size: 32
    .workgroup_processor_mode: 1
  - .args:
      - .offset:         0
        .size:           216
        .value_kind:     by_value
      - .offset:         216
        .size:           216
        .value_kind:     by_value
      - .offset:         432
        .size:           216
        .value_kind:     by_value
      - .offset:         648
        .size:           216
        .value_kind:     by_value
      - .offset:         864
        .size:           216
        .value_kind:     by_value
      - .offset:         1080
        .size:           216
        .value_kind:     by_value
      - .offset:         1296
        .size:           216
        .value_kind:     by_value
      - .offset:         1512
        .size:           4
        .value_kind:     by_value
      - .offset:         1516
        .size:           4
        .value_kind:     by_value
      - .offset:         1520
        .size:           4
        .value_kind:     hidden_block_count_x
      - .offset:         1524
        .size:           4
        .value_kind:     hidden_block_count_y
      - .offset:         1528
        .size:           4
        .value_kind:     hidden_block_count_z
      - .offset:         1532
        .size:           2
        .value_kind:     hidden_group_size_x
      - .offset:         1534
        .size:           2
        .value_kind:     hidden_group_size_y
      - .offset:         1536
        .size:           2
        .value_kind:     hidden_group_size_z
      - .offset:         1538
        .size:           2
        .value_kind:     hidden_remainder_x
      - .offset:         1540
        .size:           2
        .value_kind:     hidden_remainder_y
      - .offset:         1542
        .size:           2
        .value_kind:     hidden_remainder_z
      - .offset:         1560
        .size:           8
        .value_kind:     hidden_global_offset_x
      - .offset:         1568
        .size:           8
        .value_kind:     hidden_global_offset_y
      - .offset:         1576
        .size:           8
        .value_kind:     hidden_global_offset_z
      - .offset:         1584
        .size:           2
        .value_kind:     hidden_grid_dims
    .group_segment_fixed_size: 0
    .kernarg_segment_align: 8
    .kernarg_segment_size: 1776
    .language:       OpenCL C
    .language_version:
      - 2
      - 0
    .max_flat_workgroup_size: 512
    .name:           _ZN2at6native12_GLOBAL__N_16kernel16gru_cell_forwardIN3c108BFloat16EfiLi2EEEvNS_4cuda6detail10TensorInfoIT_T1_EESB_SB_SB_SB_SB_SB_SA_SA_
    .private_segment_fixed_size: 0
    .sgpr_count:     64
    .sgpr_spill_count: 0
    .symbol:         _ZN2at6native12_GLOBAL__N_16kernel16gru_cell_forwardIN3c108BFloat16EfiLi2EEEvNS_4cuda6detail10TensorInfoIT_T1_EESB_SB_SB_SB_SB_SB_SA_SA_.kd
    .uniform_work_group_size: 1
    .uses_dynamic_stack: false
    .vgpr_count:     38
    .vgpr_spill_count: 0
    .wavefront_size: 32
    .workgroup_processor_mode: 1
  - .args:
      - .offset:         0
        .size:           416
        .value_kind:     by_value
      - .offset:         416
        .size:           416
        .value_kind:     by_value
      - .offset:         832
        .size:           416
        .value_kind:     by_value
      - .offset:         1248
        .size:           416
        .value_kind:     by_value
      - .offset:         1664
        .size:           416
        .value_kind:     by_value
      - .offset:         2080
        .size:           416
        .value_kind:     by_value
      - .offset:         2496
        .size:           416
        .value_kind:     by_value
      - .offset:         2912
        .size:           8
        .value_kind:     by_value
      - .offset:         2920
        .size:           8
        .value_kind:     by_value
      - .offset:         2928
        .size:           4
        .value_kind:     hidden_block_count_x
      - .offset:         2932
        .size:           4
        .value_kind:     hidden_block_count_y
      - .offset:         2936
        .size:           4
        .value_kind:     hidden_block_count_z
      - .offset:         2940
        .size:           2
        .value_kind:     hidden_group_size_x
      - .offset:         2942
        .size:           2
        .value_kind:     hidden_group_size_y
      - .offset:         2944
        .size:           2
        .value_kind:     hidden_group_size_z
      - .offset:         2946
        .size:           2
        .value_kind:     hidden_remainder_x
      - .offset:         2948
        .size:           2
        .value_kind:     hidden_remainder_y
      - .offset:         2950
        .size:           2
        .value_kind:     hidden_remainder_z
      - .offset:         2968
        .size:           8
        .value_kind:     hidden_global_offset_x
      - .offset:         2976
        .size:           8
        .value_kind:     hidden_global_offset_y
      - .offset:         2984
        .size:           8
        .value_kind:     hidden_global_offset_z
      - .offset:         2992
        .size:           2
        .value_kind:     hidden_grid_dims
    .group_segment_fixed_size: 0
    .kernarg_segment_align: 8
    .kernarg_segment_size: 3184
    .language:       OpenCL C
    .language_version:
      - 2
      - 0
    .max_flat_workgroup_size: 512
    .name:           _ZN2at6native12_GLOBAL__N_16kernel16gru_cell_forwardIN3c108BFloat16EflLi1EEEvNS_4cuda6detail10TensorInfoIT_T1_EESB_SB_SB_SB_SB_SB_SA_SA_
    .private_segment_fixed_size: 0
    .sgpr_count:     58
    .sgpr_spill_count: 0
    .symbol:         _ZN2at6native12_GLOBAL__N_16kernel16gru_cell_forwardIN3c108BFloat16EflLi1EEEvNS_4cuda6detail10TensorInfoIT_T1_EESB_SB_SB_SB_SB_SB_SA_SA_.kd
    .uniform_work_group_size: 1
    .uses_dynamic_stack: false
    .vgpr_count:     41
    .vgpr_spill_count: 0
    .wavefront_size: 32
    .workgroup_processor_mode: 1
  - .args:
      - .offset:         0
        .size:           416
        .value_kind:     by_value
      - .offset:         416
        .size:           416
        .value_kind:     by_value
      - .offset:         832
        .size:           416
        .value_kind:     by_value
      - .offset:         1248
        .size:           416
        .value_kind:     by_value
      - .offset:         1664
        .size:           416
        .value_kind:     by_value
      - .offset:         2080
        .size:           416
        .value_kind:     by_value
      - .offset:         2496
        .size:           416
        .value_kind:     by_value
      - .offset:         2912
        .size:           8
        .value_kind:     by_value
      - .offset:         2920
        .size:           8
        .value_kind:     by_value
      - .offset:         2928
        .size:           4
        .value_kind:     hidden_block_count_x
      - .offset:         2932
        .size:           4
        .value_kind:     hidden_block_count_y
      - .offset:         2936
        .size:           4
        .value_kind:     hidden_block_count_z
      - .offset:         2940
        .size:           2
        .value_kind:     hidden_group_size_x
      - .offset:         2942
        .size:           2
        .value_kind:     hidden_group_size_y
      - .offset:         2944
        .size:           2
        .value_kind:     hidden_group_size_z
      - .offset:         2946
        .size:           2
        .value_kind:     hidden_remainder_x
      - .offset:         2948
        .size:           2
        .value_kind:     hidden_remainder_y
      - .offset:         2950
        .size:           2
        .value_kind:     hidden_remainder_z
      - .offset:         2968
        .size:           8
        .value_kind:     hidden_global_offset_x
      - .offset:         2976
        .size:           8
        .value_kind:     hidden_global_offset_y
      - .offset:         2984
        .size:           8
        .value_kind:     hidden_global_offset_z
      - .offset:         2992
        .size:           2
        .value_kind:     hidden_grid_dims
    .group_segment_fixed_size: 0
    .kernarg_segment_align: 8
    .kernarg_segment_size: 3184
    .language:       OpenCL C
    .language_version:
      - 2
      - 0
    .max_flat_workgroup_size: 512
    .name:           _ZN2at6native12_GLOBAL__N_16kernel16gru_cell_forwardIN3c108BFloat16EflLi2EEEvNS_4cuda6detail10TensorInfoIT_T1_EESB_SB_SB_SB_SB_SB_SA_SA_
    .private_segment_fixed_size: 0
    .sgpr_count:     87
    .sgpr_spill_count: 0
    .symbol:         _ZN2at6native12_GLOBAL__N_16kernel16gru_cell_forwardIN3c108BFloat16EflLi2EEEvNS_4cuda6detail10TensorInfoIT_T1_EESB_SB_SB_SB_SB_SB_SA_SA_.kd
    .uniform_work_group_size: 1
    .uses_dynamic_stack: false
    .vgpr_count:     35
    .vgpr_spill_count: 0
    .wavefront_size: 32
    .workgroup_processor_mode: 1
  - .args:
      - .offset:         0
        .size:           216
        .value_kind:     by_value
      - .offset:         216
        .size:           216
        .value_kind:     by_value
      - .offset:         432
        .size:           216
        .value_kind:     by_value
      - .offset:         648
        .size:           216
        .value_kind:     by_value
      - .offset:         864
        .size:           216
        .value_kind:     by_value
      - .offset:         1080
        .size:           4
        .value_kind:     by_value
      - .offset:         1084
        .size:           4
        .value_kind:     by_value
      - .offset:         1088
        .size:           4
        .value_kind:     hidden_block_count_x
      - .offset:         1092
        .size:           4
        .value_kind:     hidden_block_count_y
      - .offset:         1096
        .size:           4
        .value_kind:     hidden_block_count_z
      - .offset:         1100
        .size:           2
        .value_kind:     hidden_group_size_x
      - .offset:         1102
        .size:           2
        .value_kind:     hidden_group_size_y
      - .offset:         1104
        .size:           2
        .value_kind:     hidden_group_size_z
      - .offset:         1106
        .size:           2
        .value_kind:     hidden_remainder_x
      - .offset:         1108
        .size:           2
        .value_kind:     hidden_remainder_y
      - .offset:         1110
        .size:           2
        .value_kind:     hidden_remainder_z
      - .offset:         1128
        .size:           8
        .value_kind:     hidden_global_offset_x
      - .offset:         1136
        .size:           8
        .value_kind:     hidden_global_offset_y
      - .offset:         1144
        .size:           8
        .value_kind:     hidden_global_offset_z
      - .offset:         1152
        .size:           2
        .value_kind:     hidden_grid_dims
    .group_segment_fixed_size: 0
    .kernarg_segment_align: 8
    .kernarg_segment_size: 1344
    .language:       OpenCL C
    .language_version:
      - 2
      - 0
    .max_flat_workgroup_size: 512
    .name:           _ZN2at6native12_GLOBAL__N_16kernel17gru_cell_backwardIddiLi1EEEvNS_4cuda6detail10TensorInfoIT_T1_EES9_S9_S9_S9_S8_S8_
    .private_segment_fixed_size: 0
    .sgpr_count:     28
    .sgpr_spill_count: 0
    .symbol:         _ZN2at6native12_GLOBAL__N_16kernel17gru_cell_backwardIddiLi1EEEvNS_4cuda6detail10TensorInfoIT_T1_EES9_S9_S9_S9_S8_S8_.kd
    .uniform_work_group_size: 1
    .uses_dynamic_stack: false
    .vgpr_count:     31
    .vgpr_spill_count: 0
    .wavefront_size: 32
    .workgroup_processor_mode: 1
  - .args:
      - .offset:         0
        .size:           216
        .value_kind:     by_value
      - .offset:         216
        .size:           216
        .value_kind:     by_value
      - .offset:         432
        .size:           216
        .value_kind:     by_value
      - .offset:         648
        .size:           216
        .value_kind:     by_value
      - .offset:         864
        .size:           216
        .value_kind:     by_value
      - .offset:         1080
        .size:           4
        .value_kind:     by_value
      - .offset:         1084
        .size:           4
        .value_kind:     by_value
      - .offset:         1088
        .size:           4
        .value_kind:     hidden_block_count_x
      - .offset:         1092
        .size:           4
        .value_kind:     hidden_block_count_y
      - .offset:         1096
        .size:           4
        .value_kind:     hidden_block_count_z
      - .offset:         1100
        .size:           2
        .value_kind:     hidden_group_size_x
      - .offset:         1102
        .size:           2
        .value_kind:     hidden_group_size_y
      - .offset:         1104
        .size:           2
        .value_kind:     hidden_group_size_z
      - .offset:         1106
        .size:           2
        .value_kind:     hidden_remainder_x
      - .offset:         1108
        .size:           2
        .value_kind:     hidden_remainder_y
      - .offset:         1110
        .size:           2
        .value_kind:     hidden_remainder_z
      - .offset:         1128
        .size:           8
        .value_kind:     hidden_global_offset_x
      - .offset:         1136
        .size:           8
        .value_kind:     hidden_global_offset_y
      - .offset:         1144
        .size:           8
        .value_kind:     hidden_global_offset_z
      - .offset:         1152
        .size:           2
        .value_kind:     hidden_grid_dims
    .group_segment_fixed_size: 0
    .kernarg_segment_align: 8
    .kernarg_segment_size: 1344
    .language:       OpenCL C
    .language_version:
      - 2
      - 0
    .max_flat_workgroup_size: 512
    .name:           _ZN2at6native12_GLOBAL__N_16kernel17gru_cell_backwardIddiLi2EEEvNS_4cuda6detail10TensorInfoIT_T1_EES9_S9_S9_S9_S8_S8_
    .private_segment_fixed_size: 0
    .sgpr_count:     55
    .sgpr_spill_count: 0
    .symbol:         _ZN2at6native12_GLOBAL__N_16kernel17gru_cell_backwardIddiLi2EEEvNS_4cuda6detail10TensorInfoIT_T1_EES9_S9_S9_S9_S8_S8_.kd
    .uniform_work_group_size: 1
    .uses_dynamic_stack: false
    .vgpr_count:     51
    .vgpr_spill_count: 0
    .wavefront_size: 32
    .workgroup_processor_mode: 1
  - .args:
      - .offset:         0
        .size:           416
        .value_kind:     by_value
      - .offset:         416
        .size:           416
        .value_kind:     by_value
      - .offset:         832
        .size:           416
        .value_kind:     by_value
      - .offset:         1248
        .size:           416
        .value_kind:     by_value
      - .offset:         1664
        .size:           416
        .value_kind:     by_value
      - .offset:         2080
        .size:           8
        .value_kind:     by_value
      - .offset:         2088
        .size:           8
        .value_kind:     by_value
      - .offset:         2096
        .size:           4
        .value_kind:     hidden_block_count_x
      - .offset:         2100
        .size:           4
        .value_kind:     hidden_block_count_y
      - .offset:         2104
        .size:           4
        .value_kind:     hidden_block_count_z
      - .offset:         2108
        .size:           2
        .value_kind:     hidden_group_size_x
      - .offset:         2110
        .size:           2
        .value_kind:     hidden_group_size_y
      - .offset:         2112
        .size:           2
        .value_kind:     hidden_group_size_z
      - .offset:         2114
        .size:           2
        .value_kind:     hidden_remainder_x
      - .offset:         2116
        .size:           2
        .value_kind:     hidden_remainder_y
      - .offset:         2118
        .size:           2
        .value_kind:     hidden_remainder_z
      - .offset:         2136
        .size:           8
        .value_kind:     hidden_global_offset_x
      - .offset:         2144
        .size:           8
        .value_kind:     hidden_global_offset_y
      - .offset:         2152
        .size:           8
        .value_kind:     hidden_global_offset_z
      - .offset:         2160
        .size:           2
        .value_kind:     hidden_grid_dims
    .group_segment_fixed_size: 0
    .kernarg_segment_align: 8
    .kernarg_segment_size: 2352
    .language:       OpenCL C
    .language_version:
      - 2
      - 0
    .max_flat_workgroup_size: 512
    .name:           _ZN2at6native12_GLOBAL__N_16kernel17gru_cell_backwardIddlLi1EEEvNS_4cuda6detail10TensorInfoIT_T1_EES9_S9_S9_S9_S8_S8_
    .private_segment_fixed_size: 0
    .sgpr_count:     46
    .sgpr_spill_count: 0
    .symbol:         _ZN2at6native12_GLOBAL__N_16kernel17gru_cell_backwardIddlLi1EEEvNS_4cuda6detail10TensorInfoIT_T1_EES9_S9_S9_S9_S8_S8_.kd
    .uniform_work_group_size: 1
    .uses_dynamic_stack: false
    .vgpr_count:     42
    .vgpr_spill_count: 0
    .wavefront_size: 32
    .workgroup_processor_mode: 1
  - .args:
      - .offset:         0
        .size:           416
        .value_kind:     by_value
      - .offset:         416
        .size:           416
        .value_kind:     by_value
      - .offset:         832
        .size:           416
        .value_kind:     by_value
      - .offset:         1248
        .size:           416
        .value_kind:     by_value
      - .offset:         1664
        .size:           416
        .value_kind:     by_value
      - .offset:         2080
        .size:           8
        .value_kind:     by_value
      - .offset:         2088
        .size:           8
        .value_kind:     by_value
      - .offset:         2096
        .size:           4
        .value_kind:     hidden_block_count_x
      - .offset:         2100
        .size:           4
        .value_kind:     hidden_block_count_y
      - .offset:         2104
        .size:           4
        .value_kind:     hidden_block_count_z
      - .offset:         2108
        .size:           2
        .value_kind:     hidden_group_size_x
      - .offset:         2110
        .size:           2
        .value_kind:     hidden_group_size_y
      - .offset:         2112
        .size:           2
        .value_kind:     hidden_group_size_z
      - .offset:         2114
        .size:           2
        .value_kind:     hidden_remainder_x
      - .offset:         2116
        .size:           2
        .value_kind:     hidden_remainder_y
      - .offset:         2118
        .size:           2
        .value_kind:     hidden_remainder_z
      - .offset:         2136
        .size:           8
        .value_kind:     hidden_global_offset_x
      - .offset:         2144
        .size:           8
        .value_kind:     hidden_global_offset_y
      - .offset:         2152
        .size:           8
        .value_kind:     hidden_global_offset_z
      - .offset:         2160
        .size:           2
        .value_kind:     hidden_grid_dims
    .group_segment_fixed_size: 0
    .kernarg_segment_align: 8
    .kernarg_segment_size: 2352
    .language:       OpenCL C
    .language_version:
      - 2
      - 0
    .max_flat_workgroup_size: 512
    .name:           _ZN2at6native12_GLOBAL__N_16kernel17gru_cell_backwardIddlLi2EEEvNS_4cuda6detail10TensorInfoIT_T1_EES9_S9_S9_S9_S8_S8_
    .private_segment_fixed_size: 0
    .sgpr_count:     75
    .sgpr_spill_count: 0
    .symbol:         _ZN2at6native12_GLOBAL__N_16kernel17gru_cell_backwardIddlLi2EEEvNS_4cuda6detail10TensorInfoIT_T1_EES9_S9_S9_S9_S8_S8_.kd
    .uniform_work_group_size: 1
    .uses_dynamic_stack: false
    .vgpr_count:     45
    .vgpr_spill_count: 0
    .wavefront_size: 32
    .workgroup_processor_mode: 1
  - .args:
      - .offset:         0
        .size:           216
        .value_kind:     by_value
      - .offset:         216
        .size:           216
        .value_kind:     by_value
      - .offset:         432
        .size:           216
        .value_kind:     by_value
      - .offset:         648
        .size:           216
        .value_kind:     by_value
      - .offset:         864
        .size:           216
        .value_kind:     by_value
      - .offset:         1080
        .size:           4
        .value_kind:     by_value
      - .offset:         1084
        .size:           4
        .value_kind:     by_value
      - .offset:         1088
        .size:           4
        .value_kind:     hidden_block_count_x
      - .offset:         1092
        .size:           4
        .value_kind:     hidden_block_count_y
      - .offset:         1096
        .size:           4
        .value_kind:     hidden_block_count_z
      - .offset:         1100
        .size:           2
        .value_kind:     hidden_group_size_x
      - .offset:         1102
        .size:           2
        .value_kind:     hidden_group_size_y
      - .offset:         1104
        .size:           2
        .value_kind:     hidden_group_size_z
      - .offset:         1106
        .size:           2
        .value_kind:     hidden_remainder_x
      - .offset:         1108
        .size:           2
        .value_kind:     hidden_remainder_y
      - .offset:         1110
        .size:           2
        .value_kind:     hidden_remainder_z
      - .offset:         1128
        .size:           8
        .value_kind:     hidden_global_offset_x
      - .offset:         1136
        .size:           8
        .value_kind:     hidden_global_offset_y
      - .offset:         1144
        .size:           8
        .value_kind:     hidden_global_offset_z
      - .offset:         1152
        .size:           2
        .value_kind:     hidden_grid_dims
    .group_segment_fixed_size: 0
    .kernarg_segment_align: 8
    .kernarg_segment_size: 1344
    .language:       OpenCL C
    .language_version:
      - 2
      - 0
    .max_flat_workgroup_size: 512
    .name:           _ZN2at6native12_GLOBAL__N_16kernel17gru_cell_backwardIffiLi1EEEvNS_4cuda6detail10TensorInfoIT_T1_EES9_S9_S9_S9_S8_S8_
    .private_segment_fixed_size: 0
    .sgpr_count:     28
    .sgpr_spill_count: 0
    .symbol:         _ZN2at6native12_GLOBAL__N_16kernel17gru_cell_backwardIffiLi1EEEvNS_4cuda6detail10TensorInfoIT_T1_EES9_S9_S9_S9_S8_S8_.kd
    .uniform_work_group_size: 1
    .uses_dynamic_stack: false
    .vgpr_count:     27
    .vgpr_spill_count: 0
    .wavefront_size: 32
    .workgroup_processor_mode: 1
  - .args:
      - .offset:         0
        .size:           216
        .value_kind:     by_value
      - .offset:         216
        .size:           216
        .value_kind:     by_value
      - .offset:         432
        .size:           216
        .value_kind:     by_value
      - .offset:         648
        .size:           216
        .value_kind:     by_value
      - .offset:         864
        .size:           216
        .value_kind:     by_value
      - .offset:         1080
        .size:           4
        .value_kind:     by_value
      - .offset:         1084
        .size:           4
        .value_kind:     by_value
      - .offset:         1088
        .size:           4
        .value_kind:     hidden_block_count_x
      - .offset:         1092
        .size:           4
        .value_kind:     hidden_block_count_y
      - .offset:         1096
        .size:           4
        .value_kind:     hidden_block_count_z
      - .offset:         1100
        .size:           2
        .value_kind:     hidden_group_size_x
      - .offset:         1102
        .size:           2
        .value_kind:     hidden_group_size_y
      - .offset:         1104
        .size:           2
        .value_kind:     hidden_group_size_z
      - .offset:         1106
        .size:           2
        .value_kind:     hidden_remainder_x
      - .offset:         1108
        .size:           2
        .value_kind:     hidden_remainder_y
      - .offset:         1110
        .size:           2
        .value_kind:     hidden_remainder_z
      - .offset:         1128
        .size:           8
        .value_kind:     hidden_global_offset_x
      - .offset:         1136
        .size:           8
        .value_kind:     hidden_global_offset_y
      - .offset:         1144
        .size:           8
        .value_kind:     hidden_global_offset_z
      - .offset:         1152
        .size:           2
        .value_kind:     hidden_grid_dims
    .group_segment_fixed_size: 0
    .kernarg_segment_align: 8
    .kernarg_segment_size: 1344
    .language:       OpenCL C
    .language_version:
      - 2
      - 0
    .max_flat_workgroup_size: 512
    .name:           _ZN2at6native12_GLOBAL__N_16kernel17gru_cell_backwardIffiLi2EEEvNS_4cuda6detail10TensorInfoIT_T1_EES9_S9_S9_S9_S8_S8_
    .private_segment_fixed_size: 0
    .sgpr_count:     55
    .sgpr_spill_count: 0
    .symbol:         _ZN2at6native12_GLOBAL__N_16kernel17gru_cell_backwardIffiLi2EEEvNS_4cuda6detail10TensorInfoIT_T1_EES9_S9_S9_S9_S8_S8_.kd
    .uniform_work_group_size: 1
    .uses_dynamic_stack: false
    .vgpr_count:     39
    .vgpr_spill_count: 0
    .wavefront_size: 32
    .workgroup_processor_mode: 1
  - .args:
      - .offset:         0
        .size:           416
        .value_kind:     by_value
      - .offset:         416
        .size:           416
        .value_kind:     by_value
      - .offset:         832
        .size:           416
        .value_kind:     by_value
      - .offset:         1248
        .size:           416
        .value_kind:     by_value
      - .offset:         1664
        .size:           416
        .value_kind:     by_value
      - .offset:         2080
        .size:           8
        .value_kind:     by_value
      - .offset:         2088
        .size:           8
        .value_kind:     by_value
      - .offset:         2096
        .size:           4
        .value_kind:     hidden_block_count_x
      - .offset:         2100
        .size:           4
        .value_kind:     hidden_block_count_y
      - .offset:         2104
        .size:           4
        .value_kind:     hidden_block_count_z
      - .offset:         2108
        .size:           2
        .value_kind:     hidden_group_size_x
      - .offset:         2110
        .size:           2
        .value_kind:     hidden_group_size_y
      - .offset:         2112
        .size:           2
        .value_kind:     hidden_group_size_z
      - .offset:         2114
        .size:           2
        .value_kind:     hidden_remainder_x
      - .offset:         2116
        .size:           2
        .value_kind:     hidden_remainder_y
      - .offset:         2118
        .size:           2
        .value_kind:     hidden_remainder_z
      - .offset:         2136
        .size:           8
        .value_kind:     hidden_global_offset_x
      - .offset:         2144
        .size:           8
        .value_kind:     hidden_global_offset_y
      - .offset:         2152
        .size:           8
        .value_kind:     hidden_global_offset_z
      - .offset:         2160
        .size:           2
        .value_kind:     hidden_grid_dims
    .group_segment_fixed_size: 0
    .kernarg_segment_align: 8
    .kernarg_segment_size: 2352
    .language:       OpenCL C
    .language_version:
      - 2
      - 0
    .max_flat_workgroup_size: 512
    .name:           _ZN2at6native12_GLOBAL__N_16kernel17gru_cell_backwardIfflLi1EEEvNS_4cuda6detail10TensorInfoIT_T1_EES9_S9_S9_S9_S8_S8_
    .private_segment_fixed_size: 0
    .sgpr_count:     46
    .sgpr_spill_count: 0
    .symbol:         _ZN2at6native12_GLOBAL__N_16kernel17gru_cell_backwardIfflLi1EEEvNS_4cuda6detail10TensorInfoIT_T1_EES9_S9_S9_S9_S8_S8_.kd
    .uniform_work_group_size: 1
    .uses_dynamic_stack: false
    .vgpr_count:     36
    .vgpr_spill_count: 0
    .wavefront_size: 32
    .workgroup_processor_mode: 1
  - .args:
      - .offset:         0
        .size:           416
        .value_kind:     by_value
      - .offset:         416
        .size:           416
        .value_kind:     by_value
      - .offset:         832
        .size:           416
        .value_kind:     by_value
      - .offset:         1248
        .size:           416
        .value_kind:     by_value
      - .offset:         1664
        .size:           416
        .value_kind:     by_value
      - .offset:         2080
        .size:           8
        .value_kind:     by_value
      - .offset:         2088
        .size:           8
        .value_kind:     by_value
      - .offset:         2096
        .size:           4
        .value_kind:     hidden_block_count_x
      - .offset:         2100
        .size:           4
        .value_kind:     hidden_block_count_y
      - .offset:         2104
        .size:           4
        .value_kind:     hidden_block_count_z
      - .offset:         2108
        .size:           2
        .value_kind:     hidden_group_size_x
      - .offset:         2110
        .size:           2
        .value_kind:     hidden_group_size_y
      - .offset:         2112
        .size:           2
        .value_kind:     hidden_group_size_z
      - .offset:         2114
        .size:           2
        .value_kind:     hidden_remainder_x
      - .offset:         2116
        .size:           2
        .value_kind:     hidden_remainder_y
      - .offset:         2118
        .size:           2
        .value_kind:     hidden_remainder_z
      - .offset:         2136
        .size:           8
        .value_kind:     hidden_global_offset_x
      - .offset:         2144
        .size:           8
        .value_kind:     hidden_global_offset_y
      - .offset:         2152
        .size:           8
        .value_kind:     hidden_global_offset_z
      - .offset:         2160
        .size:           2
        .value_kind:     hidden_grid_dims
    .group_segment_fixed_size: 0
    .kernarg_segment_align: 8
    .kernarg_segment_size: 2352
    .language:       OpenCL C
    .language_version:
      - 2
      - 0
    .max_flat_workgroup_size: 512
    .name:           _ZN2at6native12_GLOBAL__N_16kernel17gru_cell_backwardIfflLi2EEEvNS_4cuda6detail10TensorInfoIT_T1_EES9_S9_S9_S9_S8_S8_
    .private_segment_fixed_size: 0
    .sgpr_count:     75
    .sgpr_spill_count: 0
    .symbol:         _ZN2at6native12_GLOBAL__N_16kernel17gru_cell_backwardIfflLi2EEEvNS_4cuda6detail10TensorInfoIT_T1_EES9_S9_S9_S9_S8_S8_.kd
    .uniform_work_group_size: 1
    .uses_dynamic_stack: false
    .vgpr_count:     37
    .vgpr_spill_count: 0
    .wavefront_size: 32
    .workgroup_processor_mode: 1
  - .args:
      - .offset:         0
        .size:           216
        .value_kind:     by_value
      - .offset:         216
        .size:           216
        .value_kind:     by_value
      - .offset:         432
        .size:           216
        .value_kind:     by_value
      - .offset:         648
        .size:           216
        .value_kind:     by_value
      - .offset:         864
        .size:           216
        .value_kind:     by_value
      - .offset:         1080
        .size:           4
        .value_kind:     by_value
      - .offset:         1084
        .size:           4
        .value_kind:     by_value
      - .offset:         1088
        .size:           4
        .value_kind:     hidden_block_count_x
      - .offset:         1092
        .size:           4
        .value_kind:     hidden_block_count_y
      - .offset:         1096
        .size:           4
        .value_kind:     hidden_block_count_z
      - .offset:         1100
        .size:           2
        .value_kind:     hidden_group_size_x
      - .offset:         1102
        .size:           2
        .value_kind:     hidden_group_size_y
      - .offset:         1104
        .size:           2
        .value_kind:     hidden_group_size_z
      - .offset:         1106
        .size:           2
        .value_kind:     hidden_remainder_x
      - .offset:         1108
        .size:           2
        .value_kind:     hidden_remainder_y
      - .offset:         1110
        .size:           2
        .value_kind:     hidden_remainder_z
      - .offset:         1128
        .size:           8
        .value_kind:     hidden_global_offset_x
      - .offset:         1136
        .size:           8
        .value_kind:     hidden_global_offset_y
      - .offset:         1144
        .size:           8
        .value_kind:     hidden_global_offset_z
      - .offset:         1152
        .size:           2
        .value_kind:     hidden_grid_dims
    .group_segment_fixed_size: 0
    .kernarg_segment_align: 8
    .kernarg_segment_size: 1344
    .language:       OpenCL C
    .language_version:
      - 2
      - 0
    .max_flat_workgroup_size: 512
    .name:           _ZN2at6native12_GLOBAL__N_16kernel17gru_cell_backwardIN3c104HalfEfiLi1EEEvNS_4cuda6detail10TensorInfoIT_T1_EESB_SB_SB_SB_SA_SA_
    .private_segment_fixed_size: 0
    .sgpr_count:     28
    .sgpr_spill_count: 0
    .symbol:         _ZN2at6native12_GLOBAL__N_16kernel17gru_cell_backwardIN3c104HalfEfiLi1EEEvNS_4cuda6detail10TensorInfoIT_T1_EESB_SB_SB_SB_SA_SA_.kd
    .uniform_work_group_size: 1
    .uses_dynamic_stack: false
    .vgpr_count:     27
    .vgpr_spill_count: 0
    .wavefront_size: 32
    .workgroup_processor_mode: 1
  - .args:
      - .offset:         0
        .size:           216
        .value_kind:     by_value
      - .offset:         216
        .size:           216
        .value_kind:     by_value
      - .offset:         432
        .size:           216
        .value_kind:     by_value
      - .offset:         648
        .size:           216
        .value_kind:     by_value
      - .offset:         864
        .size:           216
        .value_kind:     by_value
      - .offset:         1080
        .size:           4
        .value_kind:     by_value
      - .offset:         1084
        .size:           4
        .value_kind:     by_value
      - .offset:         1088
        .size:           4
        .value_kind:     hidden_block_count_x
      - .offset:         1092
        .size:           4
        .value_kind:     hidden_block_count_y
      - .offset:         1096
        .size:           4
        .value_kind:     hidden_block_count_z
      - .offset:         1100
        .size:           2
        .value_kind:     hidden_group_size_x
      - .offset:         1102
        .size:           2
        .value_kind:     hidden_group_size_y
      - .offset:         1104
        .size:           2
        .value_kind:     hidden_group_size_z
      - .offset:         1106
        .size:           2
        .value_kind:     hidden_remainder_x
      - .offset:         1108
        .size:           2
        .value_kind:     hidden_remainder_y
      - .offset:         1110
        .size:           2
        .value_kind:     hidden_remainder_z
      - .offset:         1128
        .size:           8
        .value_kind:     hidden_global_offset_x
      - .offset:         1136
        .size:           8
        .value_kind:     hidden_global_offset_y
      - .offset:         1144
        .size:           8
        .value_kind:     hidden_global_offset_z
      - .offset:         1152
        .size:           2
        .value_kind:     hidden_grid_dims
    .group_segment_fixed_size: 0
    .kernarg_segment_align: 8
    .kernarg_segment_size: 1344
    .language:       OpenCL C
    .language_version:
      - 2
      - 0
    .max_flat_workgroup_size: 512
    .name:           _ZN2at6native12_GLOBAL__N_16kernel17gru_cell_backwardIN3c104HalfEfiLi2EEEvNS_4cuda6detail10TensorInfoIT_T1_EESB_SB_SB_SB_SA_SA_
    .private_segment_fixed_size: 0
    .sgpr_count:     56
    .sgpr_spill_count: 0
    .symbol:         _ZN2at6native12_GLOBAL__N_16kernel17gru_cell_backwardIN3c104HalfEfiLi2EEEvNS_4cuda6detail10TensorInfoIT_T1_EESB_SB_SB_SB_SA_SA_.kd
    .uniform_work_group_size: 1
    .uses_dynamic_stack: false
    .vgpr_count:     39
    .vgpr_spill_count: 0
    .wavefront_size: 32
    .workgroup_processor_mode: 1
  - .args:
      - .offset:         0
        .size:           416
        .value_kind:     by_value
      - .offset:         416
        .size:           416
        .value_kind:     by_value
      - .offset:         832
        .size:           416
        .value_kind:     by_value
      - .offset:         1248
        .size:           416
        .value_kind:     by_value
      - .offset:         1664
        .size:           416
        .value_kind:     by_value
      - .offset:         2080
        .size:           8
        .value_kind:     by_value
      - .offset:         2088
        .size:           8
        .value_kind:     by_value
      - .offset:         2096
        .size:           4
        .value_kind:     hidden_block_count_x
      - .offset:         2100
        .size:           4
        .value_kind:     hidden_block_count_y
      - .offset:         2104
        .size:           4
        .value_kind:     hidden_block_count_z
      - .offset:         2108
        .size:           2
        .value_kind:     hidden_group_size_x
      - .offset:         2110
        .size:           2
        .value_kind:     hidden_group_size_y
      - .offset:         2112
        .size:           2
        .value_kind:     hidden_group_size_z
      - .offset:         2114
        .size:           2
        .value_kind:     hidden_remainder_x
      - .offset:         2116
        .size:           2
        .value_kind:     hidden_remainder_y
      - .offset:         2118
        .size:           2
        .value_kind:     hidden_remainder_z
      - .offset:         2136
        .size:           8
        .value_kind:     hidden_global_offset_x
      - .offset:         2144
        .size:           8
        .value_kind:     hidden_global_offset_y
      - .offset:         2152
        .size:           8
        .value_kind:     hidden_global_offset_z
      - .offset:         2160
        .size:           2
        .value_kind:     hidden_grid_dims
    .group_segment_fixed_size: 0
    .kernarg_segment_align: 8
    .kernarg_segment_size: 2352
    .language:       OpenCL C
    .language_version:
      - 2
      - 0
    .max_flat_workgroup_size: 512
    .name:           _ZN2at6native12_GLOBAL__N_16kernel17gru_cell_backwardIN3c104HalfEflLi1EEEvNS_4cuda6detail10TensorInfoIT_T1_EESB_SB_SB_SB_SA_SA_
    .private_segment_fixed_size: 0
    .sgpr_count:     47
    .sgpr_spill_count: 0
    .symbol:         _ZN2at6native12_GLOBAL__N_16kernel17gru_cell_backwardIN3c104HalfEflLi1EEEvNS_4cuda6detail10TensorInfoIT_T1_EESB_SB_SB_SB_SA_SA_.kd
    .uniform_work_group_size: 1
    .uses_dynamic_stack: false
    .vgpr_count:     36
    .vgpr_spill_count: 0
    .wavefront_size: 32
    .workgroup_processor_mode: 1
  - .args:
      - .offset:         0
        .size:           416
        .value_kind:     by_value
      - .offset:         416
        .size:           416
        .value_kind:     by_value
      - .offset:         832
        .size:           416
        .value_kind:     by_value
      - .offset:         1248
        .size:           416
        .value_kind:     by_value
      - .offset:         1664
        .size:           416
        .value_kind:     by_value
      - .offset:         2080
        .size:           8
        .value_kind:     by_value
      - .offset:         2088
        .size:           8
        .value_kind:     by_value
      - .offset:         2096
        .size:           4
        .value_kind:     hidden_block_count_x
      - .offset:         2100
        .size:           4
        .value_kind:     hidden_block_count_y
      - .offset:         2104
        .size:           4
        .value_kind:     hidden_block_count_z
      - .offset:         2108
        .size:           2
        .value_kind:     hidden_group_size_x
      - .offset:         2110
        .size:           2
        .value_kind:     hidden_group_size_y
      - .offset:         2112
        .size:           2
        .value_kind:     hidden_group_size_z
      - .offset:         2114
        .size:           2
        .value_kind:     hidden_remainder_x
      - .offset:         2116
        .size:           2
        .value_kind:     hidden_remainder_y
      - .offset:         2118
        .size:           2
        .value_kind:     hidden_remainder_z
      - .offset:         2136
        .size:           8
        .value_kind:     hidden_global_offset_x
      - .offset:         2144
        .size:           8
        .value_kind:     hidden_global_offset_y
      - .offset:         2152
        .size:           8
        .value_kind:     hidden_global_offset_z
      - .offset:         2160
        .size:           2
        .value_kind:     hidden_grid_dims
    .group_segment_fixed_size: 0
    .kernarg_segment_align: 8
    .kernarg_segment_size: 2352
    .language:       OpenCL C
    .language_version:
      - 2
      - 0
    .max_flat_workgroup_size: 512
    .name:           _ZN2at6native12_GLOBAL__N_16kernel17gru_cell_backwardIN3c104HalfEflLi2EEEvNS_4cuda6detail10TensorInfoIT_T1_EESB_SB_SB_SB_SA_SA_
    .private_segment_fixed_size: 0
    .sgpr_count:     76
    .sgpr_spill_count: 0
    .symbol:         _ZN2at6native12_GLOBAL__N_16kernel17gru_cell_backwardIN3c104HalfEflLi2EEEvNS_4cuda6detail10TensorInfoIT_T1_EESB_SB_SB_SB_SA_SA_.kd
    .uniform_work_group_size: 1
    .uses_dynamic_stack: false
    .vgpr_count:     39
    .vgpr_spill_count: 0
    .wavefront_size: 32
    .workgroup_processor_mode: 1
  - .args:
      - .offset:         0
        .size:           216
        .value_kind:     by_value
      - .offset:         216
        .size:           216
        .value_kind:     by_value
      - .offset:         432
        .size:           216
        .value_kind:     by_value
      - .offset:         648
        .size:           216
        .value_kind:     by_value
      - .offset:         864
        .size:           216
        .value_kind:     by_value
      - .offset:         1080
        .size:           4
        .value_kind:     by_value
      - .offset:         1084
        .size:           4
        .value_kind:     by_value
      - .offset:         1088
        .size:           4
        .value_kind:     hidden_block_count_x
      - .offset:         1092
        .size:           4
        .value_kind:     hidden_block_count_y
      - .offset:         1096
        .size:           4
        .value_kind:     hidden_block_count_z
      - .offset:         1100
        .size:           2
        .value_kind:     hidden_group_size_x
      - .offset:         1102
        .size:           2
        .value_kind:     hidden_group_size_y
      - .offset:         1104
        .size:           2
        .value_kind:     hidden_group_size_z
      - .offset:         1106
        .size:           2
        .value_kind:     hidden_remainder_x
      - .offset:         1108
        .size:           2
        .value_kind:     hidden_remainder_y
      - .offset:         1110
        .size:           2
        .value_kind:     hidden_remainder_z
      - .offset:         1128
        .size:           8
        .value_kind:     hidden_global_offset_x
      - .offset:         1136
        .size:           8
        .value_kind:     hidden_global_offset_y
      - .offset:         1144
        .size:           8
        .value_kind:     hidden_global_offset_z
      - .offset:         1152
        .size:           2
        .value_kind:     hidden_grid_dims
    .group_segment_fixed_size: 0
    .kernarg_segment_align: 8
    .kernarg_segment_size: 1344
    .language:       OpenCL C
    .language_version:
      - 2
      - 0
    .max_flat_workgroup_size: 512
    .name:           _ZN2at6native12_GLOBAL__N_16kernel17gru_cell_backwardIN3c108BFloat16EfiLi1EEEvNS_4cuda6detail10TensorInfoIT_T1_EESB_SB_SB_SB_SA_SA_
    .private_segment_fixed_size: 0
    .sgpr_count:     28
    .sgpr_spill_count: 0
    .symbol:         _ZN2at6native12_GLOBAL__N_16kernel17gru_cell_backwardIN3c108BFloat16EfiLi1EEEvNS_4cuda6detail10TensorInfoIT_T1_EESB_SB_SB_SB_SA_SA_.kd
    .uniform_work_group_size: 1
    .uses_dynamic_stack: false
    .vgpr_count:     27
    .vgpr_spill_count: 0
    .wavefront_size: 32
    .workgroup_processor_mode: 1
  - .args:
      - .offset:         0
        .size:           216
        .value_kind:     by_value
      - .offset:         216
        .size:           216
        .value_kind:     by_value
      - .offset:         432
        .size:           216
        .value_kind:     by_value
      - .offset:         648
        .size:           216
        .value_kind:     by_value
      - .offset:         864
        .size:           216
        .value_kind:     by_value
      - .offset:         1080
        .size:           4
        .value_kind:     by_value
      - .offset:         1084
        .size:           4
        .value_kind:     by_value
      - .offset:         1088
        .size:           4
        .value_kind:     hidden_block_count_x
      - .offset:         1092
        .size:           4
        .value_kind:     hidden_block_count_y
      - .offset:         1096
        .size:           4
        .value_kind:     hidden_block_count_z
      - .offset:         1100
        .size:           2
        .value_kind:     hidden_group_size_x
      - .offset:         1102
        .size:           2
        .value_kind:     hidden_group_size_y
      - .offset:         1104
        .size:           2
        .value_kind:     hidden_group_size_z
      - .offset:         1106
        .size:           2
        .value_kind:     hidden_remainder_x
      - .offset:         1108
        .size:           2
        .value_kind:     hidden_remainder_y
      - .offset:         1110
        .size:           2
        .value_kind:     hidden_remainder_z
      - .offset:         1128
        .size:           8
        .value_kind:     hidden_global_offset_x
      - .offset:         1136
        .size:           8
        .value_kind:     hidden_global_offset_y
      - .offset:         1144
        .size:           8
        .value_kind:     hidden_global_offset_z
      - .offset:         1152
        .size:           2
        .value_kind:     hidden_grid_dims
    .group_segment_fixed_size: 0
    .kernarg_segment_align: 8
    .kernarg_segment_size: 1344
    .language:       OpenCL C
    .language_version:
      - 2
      - 0
    .max_flat_workgroup_size: 512
    .name:           _ZN2at6native12_GLOBAL__N_16kernel17gru_cell_backwardIN3c108BFloat16EfiLi2EEEvNS_4cuda6detail10TensorInfoIT_T1_EESB_SB_SB_SB_SA_SA_
    .private_segment_fixed_size: 0
    .sgpr_count:     55
    .sgpr_spill_count: 0
    .symbol:         _ZN2at6native12_GLOBAL__N_16kernel17gru_cell_backwardIN3c108BFloat16EfiLi2EEEvNS_4cuda6detail10TensorInfoIT_T1_EESB_SB_SB_SB_SA_SA_.kd
    .uniform_work_group_size: 1
    .uses_dynamic_stack: false
    .vgpr_count:     39
    .vgpr_spill_count: 0
    .wavefront_size: 32
    .workgroup_processor_mode: 1
  - .args:
      - .offset:         0
        .size:           416
        .value_kind:     by_value
      - .offset:         416
        .size:           416
        .value_kind:     by_value
      - .offset:         832
        .size:           416
        .value_kind:     by_value
      - .offset:         1248
        .size:           416
        .value_kind:     by_value
      - .offset:         1664
        .size:           416
        .value_kind:     by_value
      - .offset:         2080
        .size:           8
        .value_kind:     by_value
      - .offset:         2088
        .size:           8
        .value_kind:     by_value
      - .offset:         2096
        .size:           4
        .value_kind:     hidden_block_count_x
      - .offset:         2100
        .size:           4
        .value_kind:     hidden_block_count_y
      - .offset:         2104
        .size:           4
        .value_kind:     hidden_block_count_z
      - .offset:         2108
        .size:           2
        .value_kind:     hidden_group_size_x
      - .offset:         2110
        .size:           2
        .value_kind:     hidden_group_size_y
      - .offset:         2112
        .size:           2
        .value_kind:     hidden_group_size_z
      - .offset:         2114
        .size:           2
        .value_kind:     hidden_remainder_x
      - .offset:         2116
        .size:           2
        .value_kind:     hidden_remainder_y
      - .offset:         2118
        .size:           2
        .value_kind:     hidden_remainder_z
      - .offset:         2136
        .size:           8
        .value_kind:     hidden_global_offset_x
      - .offset:         2144
        .size:           8
        .value_kind:     hidden_global_offset_y
      - .offset:         2152
        .size:           8
        .value_kind:     hidden_global_offset_z
      - .offset:         2160
        .size:           2
        .value_kind:     hidden_grid_dims
    .group_segment_fixed_size: 0
    .kernarg_segment_align: 8
    .kernarg_segment_size: 2352
    .language:       OpenCL C
    .language_version:
      - 2
      - 0
    .max_flat_workgroup_size: 512
    .name:           _ZN2at6native12_GLOBAL__N_16kernel17gru_cell_backwardIN3c108BFloat16EflLi1EEEvNS_4cuda6detail10TensorInfoIT_T1_EESB_SB_SB_SB_SA_SA_
    .private_segment_fixed_size: 0
    .sgpr_count:     46
    .sgpr_spill_count: 0
    .symbol:         _ZN2at6native12_GLOBAL__N_16kernel17gru_cell_backwardIN3c108BFloat16EflLi1EEEvNS_4cuda6detail10TensorInfoIT_T1_EESB_SB_SB_SB_SA_SA_.kd
    .uniform_work_group_size: 1
    .uses_dynamic_stack: false
    .vgpr_count:     36
    .vgpr_spill_count: 0
    .wavefront_size: 32
    .workgroup_processor_mode: 1
  - .args:
      - .offset:         0
        .size:           416
        .value_kind:     by_value
      - .offset:         416
        .size:           416
        .value_kind:     by_value
      - .offset:         832
        .size:           416
        .value_kind:     by_value
      - .offset:         1248
        .size:           416
        .value_kind:     by_value
      - .offset:         1664
        .size:           416
        .value_kind:     by_value
      - .offset:         2080
        .size:           8
        .value_kind:     by_value
      - .offset:         2088
        .size:           8
        .value_kind:     by_value
      - .offset:         2096
        .size:           4
        .value_kind:     hidden_block_count_x
      - .offset:         2100
        .size:           4
        .value_kind:     hidden_block_count_y
      - .offset:         2104
        .size:           4
        .value_kind:     hidden_block_count_z
      - .offset:         2108
        .size:           2
        .value_kind:     hidden_group_size_x
      - .offset:         2110
        .size:           2
        .value_kind:     hidden_group_size_y
      - .offset:         2112
        .size:           2
        .value_kind:     hidden_group_size_z
      - .offset:         2114
        .size:           2
        .value_kind:     hidden_remainder_x
      - .offset:         2116
        .size:           2
        .value_kind:     hidden_remainder_y
      - .offset:         2118
        .size:           2
        .value_kind:     hidden_remainder_z
      - .offset:         2136
        .size:           8
        .value_kind:     hidden_global_offset_x
      - .offset:         2144
        .size:           8
        .value_kind:     hidden_global_offset_y
      - .offset:         2152
        .size:           8
        .value_kind:     hidden_global_offset_z
      - .offset:         2160
        .size:           2
        .value_kind:     hidden_grid_dims
    .group_segment_fixed_size: 0
    .kernarg_segment_align: 8
    .kernarg_segment_size: 2352
    .language:       OpenCL C
    .language_version:
      - 2
      - 0
    .max_flat_workgroup_size: 512
    .name:           _ZN2at6native12_GLOBAL__N_16kernel17gru_cell_backwardIN3c108BFloat16EflLi2EEEvNS_4cuda6detail10TensorInfoIT_T1_EESB_SB_SB_SB_SA_SA_
    .private_segment_fixed_size: 0
    .sgpr_count:     75
    .sgpr_spill_count: 0
    .symbol:         _ZN2at6native12_GLOBAL__N_16kernel17gru_cell_backwardIN3c108BFloat16EflLi2EEEvNS_4cuda6detail10TensorInfoIT_T1_EESB_SB_SB_SB_SA_SA_.kd
    .uniform_work_group_size: 1
    .uses_dynamic_stack: false
    .vgpr_count:     37
    .vgpr_spill_count: 0
    .wavefront_size: 32
    .workgroup_processor_mode: 1
amdhsa.target:   amdgcn-amd-amdhsa--gfx1201
amdhsa.version:
  - 1
  - 2
...

	.end_amdgpu_metadata
